;; amdgpu-corpus repo=ROCm/rocSPARSE kind=compiled arch=gfx1250 opt=O3
	.amdgcn_target "amdgcn-amd-amdhsa--gfx1250"
	.amdhsa_code_object_version 6
	.section	.text._ZN9rocsparseL38csrgemm_numeric_fill_wf_per_row_kernelILj256ELj8ELj16ELj137EiifEEvT4_S1_PKS1_S3_NS_24const_host_device_scalarIT5_EEPKT3_S3_PKS5_S9_S3_SB_S6_S9_S3_SB_S9_S3_PS5_21rocsparse_index_base_SD_SD_SD_bbb,"axG",@progbits,_ZN9rocsparseL38csrgemm_numeric_fill_wf_per_row_kernelILj256ELj8ELj16ELj137EiifEEvT4_S1_PKS1_S3_NS_24const_host_device_scalarIT5_EEPKT3_S3_PKS5_S9_S3_SB_S6_S9_S3_SB_S9_S3_PS5_21rocsparse_index_base_SD_SD_SD_bbb,comdat
	.globl	_ZN9rocsparseL38csrgemm_numeric_fill_wf_per_row_kernelILj256ELj8ELj16ELj137EiifEEvT4_S1_PKS1_S3_NS_24const_host_device_scalarIT5_EEPKT3_S3_PKS5_S9_S3_SB_S6_S9_S3_SB_S9_S3_PS5_21rocsparse_index_base_SD_SD_SD_bbb ; -- Begin function _ZN9rocsparseL38csrgemm_numeric_fill_wf_per_row_kernelILj256ELj8ELj16ELj137EiifEEvT4_S1_PKS1_S3_NS_24const_host_device_scalarIT5_EEPKT3_S3_PKS5_S9_S3_SB_S6_S9_S3_SB_S9_S3_PS5_21rocsparse_index_base_SD_SD_SD_bbb
	.p2align	8
	.type	_ZN9rocsparseL38csrgemm_numeric_fill_wf_per_row_kernelILj256ELj8ELj16ELj137EiifEEvT4_S1_PKS1_S3_NS_24const_host_device_scalarIT5_EEPKT3_S3_PKS5_S9_S3_SB_S6_S9_S3_SB_S9_S3_PS5_21rocsparse_index_base_SD_SD_SD_bbb,@function
_ZN9rocsparseL38csrgemm_numeric_fill_wf_per_row_kernelILj256ELj8ELj16ELj137EiifEEvT4_S1_PKS1_S3_NS_24const_host_device_scalarIT5_EEPKT3_S3_PKS5_S9_S3_SB_S6_S9_S3_SB_S9_S3_PS5_21rocsparse_index_base_SD_SD_SD_bbb: ; @_ZN9rocsparseL38csrgemm_numeric_fill_wf_per_row_kernelILj256ELj8ELj16ELj137EiifEEvT4_S1_PKS1_S3_NS_24const_host_device_scalarIT5_EEPKT3_S3_PKS5_S9_S3_SB_S6_S9_S3_SB_S9_S3_PS5_21rocsparse_index_base_SD_SD_SD_bbb
; %bb.0:
	s_clause 0x3
	s_load_b32 s18, s[0:1], 0x98
	s_load_b64 s[2:3], s[0:1], 0x18
	s_load_b128 s[4:7], s[0:1], 0x88
	s_load_b64 s[16:17], s[0:1], 0x50
	s_wait_kmcnt 0x0
	s_and_b32 s8, 1, s18
	s_bitcmp1_b32 s18, 16
	s_cselect_b32 s19, -1, 0
	s_cmp_eq_u32 s8, 1
	s_cselect_b32 s38, -1, 0
	s_delay_alu instid0(SALU_CYCLE_1) | instskip(SKIP_2) | instid1(SALU_CYCLE_1)
	s_and_b32 s8, s38, exec_lo
	s_cselect_b32 s36, s2, 0
	s_xor_b32 s8, s38, -1
	s_or_b32 s8, s19, s8
	s_delay_alu instid0(SALU_CYCLE_1)
	s_and_b32 vcc_lo, exec_lo, s8
	s_cbranch_vccnz .LBB0_2
; %bb.1:
	s_load_b32 s36, s[2:3], 0x0
.LBB0_2:
	s_wait_xcnt 0x0
	s_clause 0x4
	s_load_b64 s[2:3], s[0:1], 0x80
	s_load_b128 s[8:11], s[0:1], 0x60
	s_load_b128 s[12:15], s[0:1], 0x40
	;; [unrolled: 1-line block ×3, first 2 shown]
	s_load_b64 s[28:29], s[0:1], 0x28
	s_bitcmp1_b32 s18, 8
	s_cselect_b32 s37, -1, 0
	s_delay_alu instid0(SALU_CYCLE_1) | instskip(SKIP_2) | instid1(SALU_CYCLE_1)
	s_and_b32 s18, s37, exec_lo
	s_cselect_b32 s33, s16, 0
	s_xor_b32 s18, s37, -1
	s_or_b32 s18, s19, s18
	s_delay_alu instid0(SALU_CYCLE_1)
	s_and_b32 vcc_lo, exec_lo, s18
	s_cbranch_vccnz .LBB0_4
; %bb.3:
	s_load_b32 s33, s[16:17], 0x0
.LBB0_4:
	s_clause 0x2
	s_load_b64 s[24:25], s[0:1], 0x0
	s_load_b64 s[34:35], s[0:1], 0x20
	;; [unrolled: 1-line block ×3, first 2 shown]
	v_dual_lshrrev_b32 v1, 3, v0 :: v_dual_bitop2_b32 v10, 7, v0 bitop3:0x40
	s_load_b64 s[30:31], s[0:1], 0x58
	s_wait_xcnt 0x0
	s_load_b128 s[16:19], s[0:1], 0x30
	s_wait_xcnt 0x0
	s_mov_b32 s0, 0
	v_dual_lshlrev_b32 v0, 2, v10 :: v_dual_bitop2_b32 v7, -8, v10 bitop3:0x54
	s_delay_alu instid0(VALU_DEP_1) | instskip(NEXT) | instid1(VALU_DEP_2)
	v_lshl_or_b32 v6, v1, 6, v0
	v_dual_mov_b32 v0, 0 :: v_dual_mov_b32 v4, v7
	s_wait_kmcnt 0x0
	s_delay_alu instid0(VALU_DEP_2)
	v_dual_mov_b32 v2, v6 :: v_dual_mov_b32 v3, s25
.LBB0_5:                                ; =>This Inner Loop Header: Depth=1
	s_delay_alu instid0(VALU_DEP_2) | instskip(SKIP_4) | instid1(SALU_CYCLE_1)
	v_add_co_u32 v4, s1, v4, 8
	s_xor_b32 s1, s1, -1
	ds_store_2addr_stride64_b32 v2, v0, v3 offset1:8
	v_add_nc_u32_e32 v2, 32, v2
	s_and_b32 s1, exec_lo, s1
	s_or_b32 s0, s1, s0
	s_delay_alu instid0(SALU_CYCLE_1)
	s_and_not1_b32 exec_lo, exec_lo, s0
	s_cbranch_execnz .LBB0_5
; %bb.6:
	s_or_b32 exec_lo, exec_lo, s0
	s_bfe_u32 s0, ttmp6, 0x4000c
	s_and_b32 s1, ttmp6, 15
	s_add_co_i32 s0, s0, 1
	s_getreg_b32 s39, hwreg(HW_REG_IB_STS2, 6, 4)
	s_mul_i32 s0, ttmp9, s0
	s_wait_dscnt 0x0
	s_add_co_i32 s1, s1, s0
	s_cmp_eq_u32 s39, 0
	s_cselect_b32 s0, ttmp9, s1
	s_delay_alu instid0(SALU_CYCLE_1) | instskip(NEXT) | instid1(SALU_CYCLE_1)
	s_lshl_b32 s0, s0, 5
	v_and_or_b32 v0, 0x1fffffe0, s0, v1
	s_mov_b32 s0, exec_lo
	s_delay_alu instid0(VALU_DEP_1)
	v_cmpx_gt_i32_e64 s24, v0
	s_cbranch_execz .LBB0_46
; %bb.7:
	s_cmp_eq_u64 s[22:23], 0
	s_cbranch_scc1 .LBB0_9
; %bb.8:
	s_load_b32 s0, s[20:21], 0x0
	s_wait_kmcnt 0x0
	v_add_nc_u32_e32 v0, s0, v0
	global_load_b32 v0, v0, s[22:23] scale_offset
.LBB0_9:
	s_wait_loadcnt 0x0
	v_dual_lshlrev_b32 v9, 6, v1 :: v_dual_ashrrev_i32 v1, 31, v0
	s_and_not1_b32 vcc_lo, exec_lo, s38
	s_delay_alu instid0(VALU_DEP_1)
	v_or_b32_e32 v8, 0x800, v9
	s_cbranch_vccnz .LBB0_27
; %bb.10:
	s_delay_alu instid0(VALU_DEP_2)
	v_lshl_add_u64 v[2:3], v[0:1], 2, s[34:35]
	v_subrev_nc_u32_e32 v4, s4, v10
	s_mov_b32 s0, exec_lo
	global_load_b64 v[2:3], v[2:3], off
	s_wait_loadcnt 0x0
	v_subrev_nc_u32_e32 v11, s4, v3
	v_add_nc_u32_e32 v2, v2, v4
	s_delay_alu instid0(VALU_DEP_1)
	v_cmpx_lt_i32_e64 v2, v11
	s_cbranch_execz .LBB0_26
; %bb.11:
	s_mov_b32 s1, 0
	s_branch .LBB0_13
.LBB0_12:                               ;   in Loop: Header=BB0_13 Depth=1
	s_or_b32 exec_lo, exec_lo, s20
	v_add_nc_u32_e32 v2, 8, v2
	s_delay_alu instid0(VALU_DEP_1) | instskip(SKIP_1) | instid1(SALU_CYCLE_1)
	v_cmp_ge_i32_e32 vcc_lo, v2, v11
	s_or_b32 s1, vcc_lo, s1
	s_and_not1_b32 exec_lo, exec_lo, s1
	s_cbranch_execz .LBB0_26
.LBB0_13:                               ; =>This Loop Header: Depth=1
                                        ;     Child Loop BB0_17 Depth 2
                                        ;       Child Loop BB0_20 Depth 3
	global_load_b32 v3, v2, s[28:29] scale_offset
	s_mov_b32 s20, exec_lo
	s_wait_loadcnt 0x0
	v_subrev_nc_u32_e32 v4, s4, v3
	s_delay_alu instid0(VALU_DEP_1) | instskip(NEXT) | instid1(VALU_DEP_1)
	v_ashrrev_i32_e32 v5, 31, v4
	v_lshl_add_u64 v[4:5], v[4:5], 2, s[18:19]
	global_load_b64 v[4:5], v[4:5], off
	s_wait_loadcnt 0x0
	s_wait_xcnt 0x0
	v_cmpx_lt_i32_e64 v4, v5
	s_cbranch_execz .LBB0_12
; %bb.14:                               ;   in Loop: Header=BB0_13 Depth=1
	v_ashrrev_i32_e32 v3, 31, v2
	v_subrev_nc_u32_e32 v4, s5, v4
	s_mov_b32 s21, 0
	s_delay_alu instid0(VALU_DEP_2)
	v_lshl_add_u64 v[12:13], v[2:3], 2, s[16:17]
	v_subrev_nc_u32_e32 v3, s5, v5
	global_load_b32 v12, v[12:13], off
	s_wait_loadcnt 0x0
	v_mul_f32_e32 v5, s36, v12
	s_branch .LBB0_17
.LBB0_15:                               ;   in Loop: Header=BB0_17 Depth=2
	s_or_b32 exec_lo, exec_lo, s23
.LBB0_16:                               ;   in Loop: Header=BB0_17 Depth=2
	s_delay_alu instid0(SALU_CYCLE_1)
	s_or_b32 exec_lo, exec_lo, s22
	s_wait_loadcnt 0x0
	v_mul_f32_e32 v12, v5, v12
	v_lshl_add_u32 v13, v13, 2, v9
	v_add_nc_u32_e32 v4, 1, v4
	ds_add_f32 v13, v12
	v_cmp_ge_i32_e32 vcc_lo, v4, v3
	s_or_b32 s21, vcc_lo, s21
	s_delay_alu instid0(SALU_CYCLE_1)
	s_and_not1_b32 exec_lo, exec_lo, s21
	s_cbranch_execz .LBB0_12
.LBB0_17:                               ;   Parent Loop BB0_13 Depth=1
                                        ; =>  This Loop Header: Depth=2
                                        ;       Child Loop BB0_20 Depth 3
	s_clause 0x1
	global_load_b32 v13, v4, s[12:13] scale_offset
	global_load_b32 v12, v4, s[14:15] scale_offset
	s_mov_b32 s22, exec_lo
	s_wait_loadcnt 0x1
	v_subrev_nc_u32_e32 v14, s5, v13
	s_delay_alu instid0(VALU_DEP_1) | instskip(NEXT) | instid1(VALU_DEP_1)
	v_lshl_add_u32 v13, v14, 3, v14
	v_and_b32_e32 v13, 15, v13
	s_delay_alu instid0(VALU_DEP_1)
	v_lshl_add_u32 v15, v13, 2, v8
	ds_load_b32 v16, v15
	s_wait_dscnt 0x0
	s_wait_xcnt 0x0
	v_cmpx_ne_u32_e64 v16, v14
	s_cbranch_execz .LBB0_16
; %bb.18:                               ;   in Loop: Header=BB0_17 Depth=2
	s_mov_b32 s23, 0
	s_branch .LBB0_20
.LBB0_19:                               ;   in Loop: Header=BB0_20 Depth=3
	s_or_b32 exec_lo, exec_lo, s35
	s_delay_alu instid0(SALU_CYCLE_1) | instskip(NEXT) | instid1(SALU_CYCLE_1)
	s_and_b32 s24, exec_lo, s34
	s_or_b32 s23, s24, s23
	s_delay_alu instid0(SALU_CYCLE_1)
	s_and_not1_b32 exec_lo, exec_lo, s23
	s_cbranch_execz .LBB0_15
.LBB0_20:                               ;   Parent Loop BB0_13 Depth=1
                                        ;     Parent Loop BB0_17 Depth=2
                                        ; =>    This Inner Loop Header: Depth=3
	s_mov_b32 s24, 0
	s_mov_b32 s34, exec_lo
	v_cmpx_ne_u32_e64 s25, v16
	s_xor_b32 s34, exec_lo, s34
	s_cbranch_execz .LBB0_22
; %bb.21:                               ;   in Loop: Header=BB0_20 Depth=3
	v_add_nc_u32_e32 v13, 1, v13
	s_mov_b32 s24, exec_lo
                                        ; implicit-def: $vgpr15
	s_delay_alu instid0(VALU_DEP_1)
	v_and_b32_e32 v13, 15, v13
	s_and_not1_saveexec_b32 s34, s34
	s_cbranch_execz .LBB0_24
	s_branch .LBB0_23
.LBB0_22:                               ;   in Loop: Header=BB0_20 Depth=3
	s_and_not1_saveexec_b32 s34, s34
	s_cbranch_execz .LBB0_24
.LBB0_23:                               ;   in Loop: Header=BB0_20 Depth=3
	v_mov_b32_e32 v16, s25
	s_and_not1_b32 s24, s24, exec_lo
	ds_cmpstore_rtn_b32 v15, v15, v14, v16
	s_wait_dscnt 0x0
	v_cmp_ne_u32_e32 vcc_lo, s25, v15
	s_and_b32 s35, vcc_lo, exec_lo
	s_delay_alu instid0(SALU_CYCLE_1)
	s_or_b32 s24, s24, s35
.LBB0_24:                               ;   in Loop: Header=BB0_20 Depth=3
	s_or_b32 exec_lo, exec_lo, s34
	s_mov_b32 s34, -1
                                        ; implicit-def: $vgpr15
                                        ; implicit-def: $vgpr16
	s_and_saveexec_b32 s35, s24
	s_cbranch_execz .LBB0_19
; %bb.25:                               ;   in Loop: Header=BB0_20 Depth=3
	v_lshl_add_u32 v15, v13, 2, v8
	ds_load_b32 v16, v15
	s_wait_dscnt 0x0
	v_cmp_eq_u32_e32 vcc_lo, v16, v14
	s_or_not1_b32 s34, vcc_lo, exec_lo
	s_branch .LBB0_19
.LBB0_26:
	s_or_b32 exec_lo, exec_lo, s0
.LBB0_27:
	s_delay_alu instid0(SALU_CYCLE_1)
	s_and_not1_b32 vcc_lo, exec_lo, s37
	s_cbranch_vccnz .LBB0_42
; %bb.28:
	v_lshl_add_u64 v[2:3], v[0:1], 2, s[30:31]
	s_mov_b32 s0, exec_lo
	global_load_b64 v[4:5], v[2:3], off
	s_wait_xcnt 0x0
	v_subrev_nc_u32_e32 v3, s7, v10
	s_wait_loadcnt 0x0
	v_subrev_nc_u32_e32 v2, s7, v5
	s_delay_alu instid0(VALU_DEP_2) | instskip(NEXT) | instid1(VALU_DEP_1)
	v_add_nc_u32_e32 v3, v4, v3
	v_cmpx_lt_i32_e64 v3, v2
	s_cbranch_execz .LBB0_41
; %bb.29:
	s_mov_b32 s1, 0
	s_branch .LBB0_32
.LBB0_30:                               ;   in Loop: Header=BB0_32 Depth=1
	s_or_b32 exec_lo, exec_lo, s5
.LBB0_31:                               ;   in Loop: Header=BB0_32 Depth=1
	s_delay_alu instid0(SALU_CYCLE_1) | instskip(SKIP_3) | instid1(VALU_DEP_2)
	s_or_b32 exec_lo, exec_lo, s4
	s_wait_loadcnt 0x0
	v_dual_mul_f32 v4, s33, v4 :: v_dual_add_nc_u32 v3, 8, v3
	v_lshl_add_u32 v5, v5, 2, v9
	v_cmp_ge_i32_e32 vcc_lo, v3, v2
	ds_add_f32 v5, v4
	s_or_b32 s1, vcc_lo, s1
	s_delay_alu instid0(SALU_CYCLE_1)
	s_and_not1_b32 exec_lo, exec_lo, s1
	s_cbranch_execz .LBB0_41
.LBB0_32:                               ; =>This Loop Header: Depth=1
                                        ;     Child Loop BB0_35 Depth 2
	s_clause 0x1
	global_load_b32 v5, v3, s[8:9] scale_offset
	global_load_b32 v4, v3, s[10:11] scale_offset
	s_mov_b32 s4, exec_lo
	s_wait_loadcnt 0x1
	v_subrev_nc_u32_e32 v10, s7, v5
	s_delay_alu instid0(VALU_DEP_1) | instskip(NEXT) | instid1(VALU_DEP_1)
	v_lshl_add_u32 v5, v10, 3, v10
	v_and_b32_e32 v5, 15, v5
	s_delay_alu instid0(VALU_DEP_1)
	v_lshl_add_u32 v11, v5, 2, v8
	ds_load_b32 v12, v11
	s_wait_dscnt 0x0
	s_wait_xcnt 0x0
	v_cmpx_ne_u32_e64 v12, v10
	s_cbranch_execz .LBB0_31
; %bb.33:                               ;   in Loop: Header=BB0_32 Depth=1
	s_mov_b32 s5, 0
	s_branch .LBB0_35
.LBB0_34:                               ;   in Loop: Header=BB0_35 Depth=2
	s_or_b32 exec_lo, exec_lo, s14
	s_delay_alu instid0(SALU_CYCLE_1) | instskip(NEXT) | instid1(SALU_CYCLE_1)
	s_and_b32 s12, exec_lo, s13
	s_or_b32 s5, s12, s5
	s_delay_alu instid0(SALU_CYCLE_1)
	s_and_not1_b32 exec_lo, exec_lo, s5
	s_cbranch_execz .LBB0_30
.LBB0_35:                               ;   Parent Loop BB0_32 Depth=1
                                        ; =>  This Inner Loop Header: Depth=2
	s_mov_b32 s12, 0
	s_mov_b32 s13, exec_lo
	v_cmpx_ne_u32_e64 s25, v12
	s_xor_b32 s13, exec_lo, s13
	s_cbranch_execz .LBB0_37
; %bb.36:                               ;   in Loop: Header=BB0_35 Depth=2
	v_add_nc_u32_e32 v5, 1, v5
	s_mov_b32 s12, exec_lo
                                        ; implicit-def: $vgpr11
	s_delay_alu instid0(VALU_DEP_1)
	v_and_b32_e32 v5, 15, v5
	s_and_not1_saveexec_b32 s13, s13
	s_cbranch_execz .LBB0_39
	s_branch .LBB0_38
.LBB0_37:                               ;   in Loop: Header=BB0_35 Depth=2
	s_and_not1_saveexec_b32 s13, s13
	s_cbranch_execz .LBB0_39
.LBB0_38:                               ;   in Loop: Header=BB0_35 Depth=2
	v_mov_b32_e32 v12, s25
	s_and_not1_b32 s12, s12, exec_lo
	ds_cmpstore_rtn_b32 v11, v11, v10, v12
	s_wait_dscnt 0x0
	v_cmp_ne_u32_e32 vcc_lo, s25, v11
	s_and_b32 s14, vcc_lo, exec_lo
	s_delay_alu instid0(SALU_CYCLE_1)
	s_or_b32 s12, s12, s14
.LBB0_39:                               ;   in Loop: Header=BB0_35 Depth=2
	s_or_b32 exec_lo, exec_lo, s13
	s_mov_b32 s13, -1
                                        ; implicit-def: $vgpr11
                                        ; implicit-def: $vgpr12
	s_and_saveexec_b32 s14, s12
	s_cbranch_execz .LBB0_34
; %bb.40:                               ;   in Loop: Header=BB0_35 Depth=2
	v_lshl_add_u32 v11, v5, 2, v8
	ds_load_b32 v12, v11
	s_wait_dscnt 0x0
	v_cmp_eq_u32_e32 vcc_lo, v12, v10
	s_or_not1_b32 s13, vcc_lo, exec_lo
	s_branch .LBB0_34
.LBB0_41:
	s_or_b32 exec_lo, exec_lo, s0
.LBB0_42:
	v_lshl_add_u64 v[0:1], v[0:1], 2, s[26:27]
	s_wait_dscnt 0x0
	s_mov_b32 s0, 0
	global_load_b32 v0, v[0:1], off
	s_wait_loadcnt 0x0
	v_subrev_nc_u32_e32 v0, s6, v0
	s_branch .LBB0_44
.LBB0_43:                               ;   in Loop: Header=BB0_44 Depth=1
	s_wait_xcnt 0x0
	s_or_b32 exec_lo, exec_lo, s1
	v_add_co_u32 v7, s1, v7, 8
	s_xor_b32 s1, s1, -1
	v_add_nc_u32_e32 v6, 32, v6
	s_and_b32 s1, exec_lo, s1
	s_delay_alu instid0(SALU_CYCLE_1) | instskip(NEXT) | instid1(SALU_CYCLE_1)
	s_or_b32 s0, s1, s0
	s_and_not1_b32 exec_lo, exec_lo, s0
	s_cbranch_execz .LBB0_46
.LBB0_44:                               ; =>This Inner Loop Header: Depth=1
	ds_load_b32 v1, v6 offset:2048
	s_mov_b32 s1, exec_lo
	s_wait_dscnt 0x0
	v_cmpx_gt_i32_e64 s25, v1
	s_cbranch_execz .LBB0_43
; %bb.45:                               ;   in Loop: Header=BB0_44 Depth=1
	ds_load_b128 v[2:5], v8
	ds_load_b128 v[10:13], v8 offset:16
	ds_load_b128 v[14:17], v8 offset:32
	;; [unrolled: 1-line block ×3, first 2 shown]
	ds_load_b32 v9, v6
	s_wait_dscnt 0x4
	v_cmp_gt_i32_e32 vcc_lo, v1, v2
	v_cndmask_b32_e64 v2, 0, 1, vcc_lo
	v_cmp_gt_i32_e32 vcc_lo, v1, v4
	v_cndmask_b32_e64 v4, 0, 1, vcc_lo
	v_cmp_gt_i32_e32 vcc_lo, v1, v3
	s_delay_alu instid0(VALU_DEP_4)
	v_add_co_ci_u32_e64 v2, null, v0, v2, vcc_lo
	s_wait_dscnt 0x3
	v_cmp_gt_i32_e32 vcc_lo, v1, v10
	v_cndmask_b32_e64 v3, 0, 1, vcc_lo
	v_cmp_gt_i32_e32 vcc_lo, v1, v5
	v_add_co_ci_u32_e64 v2, null, v2, v4, vcc_lo
	v_cmp_gt_i32_e32 vcc_lo, v1, v12
	v_cndmask_b32_e64 v4, 0, 1, vcc_lo
	v_cmp_gt_i32_e32 vcc_lo, v1, v11
	s_delay_alu instid0(VALU_DEP_4)
	v_add_co_ci_u32_e64 v2, null, v2, v3, vcc_lo
	s_wait_dscnt 0x2
	v_cmp_gt_i32_e32 vcc_lo, v1, v14
	v_cndmask_b32_e64 v3, 0, 1, vcc_lo
	v_cmp_gt_i32_e32 vcc_lo, v1, v13
	v_add_co_ci_u32_e64 v2, null, v2, v4, vcc_lo
	;; [unrolled: 10-line block ×3, first 2 shown]
	v_cmp_gt_i32_e32 vcc_lo, v1, v19
	s_delay_alu instid0(VALU_DEP_2) | instskip(SKIP_3) | instid1(VALU_DEP_2)
	v_add_co_ci_u32_e64 v2, null, v2, v3, vcc_lo
	v_cmp_gt_i32_e32 vcc_lo, v1, v20
	v_cndmask_b32_e64 v3, 0, 1, vcc_lo
	v_cmp_gt_i32_e32 vcc_lo, v1, v21
	v_add_co_ci_u32_e64 v1, null, v2, v3, vcc_lo
	s_wait_dscnt 0x0
	global_store_b32 v1, v9, s[2:3] scale_offset
	s_branch .LBB0_43
.LBB0_46:
	s_endpgm
	.section	.rodata,"a",@progbits
	.p2align	6, 0x0
	.amdhsa_kernel _ZN9rocsparseL38csrgemm_numeric_fill_wf_per_row_kernelILj256ELj8ELj16ELj137EiifEEvT4_S1_PKS1_S3_NS_24const_host_device_scalarIT5_EEPKT3_S3_PKS5_S9_S3_SB_S6_S9_S3_SB_S9_S3_PS5_21rocsparse_index_base_SD_SD_SD_bbb
		.amdhsa_group_segment_fixed_size 4096
		.amdhsa_private_segment_fixed_size 0
		.amdhsa_kernarg_size 156
		.amdhsa_user_sgpr_count 2
		.amdhsa_user_sgpr_dispatch_ptr 0
		.amdhsa_user_sgpr_queue_ptr 0
		.amdhsa_user_sgpr_kernarg_segment_ptr 1
		.amdhsa_user_sgpr_dispatch_id 0
		.amdhsa_user_sgpr_kernarg_preload_length 0
		.amdhsa_user_sgpr_kernarg_preload_offset 0
		.amdhsa_user_sgpr_private_segment_size 0
		.amdhsa_wavefront_size32 1
		.amdhsa_uses_dynamic_stack 0
		.amdhsa_enable_private_segment 0
		.amdhsa_system_sgpr_workgroup_id_x 1
		.amdhsa_system_sgpr_workgroup_id_y 0
		.amdhsa_system_sgpr_workgroup_id_z 0
		.amdhsa_system_sgpr_workgroup_info 0
		.amdhsa_system_vgpr_workitem_id 0
		.amdhsa_next_free_vgpr 22
		.amdhsa_next_free_sgpr 40
		.amdhsa_named_barrier_count 0
		.amdhsa_reserve_vcc 1
		.amdhsa_float_round_mode_32 0
		.amdhsa_float_round_mode_16_64 0
		.amdhsa_float_denorm_mode_32 3
		.amdhsa_float_denorm_mode_16_64 3
		.amdhsa_fp16_overflow 0
		.amdhsa_memory_ordered 1
		.amdhsa_forward_progress 1
		.amdhsa_inst_pref_size 15
		.amdhsa_round_robin_scheduling 0
		.amdhsa_exception_fp_ieee_invalid_op 0
		.amdhsa_exception_fp_denorm_src 0
		.amdhsa_exception_fp_ieee_div_zero 0
		.amdhsa_exception_fp_ieee_overflow 0
		.amdhsa_exception_fp_ieee_underflow 0
		.amdhsa_exception_fp_ieee_inexact 0
		.amdhsa_exception_int_div_zero 0
	.end_amdhsa_kernel
	.section	.text._ZN9rocsparseL38csrgemm_numeric_fill_wf_per_row_kernelILj256ELj8ELj16ELj137EiifEEvT4_S1_PKS1_S3_NS_24const_host_device_scalarIT5_EEPKT3_S3_PKS5_S9_S3_SB_S6_S9_S3_SB_S9_S3_PS5_21rocsparse_index_base_SD_SD_SD_bbb,"axG",@progbits,_ZN9rocsparseL38csrgemm_numeric_fill_wf_per_row_kernelILj256ELj8ELj16ELj137EiifEEvT4_S1_PKS1_S3_NS_24const_host_device_scalarIT5_EEPKT3_S3_PKS5_S9_S3_SB_S6_S9_S3_SB_S9_S3_PS5_21rocsparse_index_base_SD_SD_SD_bbb,comdat
.Lfunc_end0:
	.size	_ZN9rocsparseL38csrgemm_numeric_fill_wf_per_row_kernelILj256ELj8ELj16ELj137EiifEEvT4_S1_PKS1_S3_NS_24const_host_device_scalarIT5_EEPKT3_S3_PKS5_S9_S3_SB_S6_S9_S3_SB_S9_S3_PS5_21rocsparse_index_base_SD_SD_SD_bbb, .Lfunc_end0-_ZN9rocsparseL38csrgemm_numeric_fill_wf_per_row_kernelILj256ELj8ELj16ELj137EiifEEvT4_S1_PKS1_S3_NS_24const_host_device_scalarIT5_EEPKT3_S3_PKS5_S9_S3_SB_S6_S9_S3_SB_S9_S3_PS5_21rocsparse_index_base_SD_SD_SD_bbb
                                        ; -- End function
	.set _ZN9rocsparseL38csrgemm_numeric_fill_wf_per_row_kernelILj256ELj8ELj16ELj137EiifEEvT4_S1_PKS1_S3_NS_24const_host_device_scalarIT5_EEPKT3_S3_PKS5_S9_S3_SB_S6_S9_S3_SB_S9_S3_PS5_21rocsparse_index_base_SD_SD_SD_bbb.num_vgpr, 22
	.set _ZN9rocsparseL38csrgemm_numeric_fill_wf_per_row_kernelILj256ELj8ELj16ELj137EiifEEvT4_S1_PKS1_S3_NS_24const_host_device_scalarIT5_EEPKT3_S3_PKS5_S9_S3_SB_S6_S9_S3_SB_S9_S3_PS5_21rocsparse_index_base_SD_SD_SD_bbb.num_agpr, 0
	.set _ZN9rocsparseL38csrgemm_numeric_fill_wf_per_row_kernelILj256ELj8ELj16ELj137EiifEEvT4_S1_PKS1_S3_NS_24const_host_device_scalarIT5_EEPKT3_S3_PKS5_S9_S3_SB_S6_S9_S3_SB_S9_S3_PS5_21rocsparse_index_base_SD_SD_SD_bbb.numbered_sgpr, 40
	.set _ZN9rocsparseL38csrgemm_numeric_fill_wf_per_row_kernelILj256ELj8ELj16ELj137EiifEEvT4_S1_PKS1_S3_NS_24const_host_device_scalarIT5_EEPKT3_S3_PKS5_S9_S3_SB_S6_S9_S3_SB_S9_S3_PS5_21rocsparse_index_base_SD_SD_SD_bbb.num_named_barrier, 0
	.set _ZN9rocsparseL38csrgemm_numeric_fill_wf_per_row_kernelILj256ELj8ELj16ELj137EiifEEvT4_S1_PKS1_S3_NS_24const_host_device_scalarIT5_EEPKT3_S3_PKS5_S9_S3_SB_S6_S9_S3_SB_S9_S3_PS5_21rocsparse_index_base_SD_SD_SD_bbb.private_seg_size, 0
	.set _ZN9rocsparseL38csrgemm_numeric_fill_wf_per_row_kernelILj256ELj8ELj16ELj137EiifEEvT4_S1_PKS1_S3_NS_24const_host_device_scalarIT5_EEPKT3_S3_PKS5_S9_S3_SB_S6_S9_S3_SB_S9_S3_PS5_21rocsparse_index_base_SD_SD_SD_bbb.uses_vcc, 1
	.set _ZN9rocsparseL38csrgemm_numeric_fill_wf_per_row_kernelILj256ELj8ELj16ELj137EiifEEvT4_S1_PKS1_S3_NS_24const_host_device_scalarIT5_EEPKT3_S3_PKS5_S9_S3_SB_S6_S9_S3_SB_S9_S3_PS5_21rocsparse_index_base_SD_SD_SD_bbb.uses_flat_scratch, 0
	.set _ZN9rocsparseL38csrgemm_numeric_fill_wf_per_row_kernelILj256ELj8ELj16ELj137EiifEEvT4_S1_PKS1_S3_NS_24const_host_device_scalarIT5_EEPKT3_S3_PKS5_S9_S3_SB_S6_S9_S3_SB_S9_S3_PS5_21rocsparse_index_base_SD_SD_SD_bbb.has_dyn_sized_stack, 0
	.set _ZN9rocsparseL38csrgemm_numeric_fill_wf_per_row_kernelILj256ELj8ELj16ELj137EiifEEvT4_S1_PKS1_S3_NS_24const_host_device_scalarIT5_EEPKT3_S3_PKS5_S9_S3_SB_S6_S9_S3_SB_S9_S3_PS5_21rocsparse_index_base_SD_SD_SD_bbb.has_recursion, 0
	.set _ZN9rocsparseL38csrgemm_numeric_fill_wf_per_row_kernelILj256ELj8ELj16ELj137EiifEEvT4_S1_PKS1_S3_NS_24const_host_device_scalarIT5_EEPKT3_S3_PKS5_S9_S3_SB_S6_S9_S3_SB_S9_S3_PS5_21rocsparse_index_base_SD_SD_SD_bbb.has_indirect_call, 0
	.section	.AMDGPU.csdata,"",@progbits
; Kernel info:
; codeLenInByte = 1900
; TotalNumSgprs: 42
; NumVgprs: 22
; ScratchSize: 0
; MemoryBound: 0
; FloatMode: 240
; IeeeMode: 1
; LDSByteSize: 4096 bytes/workgroup (compile time only)
; SGPRBlocks: 0
; VGPRBlocks: 1
; NumSGPRsForWavesPerEU: 42
; NumVGPRsForWavesPerEU: 22
; NamedBarCnt: 0
; Occupancy: 16
; WaveLimiterHint : 1
; COMPUTE_PGM_RSRC2:SCRATCH_EN: 0
; COMPUTE_PGM_RSRC2:USER_SGPR: 2
; COMPUTE_PGM_RSRC2:TRAP_HANDLER: 0
; COMPUTE_PGM_RSRC2:TGID_X_EN: 1
; COMPUTE_PGM_RSRC2:TGID_Y_EN: 0
; COMPUTE_PGM_RSRC2:TGID_Z_EN: 0
; COMPUTE_PGM_RSRC2:TIDIG_COMP_CNT: 0
	.section	.text._ZN9rocsparseL38csrgemm_numeric_fill_wf_per_row_kernelILj256ELj16ELj32ELj137EiifEEvT4_S1_PKS1_S3_NS_24const_host_device_scalarIT5_EEPKT3_S3_PKS5_S9_S3_SB_S6_S9_S3_SB_S9_S3_PS5_21rocsparse_index_base_SD_SD_SD_bbb,"axG",@progbits,_ZN9rocsparseL38csrgemm_numeric_fill_wf_per_row_kernelILj256ELj16ELj32ELj137EiifEEvT4_S1_PKS1_S3_NS_24const_host_device_scalarIT5_EEPKT3_S3_PKS5_S9_S3_SB_S6_S9_S3_SB_S9_S3_PS5_21rocsparse_index_base_SD_SD_SD_bbb,comdat
	.globl	_ZN9rocsparseL38csrgemm_numeric_fill_wf_per_row_kernelILj256ELj16ELj32ELj137EiifEEvT4_S1_PKS1_S3_NS_24const_host_device_scalarIT5_EEPKT3_S3_PKS5_S9_S3_SB_S6_S9_S3_SB_S9_S3_PS5_21rocsparse_index_base_SD_SD_SD_bbb ; -- Begin function _ZN9rocsparseL38csrgemm_numeric_fill_wf_per_row_kernelILj256ELj16ELj32ELj137EiifEEvT4_S1_PKS1_S3_NS_24const_host_device_scalarIT5_EEPKT3_S3_PKS5_S9_S3_SB_S6_S9_S3_SB_S9_S3_PS5_21rocsparse_index_base_SD_SD_SD_bbb
	.p2align	8
	.type	_ZN9rocsparseL38csrgemm_numeric_fill_wf_per_row_kernelILj256ELj16ELj32ELj137EiifEEvT4_S1_PKS1_S3_NS_24const_host_device_scalarIT5_EEPKT3_S3_PKS5_S9_S3_SB_S6_S9_S3_SB_S9_S3_PS5_21rocsparse_index_base_SD_SD_SD_bbb,@function
_ZN9rocsparseL38csrgemm_numeric_fill_wf_per_row_kernelILj256ELj16ELj32ELj137EiifEEvT4_S1_PKS1_S3_NS_24const_host_device_scalarIT5_EEPKT3_S3_PKS5_S9_S3_SB_S6_S9_S3_SB_S9_S3_PS5_21rocsparse_index_base_SD_SD_SD_bbb: ; @_ZN9rocsparseL38csrgemm_numeric_fill_wf_per_row_kernelILj256ELj16ELj32ELj137EiifEEvT4_S1_PKS1_S3_NS_24const_host_device_scalarIT5_EEPKT3_S3_PKS5_S9_S3_SB_S6_S9_S3_SB_S9_S3_PS5_21rocsparse_index_base_SD_SD_SD_bbb
; %bb.0:
	s_clause 0x3
	s_load_b32 s18, s[0:1], 0x98
	s_load_b64 s[2:3], s[0:1], 0x18
	s_load_b128 s[4:7], s[0:1], 0x88
	s_load_b64 s[16:17], s[0:1], 0x50
	s_wait_kmcnt 0x0
	s_and_b32 s8, 1, s18
	s_bitcmp1_b32 s18, 16
	s_cselect_b32 s19, -1, 0
	s_cmp_eq_u32 s8, 1
	s_cselect_b32 s38, -1, 0
	s_delay_alu instid0(SALU_CYCLE_1) | instskip(SKIP_2) | instid1(SALU_CYCLE_1)
	s_and_b32 s8, s38, exec_lo
	s_cselect_b32 s36, s2, 0
	s_xor_b32 s8, s38, -1
	s_or_b32 s8, s19, s8
	s_delay_alu instid0(SALU_CYCLE_1)
	s_and_b32 vcc_lo, exec_lo, s8
	s_cbranch_vccnz .LBB1_2
; %bb.1:
	s_load_b32 s36, s[2:3], 0x0
.LBB1_2:
	s_wait_xcnt 0x0
	s_clause 0x4
	s_load_b64 s[2:3], s[0:1], 0x80
	s_load_b128 s[8:11], s[0:1], 0x60
	s_load_b128 s[12:15], s[0:1], 0x40
	s_load_b128 s[20:23], s[0:1], 0x8
	s_load_b64 s[28:29], s[0:1], 0x28
	s_bitcmp1_b32 s18, 8
	s_cselect_b32 s37, -1, 0
	s_delay_alu instid0(SALU_CYCLE_1) | instskip(SKIP_2) | instid1(SALU_CYCLE_1)
	s_and_b32 s18, s37, exec_lo
	s_cselect_b32 s33, s16, 0
	s_xor_b32 s18, s37, -1
	s_or_b32 s18, s19, s18
	s_delay_alu instid0(SALU_CYCLE_1)
	s_and_b32 vcc_lo, exec_lo, s18
	s_cbranch_vccnz .LBB1_4
; %bb.3:
	s_load_b32 s33, s[16:17], 0x0
.LBB1_4:
	s_clause 0x2
	s_load_b64 s[24:25], s[0:1], 0x0
	s_load_b64 s[34:35], s[0:1], 0x20
	;; [unrolled: 1-line block ×3, first 2 shown]
	v_dual_lshrrev_b32 v1, 4, v0 :: v_dual_bitop2_b32 v10, 15, v0 bitop3:0x40
	s_load_b64 s[30:31], s[0:1], 0x58
	s_wait_xcnt 0x0
	s_load_b128 s[16:19], s[0:1], 0x30
	s_wait_xcnt 0x0
	s_mov_b32 s0, 0
	v_dual_lshlrev_b32 v0, 2, v10 :: v_dual_bitop2_b32 v7, -16, v10 bitop3:0x54
	s_delay_alu instid0(VALU_DEP_1) | instskip(NEXT) | instid1(VALU_DEP_2)
	v_lshl_or_b32 v6, v1, 7, v0
	v_dual_mov_b32 v0, 0 :: v_dual_mov_b32 v4, v7
	s_wait_kmcnt 0x0
	s_delay_alu instid0(VALU_DEP_2)
	v_dual_mov_b32 v2, v6 :: v_dual_mov_b32 v3, s25
.LBB1_5:                                ; =>This Inner Loop Header: Depth=1
	s_delay_alu instid0(VALU_DEP_2) | instskip(SKIP_4) | instid1(SALU_CYCLE_1)
	v_add_co_u32 v4, s1, v4, 16
	s_xor_b32 s1, s1, -1
	ds_store_2addr_stride64_b32 v2, v0, v3 offset1:8
	v_add_nc_u32_e32 v2, 64, v2
	s_and_b32 s1, exec_lo, s1
	s_or_b32 s0, s1, s0
	s_delay_alu instid0(SALU_CYCLE_1)
	s_and_not1_b32 exec_lo, exec_lo, s0
	s_cbranch_execnz .LBB1_5
; %bb.6:
	s_or_b32 exec_lo, exec_lo, s0
	s_bfe_u32 s0, ttmp6, 0x4000c
	s_and_b32 s1, ttmp6, 15
	s_add_co_i32 s0, s0, 1
	s_getreg_b32 s39, hwreg(HW_REG_IB_STS2, 6, 4)
	s_mul_i32 s0, ttmp9, s0
	s_wait_dscnt 0x0
	s_add_co_i32 s1, s1, s0
	s_cmp_eq_u32 s39, 0
	s_cselect_b32 s0, ttmp9, s1
	s_delay_alu instid0(SALU_CYCLE_1) | instskip(NEXT) | instid1(SALU_CYCLE_1)
	s_lshl_b32 s0, s0, 4
	v_and_or_b32 v0, 0xffffff0, s0, v1
	s_mov_b32 s0, exec_lo
	s_delay_alu instid0(VALU_DEP_1)
	v_cmpx_gt_i32_e64 s24, v0
	s_cbranch_execz .LBB1_46
; %bb.7:
	s_cmp_eq_u64 s[22:23], 0
	s_cbranch_scc1 .LBB1_9
; %bb.8:
	s_load_b32 s0, s[20:21], 0x0
	s_wait_kmcnt 0x0
	v_add_nc_u32_e32 v0, s0, v0
	global_load_b32 v0, v0, s[22:23] scale_offset
.LBB1_9:
	s_wait_loadcnt 0x0
	v_dual_lshlrev_b32 v9, 7, v1 :: v_dual_ashrrev_i32 v1, 31, v0
	s_and_not1_b32 vcc_lo, exec_lo, s38
	s_delay_alu instid0(VALU_DEP_1)
	v_or_b32_e32 v8, 0x800, v9
	s_cbranch_vccnz .LBB1_27
; %bb.10:
	s_delay_alu instid0(VALU_DEP_2)
	v_lshl_add_u64 v[2:3], v[0:1], 2, s[34:35]
	v_subrev_nc_u32_e32 v4, s4, v10
	s_mov_b32 s0, exec_lo
	global_load_b64 v[2:3], v[2:3], off
	s_wait_loadcnt 0x0
	v_subrev_nc_u32_e32 v11, s4, v3
	v_add_nc_u32_e32 v2, v2, v4
	s_delay_alu instid0(VALU_DEP_1)
	v_cmpx_lt_i32_e64 v2, v11
	s_cbranch_execz .LBB1_26
; %bb.11:
	s_mov_b32 s1, 0
	s_branch .LBB1_13
.LBB1_12:                               ;   in Loop: Header=BB1_13 Depth=1
	s_or_b32 exec_lo, exec_lo, s20
	v_add_nc_u32_e32 v2, 16, v2
	s_delay_alu instid0(VALU_DEP_1) | instskip(SKIP_1) | instid1(SALU_CYCLE_1)
	v_cmp_ge_i32_e32 vcc_lo, v2, v11
	s_or_b32 s1, vcc_lo, s1
	s_and_not1_b32 exec_lo, exec_lo, s1
	s_cbranch_execz .LBB1_26
.LBB1_13:                               ; =>This Loop Header: Depth=1
                                        ;     Child Loop BB1_17 Depth 2
                                        ;       Child Loop BB1_20 Depth 3
	global_load_b32 v3, v2, s[28:29] scale_offset
	s_mov_b32 s20, exec_lo
	s_wait_loadcnt 0x0
	v_subrev_nc_u32_e32 v4, s4, v3
	s_delay_alu instid0(VALU_DEP_1) | instskip(NEXT) | instid1(VALU_DEP_1)
	v_ashrrev_i32_e32 v5, 31, v4
	v_lshl_add_u64 v[4:5], v[4:5], 2, s[18:19]
	global_load_b64 v[4:5], v[4:5], off
	s_wait_loadcnt 0x0
	s_wait_xcnt 0x0
	v_cmpx_lt_i32_e64 v4, v5
	s_cbranch_execz .LBB1_12
; %bb.14:                               ;   in Loop: Header=BB1_13 Depth=1
	v_ashrrev_i32_e32 v3, 31, v2
	v_subrev_nc_u32_e32 v4, s5, v4
	s_mov_b32 s21, 0
	s_delay_alu instid0(VALU_DEP_2)
	v_lshl_add_u64 v[12:13], v[2:3], 2, s[16:17]
	v_subrev_nc_u32_e32 v3, s5, v5
	global_load_b32 v12, v[12:13], off
	s_wait_loadcnt 0x0
	v_mul_f32_e32 v5, s36, v12
	s_branch .LBB1_17
.LBB1_15:                               ;   in Loop: Header=BB1_17 Depth=2
	s_or_b32 exec_lo, exec_lo, s23
.LBB1_16:                               ;   in Loop: Header=BB1_17 Depth=2
	s_delay_alu instid0(SALU_CYCLE_1)
	s_or_b32 exec_lo, exec_lo, s22
	s_wait_loadcnt 0x0
	v_mul_f32_e32 v12, v5, v12
	v_lshl_add_u32 v13, v13, 2, v9
	v_add_nc_u32_e32 v4, 1, v4
	ds_add_f32 v13, v12
	v_cmp_ge_i32_e32 vcc_lo, v4, v3
	s_or_b32 s21, vcc_lo, s21
	s_delay_alu instid0(SALU_CYCLE_1)
	s_and_not1_b32 exec_lo, exec_lo, s21
	s_cbranch_execz .LBB1_12
.LBB1_17:                               ;   Parent Loop BB1_13 Depth=1
                                        ; =>  This Loop Header: Depth=2
                                        ;       Child Loop BB1_20 Depth 3
	s_clause 0x1
	global_load_b32 v13, v4, s[12:13] scale_offset
	global_load_b32 v12, v4, s[14:15] scale_offset
	s_mov_b32 s22, exec_lo
	s_wait_loadcnt 0x1
	v_subrev_nc_u32_e32 v14, s5, v13
	s_delay_alu instid0(VALU_DEP_1) | instskip(NEXT) | instid1(VALU_DEP_1)
	v_lshl_add_u32 v13, v14, 3, v14
	v_and_b32_e32 v13, 31, v13
	s_delay_alu instid0(VALU_DEP_1)
	v_lshl_add_u32 v15, v13, 2, v8
	ds_load_b32 v16, v15
	s_wait_dscnt 0x0
	s_wait_xcnt 0x0
	v_cmpx_ne_u32_e64 v16, v14
	s_cbranch_execz .LBB1_16
; %bb.18:                               ;   in Loop: Header=BB1_17 Depth=2
	s_mov_b32 s23, 0
	s_branch .LBB1_20
.LBB1_19:                               ;   in Loop: Header=BB1_20 Depth=3
	s_or_b32 exec_lo, exec_lo, s35
	s_delay_alu instid0(SALU_CYCLE_1) | instskip(NEXT) | instid1(SALU_CYCLE_1)
	s_and_b32 s24, exec_lo, s34
	s_or_b32 s23, s24, s23
	s_delay_alu instid0(SALU_CYCLE_1)
	s_and_not1_b32 exec_lo, exec_lo, s23
	s_cbranch_execz .LBB1_15
.LBB1_20:                               ;   Parent Loop BB1_13 Depth=1
                                        ;     Parent Loop BB1_17 Depth=2
                                        ; =>    This Inner Loop Header: Depth=3
	s_mov_b32 s24, 0
	s_mov_b32 s34, exec_lo
	v_cmpx_ne_u32_e64 s25, v16
	s_xor_b32 s34, exec_lo, s34
	s_cbranch_execz .LBB1_22
; %bb.21:                               ;   in Loop: Header=BB1_20 Depth=3
	v_add_nc_u32_e32 v13, 1, v13
	s_mov_b32 s24, exec_lo
                                        ; implicit-def: $vgpr15
	s_delay_alu instid0(VALU_DEP_1)
	v_and_b32_e32 v13, 31, v13
	s_and_not1_saveexec_b32 s34, s34
	s_cbranch_execz .LBB1_24
	s_branch .LBB1_23
.LBB1_22:                               ;   in Loop: Header=BB1_20 Depth=3
	s_and_not1_saveexec_b32 s34, s34
	s_cbranch_execz .LBB1_24
.LBB1_23:                               ;   in Loop: Header=BB1_20 Depth=3
	v_mov_b32_e32 v16, s25
	s_and_not1_b32 s24, s24, exec_lo
	ds_cmpstore_rtn_b32 v15, v15, v14, v16
	s_wait_dscnt 0x0
	v_cmp_ne_u32_e32 vcc_lo, s25, v15
	s_and_b32 s35, vcc_lo, exec_lo
	s_delay_alu instid0(SALU_CYCLE_1)
	s_or_b32 s24, s24, s35
.LBB1_24:                               ;   in Loop: Header=BB1_20 Depth=3
	s_or_b32 exec_lo, exec_lo, s34
	s_mov_b32 s34, -1
                                        ; implicit-def: $vgpr15
                                        ; implicit-def: $vgpr16
	s_and_saveexec_b32 s35, s24
	s_cbranch_execz .LBB1_19
; %bb.25:                               ;   in Loop: Header=BB1_20 Depth=3
	v_lshl_add_u32 v15, v13, 2, v8
	ds_load_b32 v16, v15
	s_wait_dscnt 0x0
	v_cmp_eq_u32_e32 vcc_lo, v16, v14
	s_or_not1_b32 s34, vcc_lo, exec_lo
	s_branch .LBB1_19
.LBB1_26:
	s_or_b32 exec_lo, exec_lo, s0
.LBB1_27:
	s_delay_alu instid0(SALU_CYCLE_1)
	s_and_not1_b32 vcc_lo, exec_lo, s37
	s_cbranch_vccnz .LBB1_42
; %bb.28:
	v_lshl_add_u64 v[2:3], v[0:1], 2, s[30:31]
	s_mov_b32 s0, exec_lo
	global_load_b64 v[4:5], v[2:3], off
	s_wait_xcnt 0x0
	v_subrev_nc_u32_e32 v3, s7, v10
	s_wait_loadcnt 0x0
	v_subrev_nc_u32_e32 v2, s7, v5
	s_delay_alu instid0(VALU_DEP_2) | instskip(NEXT) | instid1(VALU_DEP_1)
	v_add_nc_u32_e32 v3, v4, v3
	v_cmpx_lt_i32_e64 v3, v2
	s_cbranch_execz .LBB1_41
; %bb.29:
	s_mov_b32 s1, 0
	s_branch .LBB1_32
.LBB1_30:                               ;   in Loop: Header=BB1_32 Depth=1
	s_or_b32 exec_lo, exec_lo, s5
.LBB1_31:                               ;   in Loop: Header=BB1_32 Depth=1
	s_delay_alu instid0(SALU_CYCLE_1) | instskip(SKIP_3) | instid1(VALU_DEP_2)
	s_or_b32 exec_lo, exec_lo, s4
	s_wait_loadcnt 0x0
	v_dual_mul_f32 v4, s33, v4 :: v_dual_add_nc_u32 v3, 16, v3
	v_lshl_add_u32 v5, v5, 2, v9
	v_cmp_ge_i32_e32 vcc_lo, v3, v2
	ds_add_f32 v5, v4
	s_or_b32 s1, vcc_lo, s1
	s_delay_alu instid0(SALU_CYCLE_1)
	s_and_not1_b32 exec_lo, exec_lo, s1
	s_cbranch_execz .LBB1_41
.LBB1_32:                               ; =>This Loop Header: Depth=1
                                        ;     Child Loop BB1_35 Depth 2
	s_clause 0x1
	global_load_b32 v5, v3, s[8:9] scale_offset
	global_load_b32 v4, v3, s[10:11] scale_offset
	s_mov_b32 s4, exec_lo
	s_wait_loadcnt 0x1
	v_subrev_nc_u32_e32 v10, s7, v5
	s_delay_alu instid0(VALU_DEP_1) | instskip(NEXT) | instid1(VALU_DEP_1)
	v_lshl_add_u32 v5, v10, 3, v10
	v_and_b32_e32 v5, 31, v5
	s_delay_alu instid0(VALU_DEP_1)
	v_lshl_add_u32 v11, v5, 2, v8
	ds_load_b32 v12, v11
	s_wait_dscnt 0x0
	s_wait_xcnt 0x0
	v_cmpx_ne_u32_e64 v12, v10
	s_cbranch_execz .LBB1_31
; %bb.33:                               ;   in Loop: Header=BB1_32 Depth=1
	s_mov_b32 s5, 0
	s_branch .LBB1_35
.LBB1_34:                               ;   in Loop: Header=BB1_35 Depth=2
	s_or_b32 exec_lo, exec_lo, s14
	s_delay_alu instid0(SALU_CYCLE_1) | instskip(NEXT) | instid1(SALU_CYCLE_1)
	s_and_b32 s12, exec_lo, s13
	s_or_b32 s5, s12, s5
	s_delay_alu instid0(SALU_CYCLE_1)
	s_and_not1_b32 exec_lo, exec_lo, s5
	s_cbranch_execz .LBB1_30
.LBB1_35:                               ;   Parent Loop BB1_32 Depth=1
                                        ; =>  This Inner Loop Header: Depth=2
	s_mov_b32 s12, 0
	s_mov_b32 s13, exec_lo
	v_cmpx_ne_u32_e64 s25, v12
	s_xor_b32 s13, exec_lo, s13
	s_cbranch_execz .LBB1_37
; %bb.36:                               ;   in Loop: Header=BB1_35 Depth=2
	v_add_nc_u32_e32 v5, 1, v5
	s_mov_b32 s12, exec_lo
                                        ; implicit-def: $vgpr11
	s_delay_alu instid0(VALU_DEP_1)
	v_and_b32_e32 v5, 31, v5
	s_and_not1_saveexec_b32 s13, s13
	s_cbranch_execz .LBB1_39
	s_branch .LBB1_38
.LBB1_37:                               ;   in Loop: Header=BB1_35 Depth=2
	s_and_not1_saveexec_b32 s13, s13
	s_cbranch_execz .LBB1_39
.LBB1_38:                               ;   in Loop: Header=BB1_35 Depth=2
	v_mov_b32_e32 v12, s25
	s_and_not1_b32 s12, s12, exec_lo
	ds_cmpstore_rtn_b32 v11, v11, v10, v12
	s_wait_dscnt 0x0
	v_cmp_ne_u32_e32 vcc_lo, s25, v11
	s_and_b32 s14, vcc_lo, exec_lo
	s_delay_alu instid0(SALU_CYCLE_1)
	s_or_b32 s12, s12, s14
.LBB1_39:                               ;   in Loop: Header=BB1_35 Depth=2
	s_or_b32 exec_lo, exec_lo, s13
	s_mov_b32 s13, -1
                                        ; implicit-def: $vgpr11
                                        ; implicit-def: $vgpr12
	s_and_saveexec_b32 s14, s12
	s_cbranch_execz .LBB1_34
; %bb.40:                               ;   in Loop: Header=BB1_35 Depth=2
	v_lshl_add_u32 v11, v5, 2, v8
	ds_load_b32 v12, v11
	s_wait_dscnt 0x0
	v_cmp_eq_u32_e32 vcc_lo, v12, v10
	s_or_not1_b32 s13, vcc_lo, exec_lo
	s_branch .LBB1_34
.LBB1_41:
	s_or_b32 exec_lo, exec_lo, s0
.LBB1_42:
	v_lshl_add_u64 v[0:1], v[0:1], 2, s[26:27]
	s_wait_dscnt 0x0
	s_mov_b32 s0, 0
	global_load_b32 v0, v[0:1], off
	s_wait_loadcnt 0x0
	v_subrev_nc_u32_e32 v0, s6, v0
	s_branch .LBB1_44
.LBB1_43:                               ;   in Loop: Header=BB1_44 Depth=1
	s_wait_xcnt 0x0
	s_or_b32 exec_lo, exec_lo, s1
	v_add_co_u32 v7, s1, v7, 16
	s_xor_b32 s1, s1, -1
	v_add_nc_u32_e32 v6, 64, v6
	s_and_b32 s1, exec_lo, s1
	s_delay_alu instid0(SALU_CYCLE_1) | instskip(NEXT) | instid1(SALU_CYCLE_1)
	s_or_b32 s0, s1, s0
	s_and_not1_b32 exec_lo, exec_lo, s0
	s_cbranch_execz .LBB1_46
.LBB1_44:                               ; =>This Inner Loop Header: Depth=1
	ds_load_b32 v1, v6 offset:2048
	s_mov_b32 s1, exec_lo
	s_wait_dscnt 0x0
	v_cmpx_gt_i32_e64 s25, v1
	s_cbranch_execz .LBB1_43
; %bb.45:                               ;   in Loop: Header=BB1_44 Depth=1
	ds_load_b128 v[2:5], v8
	ds_load_b128 v[10:13], v8 offset:16
	ds_load_b128 v[14:17], v8 offset:32
	;; [unrolled: 1-line block ×7, first 2 shown]
	ds_load_b32 v9, v6
	s_wait_dscnt 0x8
	v_cmp_gt_i32_e32 vcc_lo, v1, v2
	v_cndmask_b32_e64 v2, 0, 1, vcc_lo
	v_cmp_gt_i32_e32 vcc_lo, v1, v4
	v_cndmask_b32_e64 v4, 0, 1, vcc_lo
	v_cmp_gt_i32_e32 vcc_lo, v1, v3
	s_delay_alu instid0(VALU_DEP_4)
	v_add_co_ci_u32_e64 v2, null, v0, v2, vcc_lo
	s_wait_dscnt 0x7
	v_cmp_gt_i32_e32 vcc_lo, v1, v10
	v_cndmask_b32_e64 v3, 0, 1, vcc_lo
	v_cmp_gt_i32_e32 vcc_lo, v1, v5
	v_add_co_ci_u32_e64 v2, null, v2, v4, vcc_lo
	v_cmp_gt_i32_e32 vcc_lo, v1, v12
	v_cndmask_b32_e64 v4, 0, 1, vcc_lo
	v_cmp_gt_i32_e32 vcc_lo, v1, v11
	s_delay_alu instid0(VALU_DEP_4)
	v_add_co_ci_u32_e64 v2, null, v2, v3, vcc_lo
	s_wait_dscnt 0x6
	v_cmp_gt_i32_e32 vcc_lo, v1, v14
	v_cndmask_b32_e64 v3, 0, 1, vcc_lo
	v_cmp_gt_i32_e32 vcc_lo, v1, v13
	v_add_co_ci_u32_e64 v2, null, v2, v4, vcc_lo
	;; [unrolled: 10-line block ×7, first 2 shown]
	v_cmp_gt_i32_e32 vcc_lo, v1, v35
	s_delay_alu instid0(VALU_DEP_2) | instskip(SKIP_3) | instid1(VALU_DEP_2)
	v_add_co_ci_u32_e64 v2, null, v2, v3, vcc_lo
	v_cmp_gt_i32_e32 vcc_lo, v1, v36
	v_cndmask_b32_e64 v3, 0, 1, vcc_lo
	v_cmp_gt_i32_e32 vcc_lo, v1, v37
	v_add_co_ci_u32_e64 v1, null, v2, v3, vcc_lo
	s_wait_dscnt 0x0
	global_store_b32 v1, v9, s[2:3] scale_offset
	s_branch .LBB1_43
.LBB1_46:
	s_endpgm
	.section	.rodata,"a",@progbits
	.p2align	6, 0x0
	.amdhsa_kernel _ZN9rocsparseL38csrgemm_numeric_fill_wf_per_row_kernelILj256ELj16ELj32ELj137EiifEEvT4_S1_PKS1_S3_NS_24const_host_device_scalarIT5_EEPKT3_S3_PKS5_S9_S3_SB_S6_S9_S3_SB_S9_S3_PS5_21rocsparse_index_base_SD_SD_SD_bbb
		.amdhsa_group_segment_fixed_size 4096
		.amdhsa_private_segment_fixed_size 0
		.amdhsa_kernarg_size 156
		.amdhsa_user_sgpr_count 2
		.amdhsa_user_sgpr_dispatch_ptr 0
		.amdhsa_user_sgpr_queue_ptr 0
		.amdhsa_user_sgpr_kernarg_segment_ptr 1
		.amdhsa_user_sgpr_dispatch_id 0
		.amdhsa_user_sgpr_kernarg_preload_length 0
		.amdhsa_user_sgpr_kernarg_preload_offset 0
		.amdhsa_user_sgpr_private_segment_size 0
		.amdhsa_wavefront_size32 1
		.amdhsa_uses_dynamic_stack 0
		.amdhsa_enable_private_segment 0
		.amdhsa_system_sgpr_workgroup_id_x 1
		.amdhsa_system_sgpr_workgroup_id_y 0
		.amdhsa_system_sgpr_workgroup_id_z 0
		.amdhsa_system_sgpr_workgroup_info 0
		.amdhsa_system_vgpr_workitem_id 0
		.amdhsa_next_free_vgpr 38
		.amdhsa_next_free_sgpr 40
		.amdhsa_named_barrier_count 0
		.amdhsa_reserve_vcc 1
		.amdhsa_float_round_mode_32 0
		.amdhsa_float_round_mode_16_64 0
		.amdhsa_float_denorm_mode_32 3
		.amdhsa_float_denorm_mode_16_64 3
		.amdhsa_fp16_overflow 0
		.amdhsa_memory_ordered 1
		.amdhsa_forward_progress 1
		.amdhsa_inst_pref_size 17
		.amdhsa_round_robin_scheduling 0
		.amdhsa_exception_fp_ieee_invalid_op 0
		.amdhsa_exception_fp_denorm_src 0
		.amdhsa_exception_fp_ieee_div_zero 0
		.amdhsa_exception_fp_ieee_overflow 0
		.amdhsa_exception_fp_ieee_underflow 0
		.amdhsa_exception_fp_ieee_inexact 0
		.amdhsa_exception_int_div_zero 0
	.end_amdhsa_kernel
	.section	.text._ZN9rocsparseL38csrgemm_numeric_fill_wf_per_row_kernelILj256ELj16ELj32ELj137EiifEEvT4_S1_PKS1_S3_NS_24const_host_device_scalarIT5_EEPKT3_S3_PKS5_S9_S3_SB_S6_S9_S3_SB_S9_S3_PS5_21rocsparse_index_base_SD_SD_SD_bbb,"axG",@progbits,_ZN9rocsparseL38csrgemm_numeric_fill_wf_per_row_kernelILj256ELj16ELj32ELj137EiifEEvT4_S1_PKS1_S3_NS_24const_host_device_scalarIT5_EEPKT3_S3_PKS5_S9_S3_SB_S6_S9_S3_SB_S9_S3_PS5_21rocsparse_index_base_SD_SD_SD_bbb,comdat
.Lfunc_end1:
	.size	_ZN9rocsparseL38csrgemm_numeric_fill_wf_per_row_kernelILj256ELj16ELj32ELj137EiifEEvT4_S1_PKS1_S3_NS_24const_host_device_scalarIT5_EEPKT3_S3_PKS5_S9_S3_SB_S6_S9_S3_SB_S9_S3_PS5_21rocsparse_index_base_SD_SD_SD_bbb, .Lfunc_end1-_ZN9rocsparseL38csrgemm_numeric_fill_wf_per_row_kernelILj256ELj16ELj32ELj137EiifEEvT4_S1_PKS1_S3_NS_24const_host_device_scalarIT5_EEPKT3_S3_PKS5_S9_S3_SB_S6_S9_S3_SB_S9_S3_PS5_21rocsparse_index_base_SD_SD_SD_bbb
                                        ; -- End function
	.set _ZN9rocsparseL38csrgemm_numeric_fill_wf_per_row_kernelILj256ELj16ELj32ELj137EiifEEvT4_S1_PKS1_S3_NS_24const_host_device_scalarIT5_EEPKT3_S3_PKS5_S9_S3_SB_S6_S9_S3_SB_S9_S3_PS5_21rocsparse_index_base_SD_SD_SD_bbb.num_vgpr, 38
	.set _ZN9rocsparseL38csrgemm_numeric_fill_wf_per_row_kernelILj256ELj16ELj32ELj137EiifEEvT4_S1_PKS1_S3_NS_24const_host_device_scalarIT5_EEPKT3_S3_PKS5_S9_S3_SB_S6_S9_S3_SB_S9_S3_PS5_21rocsparse_index_base_SD_SD_SD_bbb.num_agpr, 0
	.set _ZN9rocsparseL38csrgemm_numeric_fill_wf_per_row_kernelILj256ELj16ELj32ELj137EiifEEvT4_S1_PKS1_S3_NS_24const_host_device_scalarIT5_EEPKT3_S3_PKS5_S9_S3_SB_S6_S9_S3_SB_S9_S3_PS5_21rocsparse_index_base_SD_SD_SD_bbb.numbered_sgpr, 40
	.set _ZN9rocsparseL38csrgemm_numeric_fill_wf_per_row_kernelILj256ELj16ELj32ELj137EiifEEvT4_S1_PKS1_S3_NS_24const_host_device_scalarIT5_EEPKT3_S3_PKS5_S9_S3_SB_S6_S9_S3_SB_S9_S3_PS5_21rocsparse_index_base_SD_SD_SD_bbb.num_named_barrier, 0
	.set _ZN9rocsparseL38csrgemm_numeric_fill_wf_per_row_kernelILj256ELj16ELj32ELj137EiifEEvT4_S1_PKS1_S3_NS_24const_host_device_scalarIT5_EEPKT3_S3_PKS5_S9_S3_SB_S6_S9_S3_SB_S9_S3_PS5_21rocsparse_index_base_SD_SD_SD_bbb.private_seg_size, 0
	.set _ZN9rocsparseL38csrgemm_numeric_fill_wf_per_row_kernelILj256ELj16ELj32ELj137EiifEEvT4_S1_PKS1_S3_NS_24const_host_device_scalarIT5_EEPKT3_S3_PKS5_S9_S3_SB_S6_S9_S3_SB_S9_S3_PS5_21rocsparse_index_base_SD_SD_SD_bbb.uses_vcc, 1
	.set _ZN9rocsparseL38csrgemm_numeric_fill_wf_per_row_kernelILj256ELj16ELj32ELj137EiifEEvT4_S1_PKS1_S3_NS_24const_host_device_scalarIT5_EEPKT3_S3_PKS5_S9_S3_SB_S6_S9_S3_SB_S9_S3_PS5_21rocsparse_index_base_SD_SD_SD_bbb.uses_flat_scratch, 0
	.set _ZN9rocsparseL38csrgemm_numeric_fill_wf_per_row_kernelILj256ELj16ELj32ELj137EiifEEvT4_S1_PKS1_S3_NS_24const_host_device_scalarIT5_EEPKT3_S3_PKS5_S9_S3_SB_S6_S9_S3_SB_S9_S3_PS5_21rocsparse_index_base_SD_SD_SD_bbb.has_dyn_sized_stack, 0
	.set _ZN9rocsparseL38csrgemm_numeric_fill_wf_per_row_kernelILj256ELj16ELj32ELj137EiifEEvT4_S1_PKS1_S3_NS_24const_host_device_scalarIT5_EEPKT3_S3_PKS5_S9_S3_SB_S6_S9_S3_SB_S9_S3_PS5_21rocsparse_index_base_SD_SD_SD_bbb.has_recursion, 0
	.set _ZN9rocsparseL38csrgemm_numeric_fill_wf_per_row_kernelILj256ELj16ELj32ELj137EiifEEvT4_S1_PKS1_S3_NS_24const_host_device_scalarIT5_EEPKT3_S3_PKS5_S9_S3_SB_S6_S9_S3_SB_S9_S3_PS5_21rocsparse_index_base_SD_SD_SD_bbb.has_indirect_call, 0
	.section	.AMDGPU.csdata,"",@progbits
; Kernel info:
; codeLenInByte = 2156
; TotalNumSgprs: 42
; NumVgprs: 38
; ScratchSize: 0
; MemoryBound: 0
; FloatMode: 240
; IeeeMode: 1
; LDSByteSize: 4096 bytes/workgroup (compile time only)
; SGPRBlocks: 0
; VGPRBlocks: 2
; NumSGPRsForWavesPerEU: 42
; NumVGPRsForWavesPerEU: 38
; NamedBarCnt: 0
; Occupancy: 16
; WaveLimiterHint : 1
; COMPUTE_PGM_RSRC2:SCRATCH_EN: 0
; COMPUTE_PGM_RSRC2:USER_SGPR: 2
; COMPUTE_PGM_RSRC2:TRAP_HANDLER: 0
; COMPUTE_PGM_RSRC2:TGID_X_EN: 1
; COMPUTE_PGM_RSRC2:TGID_Y_EN: 0
; COMPUTE_PGM_RSRC2:TGID_Z_EN: 0
; COMPUTE_PGM_RSRC2:TIDIG_COMP_CNT: 0
	.section	.text._ZN9rocsparseL41csrgemm_numeric_fill_block_per_row_kernelILj128ELj16ELj256ELj137ELj32EiifEEvT5_PKS1_S3_NS_24const_host_device_scalarIT6_EEPKT4_S3_PKS5_S9_S3_SB_S6_S9_S3_SB_S9_S3_PS5_21rocsparse_index_base_SD_SD_SD_bbb,"axG",@progbits,_ZN9rocsparseL41csrgemm_numeric_fill_block_per_row_kernelILj128ELj16ELj256ELj137ELj32EiifEEvT5_PKS1_S3_NS_24const_host_device_scalarIT6_EEPKT4_S3_PKS5_S9_S3_SB_S6_S9_S3_SB_S9_S3_PS5_21rocsparse_index_base_SD_SD_SD_bbb,comdat
	.globl	_ZN9rocsparseL41csrgemm_numeric_fill_block_per_row_kernelILj128ELj16ELj256ELj137ELj32EiifEEvT5_PKS1_S3_NS_24const_host_device_scalarIT6_EEPKT4_S3_PKS5_S9_S3_SB_S6_S9_S3_SB_S9_S3_PS5_21rocsparse_index_base_SD_SD_SD_bbb ; -- Begin function _ZN9rocsparseL41csrgemm_numeric_fill_block_per_row_kernelILj128ELj16ELj256ELj137ELj32EiifEEvT5_PKS1_S3_NS_24const_host_device_scalarIT6_EEPKT4_S3_PKS5_S9_S3_SB_S6_S9_S3_SB_S9_S3_PS5_21rocsparse_index_base_SD_SD_SD_bbb
	.p2align	8
	.type	_ZN9rocsparseL41csrgemm_numeric_fill_block_per_row_kernelILj128ELj16ELj256ELj137ELj32EiifEEvT5_PKS1_S3_NS_24const_host_device_scalarIT6_EEPKT4_S3_PKS5_S9_S3_SB_S6_S9_S3_SB_S9_S3_PS5_21rocsparse_index_base_SD_SD_SD_bbb,@function
_ZN9rocsparseL41csrgemm_numeric_fill_block_per_row_kernelILj128ELj16ELj256ELj137ELj32EiifEEvT5_PKS1_S3_NS_24const_host_device_scalarIT6_EEPKT4_S3_PKS5_S9_S3_SB_S6_S9_S3_SB_S9_S3_PS5_21rocsparse_index_base_SD_SD_SD_bbb: ; @_ZN9rocsparseL41csrgemm_numeric_fill_block_per_row_kernelILj128ELj16ELj256ELj137ELj32EiifEEvT5_PKS1_S3_NS_24const_host_device_scalarIT6_EEPKT4_S3_PKS5_S9_S3_SB_S6_S9_S3_SB_S9_S3_PS5_21rocsparse_index_base_SD_SD_SD_bbb
; %bb.0:
	s_clause 0x2
	s_load_b32 s8, s[0:1], 0x98
	s_load_b64 s[4:5], s[0:1], 0x18
	s_load_b64 s[2:3], s[0:1], 0x50
	s_wait_kmcnt 0x0
	s_and_b32 s6, 1, s8
	s_bitcmp1_b32 s8, 16
	s_cselect_b32 s9, -1, 0
	s_cmp_eq_u32 s6, 1
	s_cselect_b32 s39, -1, 0
	s_delay_alu instid0(SALU_CYCLE_1) | instskip(SKIP_2) | instid1(SALU_CYCLE_1)
	s_and_b32 s6, s39, exec_lo
	s_cselect_b32 s37, s4, 0
	s_xor_b32 s6, s39, -1
	s_or_b32 s6, s9, s6
	s_delay_alu instid0(SALU_CYCLE_1)
	s_and_b32 vcc_lo, exec_lo, s6
	s_cbranch_vccnz .LBB2_2
; %bb.1:
	s_load_b32 s37, s[4:5], 0x0
.LBB2_2:
	s_wait_xcnt 0x0
	s_load_b128 s[4:7], s[0:1], 0x88
	s_bitcmp1_b32 s8, 8
	s_cselect_b32 s38, -1, 0
	s_delay_alu instid0(SALU_CYCLE_1) | instskip(SKIP_2) | instid1(SALU_CYCLE_1)
	s_and_b32 s8, s38, exec_lo
	s_cselect_b32 s36, s2, 0
	s_xor_b32 s8, s38, -1
	s_or_b32 s8, s9, s8
	s_delay_alu instid0(SALU_CYCLE_1)
	s_and_b32 vcc_lo, exec_lo, s8
	s_cbranch_vccnz .LBB2_4
; %bb.3:
	s_load_b32 s36, s[2:3], 0x0
.LBB2_4:
	s_clause 0x5
	s_load_b64 s[24:25], s[0:1], 0x80
	s_load_b128 s[8:11], s[0:1], 0x60
	s_load_b128 s[12:15], s[0:1], 0x40
	s_load_b64 s[28:29], s[0:1], 0x28
	s_load_b128 s[20:23], s[0:1], 0x8
	s_load_b32 s33, s[0:1], 0x0
	s_wait_xcnt 0x0
	v_cmp_gt_u32_e64 s2, 0x100, v0
	v_or_b32_e32 v1, 0xffffff80, v0
	v_lshl_add_u32 v6, v0, 2, 0
	s_and_saveexec_b32 s3, s2
	s_cbranch_execz .LBB2_7
; %bb.5:
	v_or_b32_e32 v2, 0xffffff80, v0
	v_lshl_add_u32 v3, v0, 2, 0
	s_wait_kmcnt 0x0
	v_dual_mov_b32 v4, s33 :: v_dual_mov_b32 v5, 0
	s_mov_b32 s16, 0
.LBB2_6:                                ; =>This Inner Loop Header: Depth=1
	v_add_co_u32 v2, s17, 0x80, v2
	s_xor_b32 s17, s17, -1
	ds_store_2addr_stride64_b32 v3, v4, v5 offset1:4
	v_add_nc_u32_e32 v3, 0x200, v3
	s_and_b32 s17, exec_lo, s17
	s_delay_alu instid0(SALU_CYCLE_1) | instskip(NEXT) | instid1(SALU_CYCLE_1)
	s_or_b32 s16, s17, s16
	s_and_not1_b32 exec_lo, exec_lo, s16
	s_cbranch_execnz .LBB2_6
.LBB2_7:
	s_or_b32 exec_lo, exec_lo, s3
	s_clause 0x3
	s_load_b64 s[26:27], s[0:1], 0x70
	s_load_b64 s[30:31], s[0:1], 0x58
	;; [unrolled: 1-line block ×3, first 2 shown]
	s_load_b128 s[16:19], s[0:1], 0x30
	s_wait_dscnt 0x0
	s_barrier_signal -1
	s_barrier_wait -1
	s_wait_kmcnt 0x0
	s_load_b32 s0, s[20:21], 0x0
	s_bfe_u32 s1, ttmp6, 0x4000c
	s_and_b32 s3, ttmp6, 15
	s_add_co_i32 s1, s1, 1
	s_wait_xcnt 0x0
	s_getreg_b32 s20, hwreg(HW_REG_IB_STS2, 6, 4)
	s_mul_i32 s1, ttmp9, s1
	s_delay_alu instid0(SALU_CYCLE_1)
	s_add_co_i32 s3, s3, s1
	s_cmp_eq_u32 s20, 0
	s_cselect_b32 s1, ttmp9, s3
	s_and_b32 vcc_lo, exec_lo, s39
	s_wait_kmcnt 0x0
	s_add_co_i32 s0, s0, s1
	s_load_b32 s20, s[22:23], s0 offset:0x0 scale_offset
	s_cbranch_vccz .LBB2_25
; %bb.8:
	s_wait_kmcnt 0x0
	s_ashr_i32 s21, s20, 31
	v_lshrrev_b32_e32 v2, 4, v0
	s_lshl_b64 s[0:1], s[20:21], 2
	s_delay_alu instid0(SALU_CYCLE_1) | instskip(NEXT) | instid1(VALU_DEP_1)
	s_add_nc_u64 s[0:1], s[34:35], s[0:1]
	v_subrev_nc_u32_e32 v2, s4, v2
	s_load_b64 s[22:23], s[0:1], 0x0
	s_wait_xcnt 0x0
	s_mov_b32 s1, exec_lo
	s_wait_kmcnt 0x0
	v_add_nc_u32_e32 v2, s22, v2
	s_sub_co_i32 s0, s23, s4
	s_delay_alu instid0(VALU_DEP_1) | instid1(SALU_CYCLE_1)
	v_cmpx_gt_i32_e64 s0, v2
	s_cbranch_execz .LBB2_24
; %bb.9:
	v_and_b32_e32 v3, 15, v0
	s_mov_b32 s3, 0
	s_delay_alu instid0(VALU_DEP_1)
	v_subrev_nc_u32_e32 v4, s5, v3
	s_branch .LBB2_11
.LBB2_10:                               ;   in Loop: Header=BB2_11 Depth=1
	s_or_b32 exec_lo, exec_lo, s21
	v_add_nc_u32_e32 v2, 8, v2
	s_delay_alu instid0(VALU_DEP_1) | instskip(SKIP_1) | instid1(SALU_CYCLE_1)
	v_cmp_le_i32_e32 vcc_lo, s0, v2
	s_or_b32 s3, vcc_lo, s3
	s_and_not1_b32 exec_lo, exec_lo, s3
	s_cbranch_execz .LBB2_24
.LBB2_11:                               ; =>This Loop Header: Depth=1
                                        ;     Child Loop BB2_15 Depth 2
                                        ;       Child Loop BB2_18 Depth 3
	global_load_b32 v3, v2, s[28:29] scale_offset
	s_mov_b32 s21, exec_lo
	s_wait_loadcnt 0x0
	v_subrev_nc_u32_e32 v8, s4, v3
	s_delay_alu instid0(VALU_DEP_1) | instskip(NEXT) | instid1(VALU_DEP_1)
	v_ashrrev_i32_e32 v9, 31, v8
	v_lshl_add_u64 v[8:9], v[8:9], 2, s[18:19]
	global_load_b64 v[8:9], v[8:9], off
	s_wait_loadcnt 0x0
	v_subrev_nc_u32_e32 v5, s5, v9
	v_add_nc_u32_e32 v7, v8, v4
	s_wait_xcnt 0x0
	s_delay_alu instid0(VALU_DEP_1)
	v_cmpx_lt_i32_e64 v7, v5
	s_cbranch_execz .LBB2_10
; %bb.12:                               ;   in Loop: Header=BB2_11 Depth=1
	v_ashrrev_i32_e32 v3, 31, v2
	s_mov_b32 s22, 0
	s_delay_alu instid0(VALU_DEP_1)
	v_lshl_add_u64 v[8:9], v[2:3], 2, s[16:17]
	global_load_b32 v3, v[8:9], off
	s_wait_loadcnt 0x0
	v_mul_f32_e32 v3, s37, v3
	s_branch .LBB2_15
.LBB2_13:                               ;   in Loop: Header=BB2_15 Depth=2
	s_or_b32 exec_lo, exec_lo, s34
.LBB2_14:                               ;   in Loop: Header=BB2_15 Depth=2
	s_delay_alu instid0(SALU_CYCLE_1) | instskip(SKIP_3) | instid1(VALU_DEP_2)
	s_or_b32 exec_lo, exec_lo, s23
	s_wait_loadcnt 0x0
	v_dual_mul_f32 v8, v3, v8 :: v_dual_add_nc_u32 v7, 16, v7
	v_lshl_add_u32 v9, v9, 2, 0
	v_cmp_ge_i32_e32 vcc_lo, v7, v5
	ds_add_f32 v9, v8 offset:1024
	s_or_b32 s22, vcc_lo, s22
	s_delay_alu instid0(SALU_CYCLE_1)
	s_and_not1_b32 exec_lo, exec_lo, s22
	s_cbranch_execz .LBB2_10
.LBB2_15:                               ;   Parent Loop BB2_11 Depth=1
                                        ; =>  This Loop Header: Depth=2
                                        ;       Child Loop BB2_18 Depth 3
	s_clause 0x1
	global_load_b32 v9, v7, s[12:13] scale_offset
	global_load_b32 v8, v7, s[14:15] scale_offset
	s_mov_b32 s23, exec_lo
	s_wait_loadcnt 0x1
	v_subrev_nc_u32_e32 v10, s5, v9
	s_delay_alu instid0(VALU_DEP_1) | instskip(NEXT) | instid1(VALU_DEP_1)
	v_mul_lo_u32 v9, 0x89, v10
	v_and_b32_e32 v9, 0xff, v9
	s_delay_alu instid0(VALU_DEP_1)
	v_lshl_add_u32 v11, v9, 2, 0
	ds_load_b32 v12, v11
	s_wait_dscnt 0x0
	s_wait_xcnt 0x0
	v_cmpx_ne_u32_e64 v12, v10
	s_cbranch_execz .LBB2_14
; %bb.16:                               ;   in Loop: Header=BB2_15 Depth=2
	s_mov_b32 s34, 0
	s_branch .LBB2_18
.LBB2_17:                               ;   in Loop: Header=BB2_18 Depth=3
	s_or_b32 exec_lo, exec_lo, s40
	s_delay_alu instid0(SALU_CYCLE_1) | instskip(NEXT) | instid1(SALU_CYCLE_1)
	s_and_b32 s35, exec_lo, s39
	s_or_b32 s34, s35, s34
	s_delay_alu instid0(SALU_CYCLE_1)
	s_and_not1_b32 exec_lo, exec_lo, s34
	s_cbranch_execz .LBB2_13
.LBB2_18:                               ;   Parent Loop BB2_11 Depth=1
                                        ;     Parent Loop BB2_15 Depth=2
                                        ; =>    This Inner Loop Header: Depth=3
	s_mov_b32 s35, 0
	s_mov_b32 s39, exec_lo
	v_cmpx_ne_u32_e64 s33, v12
	s_xor_b32 s39, exec_lo, s39
	s_cbranch_execz .LBB2_20
; %bb.19:                               ;   in Loop: Header=BB2_18 Depth=3
	v_add_nc_u32_e32 v9, 1, v9
	s_mov_b32 s35, exec_lo
                                        ; implicit-def: $vgpr11
	s_delay_alu instid0(VALU_DEP_1)
	v_and_b32_e32 v9, 0xff, v9
	s_and_not1_saveexec_b32 s39, s39
	s_cbranch_execz .LBB2_22
	s_branch .LBB2_21
.LBB2_20:                               ;   in Loop: Header=BB2_18 Depth=3
	s_and_not1_saveexec_b32 s39, s39
	s_cbranch_execz .LBB2_22
.LBB2_21:                               ;   in Loop: Header=BB2_18 Depth=3
	v_mov_b32_e32 v12, s33
	s_and_not1_b32 s35, s35, exec_lo
	ds_cmpstore_rtn_b32 v11, v11, v10, v12
	s_wait_dscnt 0x0
	v_cmp_ne_u32_e32 vcc_lo, s33, v11
	s_and_b32 s40, vcc_lo, exec_lo
	s_delay_alu instid0(SALU_CYCLE_1)
	s_or_b32 s35, s35, s40
.LBB2_22:                               ;   in Loop: Header=BB2_18 Depth=3
	s_or_b32 exec_lo, exec_lo, s39
	s_mov_b32 s39, -1
                                        ; implicit-def: $vgpr11
                                        ; implicit-def: $vgpr12
	s_and_saveexec_b32 s40, s35
	s_cbranch_execz .LBB2_17
; %bb.23:                               ;   in Loop: Header=BB2_18 Depth=3
	v_lshl_add_u32 v11, v9, 2, 0
	ds_load_b32 v12, v11
	s_wait_dscnt 0x0
	v_cmp_eq_u32_e32 vcc_lo, v12, v10
	s_or_not1_b32 s39, vcc_lo, exec_lo
	s_branch .LBB2_17
.LBB2_24:
	s_or_b32 exec_lo, exec_lo, s1
.LBB2_25:
	s_delay_alu instid0(SALU_CYCLE_1)
	s_and_not1_b32 vcc_lo, exec_lo, s38
	s_cbranch_vccnz .LBB2_40
; %bb.26:
	s_wait_kmcnt 0x0
	s_ashr_i32 s21, s20, 31
	v_subrev_nc_u32_e32 v2, s7, v0
	s_lshl_b64 s[0:1], s[20:21], 2
	s_delay_alu instid0(SALU_CYCLE_1)
	s_add_nc_u64 s[0:1], s[30:31], s[0:1]
	s_load_b64 s[4:5], s[0:1], 0x0
	s_wait_xcnt 0x0
	s_mov_b32 s1, exec_lo
	s_wait_kmcnt 0x0
	v_add_nc_u32_e32 v2, s4, v2
	s_sub_co_i32 s0, s5, s7
	s_delay_alu instid0(VALU_DEP_1) | instid1(SALU_CYCLE_1)
	v_cmpx_gt_i32_e64 s0, v2
	s_cbranch_execz .LBB2_39
; %bb.27:
	s_mov_b32 s3, 0
	s_branch .LBB2_30
.LBB2_28:                               ;   in Loop: Header=BB2_30 Depth=1
	s_or_b32 exec_lo, exec_lo, s5
.LBB2_29:                               ;   in Loop: Header=BB2_30 Depth=1
	s_delay_alu instid0(SALU_CYCLE_1) | instskip(SKIP_3) | instid1(VALU_DEP_2)
	s_or_b32 exec_lo, exec_lo, s4
	s_wait_loadcnt 0x0
	v_dual_mul_f32 v3, s36, v3 :: v_dual_add_nc_u32 v2, 0x80, v2
	v_lshl_add_u32 v4, v4, 2, 0
	v_cmp_le_i32_e32 vcc_lo, s0, v2
	ds_add_f32 v4, v3 offset:1024
	s_or_b32 s3, vcc_lo, s3
	s_delay_alu instid0(SALU_CYCLE_1)
	s_and_not1_b32 exec_lo, exec_lo, s3
	s_cbranch_execz .LBB2_39
.LBB2_30:                               ; =>This Loop Header: Depth=1
                                        ;     Child Loop BB2_33 Depth 2
	s_clause 0x1
	global_load_b32 v4, v2, s[8:9] scale_offset
	global_load_b32 v3, v2, s[10:11] scale_offset
	s_mov_b32 s4, exec_lo
	s_wait_loadcnt 0x1
	v_subrev_nc_u32_e32 v5, s7, v4
	s_delay_alu instid0(VALU_DEP_1) | instskip(NEXT) | instid1(VALU_DEP_1)
	v_mul_lo_u32 v4, 0x89, v5
	v_and_b32_e32 v4, 0xff, v4
	s_delay_alu instid0(VALU_DEP_1)
	v_lshl_add_u32 v7, v4, 2, 0
	ds_load_b32 v8, v7
	s_wait_dscnt 0x0
	s_wait_xcnt 0x0
	v_cmpx_ne_u32_e64 v8, v5
	s_cbranch_execz .LBB2_29
; %bb.31:                               ;   in Loop: Header=BB2_30 Depth=1
	s_mov_b32 s5, 0
	s_branch .LBB2_33
.LBB2_32:                               ;   in Loop: Header=BB2_33 Depth=2
	s_or_b32 exec_lo, exec_lo, s14
	s_delay_alu instid0(SALU_CYCLE_1) | instskip(NEXT) | instid1(SALU_CYCLE_1)
	s_and_b32 s12, exec_lo, s13
	s_or_b32 s5, s12, s5
	s_delay_alu instid0(SALU_CYCLE_1)
	s_and_not1_b32 exec_lo, exec_lo, s5
	s_cbranch_execz .LBB2_28
.LBB2_33:                               ;   Parent Loop BB2_30 Depth=1
                                        ; =>  This Inner Loop Header: Depth=2
	s_mov_b32 s12, 0
	s_mov_b32 s13, exec_lo
	v_cmpx_ne_u32_e64 s33, v8
	s_xor_b32 s13, exec_lo, s13
	s_cbranch_execz .LBB2_35
; %bb.34:                               ;   in Loop: Header=BB2_33 Depth=2
	v_add_nc_u32_e32 v4, 1, v4
	s_mov_b32 s12, exec_lo
                                        ; implicit-def: $vgpr7
	s_delay_alu instid0(VALU_DEP_1)
	v_and_b32_e32 v4, 0xff, v4
	s_and_not1_saveexec_b32 s13, s13
	s_cbranch_execz .LBB2_37
	s_branch .LBB2_36
.LBB2_35:                               ;   in Loop: Header=BB2_33 Depth=2
	s_and_not1_saveexec_b32 s13, s13
	s_cbranch_execz .LBB2_37
.LBB2_36:                               ;   in Loop: Header=BB2_33 Depth=2
	v_mov_b32_e32 v8, s33
	s_and_not1_b32 s12, s12, exec_lo
	ds_cmpstore_rtn_b32 v7, v7, v5, v8
	s_wait_dscnt 0x0
	v_cmp_ne_u32_e32 vcc_lo, s33, v7
	s_and_b32 s14, vcc_lo, exec_lo
	s_delay_alu instid0(SALU_CYCLE_1)
	s_or_b32 s12, s12, s14
.LBB2_37:                               ;   in Loop: Header=BB2_33 Depth=2
	s_or_b32 exec_lo, exec_lo, s13
	s_mov_b32 s13, -1
                                        ; implicit-def: $vgpr7
                                        ; implicit-def: $vgpr8
	s_and_saveexec_b32 s14, s12
	s_cbranch_execz .LBB2_32
; %bb.38:                               ;   in Loop: Header=BB2_33 Depth=2
	v_lshl_add_u32 v7, v4, 2, 0
	ds_load_b32 v8, v7
	s_wait_dscnt 0x0
	v_cmp_eq_u32_e32 vcc_lo, v8, v5
	s_or_not1_b32 s13, vcc_lo, exec_lo
	s_branch .LBB2_32
.LBB2_39:
	s_or_b32 exec_lo, exec_lo, s1
.LBB2_40:
	s_wait_dscnt 0x0
	s_barrier_signal -1
	s_barrier_wait -1
	s_and_saveexec_b32 s4, s2
	s_cbranch_execz .LBB2_53
; %bb.41:
	v_mbcnt_lo_u32_b32 v2, -1, 0
	v_dual_mov_b32 v3, 0 :: v_dual_lshrrev_b32 v4, 3, v0
	s_wait_xcnt 0x0
	v_cmp_lt_u32_e64 s0, 31, v0
	v_cmp_lt_u32_e64 s1, 63, v0
	s_delay_alu instid0(VALU_DEP_3)
	v_dual_mov_b32 v8, 0 :: v_dual_bitop2_b32 v4, 12, v4 bitop3:0x40
	v_xor_b32_e32 v2, 31, v2
	v_cmp_lt_u32_e64 s2, 0x5f, v0
	s_mov_b32 s5, 0
	v_cmp_eq_u32_e32 vcc_lo, 0x7f, v0
	v_add_nc_u32_e32 v7, 0, v4
	v_lshrrev_b32_e64 v2, v2, -1
	s_branch .LBB2_43
.LBB2_42:                               ;   in Loop: Header=BB2_43 Depth=1
	s_or_b32 exec_lo, exec_lo, s3
	s_wait_dscnt 0x0
	s_barrier_signal -1
	s_barrier_wait -1
	ds_load_b32 v4, v3 offset:2060
	v_add_co_u32 v1, s3, 0x80, v1
	s_xor_b32 s3, s3, -1
	v_add_nc_u32_e32 v6, 0x200, v6
	s_and_b32 s3, exec_lo, s3
	s_delay_alu instid0(SALU_CYCLE_1)
	s_or_b32 s5, s3, s5
	s_wait_dscnt 0x0
	v_add_nc_u32_e32 v8, v4, v8
	s_and_not1_b32 exec_lo, exec_lo, s5
	s_cbranch_execz .LBB2_53
.LBB2_43:                               ; =>This Inner Loop Header: Depth=1
	ds_load_2addr_stride64_b32 v[4:5], v6 offset1:4
	s_wait_dscnt 0x0
	s_barrier_signal -1
	s_barrier_wait -1
	v_cmp_gt_i32_e64 s3, s33, v4
	s_bcnt1_i32_b32 s7, s3
	s_delay_alu instid0(SALU_CYCLE_1) | instskip(NEXT) | instid1(VALU_DEP_1)
	v_dual_mov_b32 v10, s7 :: v_dual_bitop2_b32 v9, s3, v2 bitop3:0x40
	v_bcnt_u32_b32 v9, v9, 0
	ds_store_b32 v7, v10 offset:2048
	s_wait_dscnt 0x0
	s_barrier_signal -1
	s_barrier_wait -1
	s_and_saveexec_b32 s7, s0
	s_cbranch_execz .LBB2_48
; %bb.44:                               ;   in Loop: Header=BB2_43 Depth=1
	ds_load_b32 v10, v3 offset:2048
	s_wait_dscnt 0x0
	v_add_nc_u32_e32 v9, v10, v9
	s_or_b32 exec_lo, exec_lo, s7
	s_and_saveexec_b32 s7, s1
	s_cbranch_execnz .LBB2_49
.LBB2_45:                               ;   in Loop: Header=BB2_43 Depth=1
	s_or_b32 exec_lo, exec_lo, s7
	s_and_saveexec_b32 s7, s2
	s_cbranch_execz .LBB2_50
.LBB2_46:                               ;   in Loop: Header=BB2_43 Depth=1
	ds_load_b32 v10, v3 offset:2056
	s_wait_dscnt 0x0
	v_add_nc_u32_e32 v9, v10, v9
	s_or_b32 exec_lo, exec_lo, s7
	s_and_saveexec_b32 s7, s3
	s_cbranch_execnz .LBB2_51
.LBB2_47:                               ;   in Loop: Header=BB2_43 Depth=1
	s_or_b32 exec_lo, exec_lo, s7
	s_and_saveexec_b32 s3, vcc_lo
	s_cbranch_execz .LBB2_42
	s_branch .LBB2_52
.LBB2_48:                               ;   in Loop: Header=BB2_43 Depth=1
	s_or_b32 exec_lo, exec_lo, s7
	s_and_saveexec_b32 s7, s1
	s_cbranch_execz .LBB2_45
.LBB2_49:                               ;   in Loop: Header=BB2_43 Depth=1
	ds_load_b32 v10, v3 offset:2052
	s_wait_dscnt 0x0
	v_add_nc_u32_e32 v9, v10, v9
	s_or_b32 exec_lo, exec_lo, s7
	s_and_saveexec_b32 s7, s2
	s_cbranch_execnz .LBB2_46
.LBB2_50:                               ;   in Loop: Header=BB2_43 Depth=1
	s_or_b32 exec_lo, exec_lo, s7
	s_and_saveexec_b32 s7, s3
	s_cbranch_execz .LBB2_47
.LBB2_51:                               ;   in Loop: Header=BB2_43 Depth=1
	s_delay_alu instid0(VALU_DEP_1) | instskip(SKIP_1) | instid1(VALU_DEP_2)
	v_add3_u32 v10, v8, -1, v9
	v_add_nc_u32_e32 v11, v8, v9
	v_lshl_add_u32 v10, v10, 2, 0
	s_delay_alu instid0(VALU_DEP_2)
	v_lshl_add_u32 v11, v11, 2, 0
	ds_store_b32 v10, v4
	ds_store_b32 v11, v5 offset:1020
	s_or_b32 exec_lo, exec_lo, s7
	s_and_saveexec_b32 s3, vcc_lo
	s_cbranch_execz .LBB2_42
.LBB2_52:                               ;   in Loop: Header=BB2_43 Depth=1
	ds_store_b32 v3, v9 offset:2060
	s_branch .LBB2_42
.LBB2_53:
	s_or_b32 exec_lo, exec_lo, s4
	s_wait_kmcnt 0x0
	s_ashr_i32 s21, s20, 31
	s_delay_alu instid0(SALU_CYCLE_1) | instskip(NEXT) | instid1(SALU_CYCLE_1)
	s_lshl_b64 s[0:1], s[20:21], 2
	s_add_nc_u64 s[2:3], s[26:27], s[0:1]
	s_load_b64 s[0:1], s[2:3], 0x0
	s_wait_kmcnt 0x0
	s_sub_co_i32 s4, s1, s0
	s_mov_b32 s1, exec_lo
	v_cmpx_gt_i32_e64 s4, v0
	s_cbranch_execz .LBB2_67
; %bb.54:
	v_sub_co_u32 v1, s1, s4, 2
	s_sub_co_i32 s2, s0, s6
	s_xor_b32 s6, s1, -1
	s_and_b32 s5, s4, -2
	v_readfirstlane_b32 s3, v1
	s_lshr_b32 s0, s3, 1
	s_mov_b32 s3, 0
	s_add_co_i32 s0, s0, 1
	s_mov_b32 s11, s3
	s_and_b32 s1, s0, 7
	s_and_b32 s7, s0, -8
	s_cmp_lg_u32 s1, 0
	v_cmp_lt_u32_e64 s0, 13, v1
	s_cselect_b32 s8, -1, 0
	s_cmp_lg_u32 s4, s5
	s_cselect_b32 s9, -1, 0
	s_lshl_b32 s10, s1, 3
	s_branch .LBB2_56
.LBB2_55:                               ;   in Loop: Header=BB2_56 Depth=1
	v_add_nc_u32_e32 v0, 0x80, v0
	s_wait_dscnt 0x0
	global_store_b32 v1, v3, s[24:25] scale_offset
	v_cmp_le_i32_e32 vcc_lo, s4, v0
	s_or_b32 s11, vcc_lo, s11
	s_wait_xcnt 0x0
	s_and_not1_b32 exec_lo, exec_lo, s11
	s_cbranch_execz .LBB2_67
.LBB2_56:                               ; =>This Loop Header: Depth=1
                                        ;     Child Loop BB2_59 Depth 2
                                        ;     Child Loop BB2_62 Depth 2
	;; [unrolled: 1-line block ×3, first 2 shown]
	v_lshl_add_u32 v1, v0, 2, 0
	s_and_not1_b32 vcc_lo, exec_lo, s6
	s_mov_b32 s1, 0
	s_mov_b32 s12, -1
	ds_load_2addr_stride64_b32 v[2:3], v1 offset1:4
	v_mov_b32_e32 v1, s2
	s_cbranch_vccnz .LBB2_64
; %bb.57:                               ;   in Loop: Header=BB2_56 Depth=1
	v_mov_b64_e32 v[4:5], s[2:3]
	s_and_not1_b32 vcc_lo, exec_lo, s0
	s_mov_b32 s12, 0
	s_cbranch_vccnz .LBB2_60
; %bb.58:                               ;   in Loop: Header=BB2_56 Depth=1
	v_dual_mov_b32 v4, s2 :: v_dual_mov_b32 v5, 0
	s_mov_b32 s13, 0
	s_mov_b32 s14, s7
.LBB2_59:                               ;   Parent Loop BB2_56 Depth=1
                                        ; =>  This Inner Loop Header: Depth=2
	v_mov_b32_e32 v1, s13
	s_add_co_i32 s14, s14, -8
	s_add_co_i32 s12, s12, 16
	s_add_co_i32 s13, s13, 64
	s_cmp_lg_u32 s14, 0
	ds_load_2addr_b32 v[6:7], v1 offset1:1
	ds_load_2addr_b32 v[8:9], v1 offset0:2 offset1:3
	ds_load_2addr_b32 v[10:11], v1 offset0:4 offset1:5
	;; [unrolled: 1-line block ×7, first 2 shown]
	s_wait_dscnt 0x7
	v_cmp_gt_i32_e32 vcc_lo, v2, v7
	s_wait_dscnt 0x5
	v_cmp_gt_i32_e64 s1, v2, v10
	v_cndmask_b32_e64 v1, 0, 1, vcc_lo
	v_cmp_gt_i32_e32 vcc_lo, v2, v6
	s_delay_alu instid0(VALU_DEP_3) | instskip(SKIP_3) | instid1(VALU_DEP_3)
	v_cndmask_b32_e64 v7, 0, 1, s1
	v_cmp_gt_i32_e64 s1, v2, v11
	v_cndmask_b32_e64 v6, 0, 1, vcc_lo
	v_cmp_gt_i32_e32 vcc_lo, v2, v8
	v_cndmask_b32_e64 v8, 0, 1, s1
	s_wait_dscnt 0x4
	v_cmp_gt_i32_e64 s1, v2, v13
	v_add_co_ci_u32_e64 v4, null, v4, v6, vcc_lo
	s_delay_alu instid0(VALU_DEP_2) | instskip(SKIP_3) | instid1(VALU_DEP_2)
	v_cndmask_b32_e64 v10, 0, 1, s1
	v_cmp_gt_i32_e64 s1, v2, v12
	s_wait_dscnt 0x2
	v_cmp_gt_i32_e32 vcc_lo, v2, v16
	v_cndmask_b32_e64 v11, 0, 1, s1
	v_cmp_gt_i32_e64 s1, v2, v14
	v_add_co_ci_u32_e64 v4, null, v4, v7, vcc_lo
	s_wait_dscnt 0x1
	v_cmp_gt_i32_e32 vcc_lo, v2, v18
	s_delay_alu instid0(VALU_DEP_3) | instskip(SKIP_4) | instid1(VALU_DEP_3)
	v_cndmask_b32_e64 v12, 0, 1, s1
	v_cmp_gt_i32_e64 s1, v2, v15
	v_add_co_ci_u32_e64 v4, null, v4, v11, vcc_lo
	s_wait_dscnt 0x0
	v_cmp_gt_i32_e32 vcc_lo, v2, v20
	v_cndmask_b32_e64 v13, 0, 1, s1
	v_cmp_gt_i32_e64 s1, v2, v9
	v_add_co_ci_u32_e64 v4, null, v4, v12, vcc_lo
	s_delay_alu instid0(VALU_DEP_2) | instskip(SKIP_1) | instid1(VALU_DEP_1)
	v_add_co_ci_u32_e64 v1, null, v5, v1, s1
	v_cmp_gt_i32_e64 s1, v2, v17
	v_add_co_ci_u32_e64 v1, null, v1, v8, s1
	v_cmp_gt_i32_e64 s1, v2, v19
	s_delay_alu instid0(VALU_DEP_1) | instskip(SKIP_1) | instid1(VALU_DEP_1)
	v_add_co_ci_u32_e64 v1, null, v1, v10, s1
	v_cmp_gt_i32_e64 s1, v2, v21
	v_add_co_ci_u32_e64 v5, null, v1, v13, s1
	s_cbranch_scc1 .LBB2_59
.LBB2_60:                               ;   in Loop: Header=BB2_56 Depth=1
	s_and_not1_b32 vcc_lo, exec_lo, s8
	s_cbranch_vccnz .LBB2_63
; %bb.61:                               ;   in Loop: Header=BB2_56 Depth=1
	s_lshl_b32 s1, s12, 2
	s_mov_b32 s12, s10
	s_add_co_i32 s1, s1, 0
.LBB2_62:                               ;   Parent Loop BB2_56 Depth=1
                                        ; =>  This Inner Loop Header: Depth=2
	s_delay_alu instid0(SALU_CYCLE_1)
	v_mov_b32_e32 v1, s1
	s_add_co_i32 s12, s12, -8
	s_add_co_i32 s1, s1, 8
	s_cmp_lg_u32 s12, 0
	ds_load_2addr_b32 v[6:7], v1 offset1:1
	s_wait_dscnt 0x0
	v_cmp_gt_i32_e32 vcc_lo, v2, v7
	v_add_co_ci_u32_e64 v5, null, 0, v5, vcc_lo
	v_cmp_gt_i32_e32 vcc_lo, v2, v6
	v_add_co_ci_u32_e64 v4, null, 0, v4, vcc_lo
	s_cbranch_scc1 .LBB2_62
.LBB2_63:                               ;   in Loop: Header=BB2_56 Depth=1
	s_delay_alu instid0(VALU_DEP_1)
	v_add_nc_u32_e32 v1, v4, v5
	s_mov_b32 s1, s5
	s_mov_b32 s12, s9
.LBB2_64:                               ;   in Loop: Header=BB2_56 Depth=1
	s_delay_alu instid0(SALU_CYCLE_1)
	s_and_b32 vcc_lo, exec_lo, s12
	s_cbranch_vccz .LBB2_55
; %bb.65:                               ;   in Loop: Header=BB2_56 Depth=1
	s_lshl_b32 s12, s1, 2
	s_delay_alu instid0(SALU_CYCLE_1)
	s_add_co_i32 s12, s12, 0
.LBB2_66:                               ;   Parent Loop BB2_56 Depth=1
                                        ; =>  This Inner Loop Header: Depth=2
	s_delay_alu instid0(SALU_CYCLE_1)
	v_mov_b32_e32 v4, s12
	s_add_co_i32 s1, s1, 1
	s_add_co_i32 s12, s12, 4
	s_cmp_ge_i32 s1, s4
	ds_load_b32 v4, v4
	s_wait_dscnt 0x0
	v_cmp_gt_i32_e32 vcc_lo, v2, v4
	v_add_co_ci_u32_e64 v1, null, 0, v1, vcc_lo
	s_cbranch_scc0 .LBB2_66
	s_branch .LBB2_55
.LBB2_67:
	s_endpgm
	.section	.rodata,"a",@progbits
	.p2align	6, 0x0
	.amdhsa_kernel _ZN9rocsparseL41csrgemm_numeric_fill_block_per_row_kernelILj128ELj16ELj256ELj137ELj32EiifEEvT5_PKS1_S3_NS_24const_host_device_scalarIT6_EEPKT4_S3_PKS5_S9_S3_SB_S6_S9_S3_SB_S9_S3_PS5_21rocsparse_index_base_SD_SD_SD_bbb
		.amdhsa_group_segment_fixed_size 0
		.amdhsa_private_segment_fixed_size 0
		.amdhsa_kernarg_size 156
		.amdhsa_user_sgpr_count 2
		.amdhsa_user_sgpr_dispatch_ptr 0
		.amdhsa_user_sgpr_queue_ptr 0
		.amdhsa_user_sgpr_kernarg_segment_ptr 1
		.amdhsa_user_sgpr_dispatch_id 0
		.amdhsa_user_sgpr_kernarg_preload_length 0
		.amdhsa_user_sgpr_kernarg_preload_offset 0
		.amdhsa_user_sgpr_private_segment_size 0
		.amdhsa_wavefront_size32 1
		.amdhsa_uses_dynamic_stack 0
		.amdhsa_enable_private_segment 0
		.amdhsa_system_sgpr_workgroup_id_x 1
		.amdhsa_system_sgpr_workgroup_id_y 0
		.amdhsa_system_sgpr_workgroup_id_z 0
		.amdhsa_system_sgpr_workgroup_info 0
		.amdhsa_system_vgpr_workitem_id 0
		.amdhsa_next_free_vgpr 22
		.amdhsa_next_free_sgpr 41
		.amdhsa_named_barrier_count 0
		.amdhsa_reserve_vcc 1
		.amdhsa_float_round_mode_32 0
		.amdhsa_float_round_mode_16_64 0
		.amdhsa_float_denorm_mode_32 3
		.amdhsa_float_denorm_mode_16_64 3
		.amdhsa_fp16_overflow 0
		.amdhsa_memory_ordered 1
		.amdhsa_forward_progress 1
		.amdhsa_inst_pref_size 22
		.amdhsa_round_robin_scheduling 0
		.amdhsa_exception_fp_ieee_invalid_op 0
		.amdhsa_exception_fp_denorm_src 0
		.amdhsa_exception_fp_ieee_div_zero 0
		.amdhsa_exception_fp_ieee_overflow 0
		.amdhsa_exception_fp_ieee_underflow 0
		.amdhsa_exception_fp_ieee_inexact 0
		.amdhsa_exception_int_div_zero 0
	.end_amdhsa_kernel
	.section	.text._ZN9rocsparseL41csrgemm_numeric_fill_block_per_row_kernelILj128ELj16ELj256ELj137ELj32EiifEEvT5_PKS1_S3_NS_24const_host_device_scalarIT6_EEPKT4_S3_PKS5_S9_S3_SB_S6_S9_S3_SB_S9_S3_PS5_21rocsparse_index_base_SD_SD_SD_bbb,"axG",@progbits,_ZN9rocsparseL41csrgemm_numeric_fill_block_per_row_kernelILj128ELj16ELj256ELj137ELj32EiifEEvT5_PKS1_S3_NS_24const_host_device_scalarIT6_EEPKT4_S3_PKS5_S9_S3_SB_S6_S9_S3_SB_S9_S3_PS5_21rocsparse_index_base_SD_SD_SD_bbb,comdat
.Lfunc_end2:
	.size	_ZN9rocsparseL41csrgemm_numeric_fill_block_per_row_kernelILj128ELj16ELj256ELj137ELj32EiifEEvT5_PKS1_S3_NS_24const_host_device_scalarIT6_EEPKT4_S3_PKS5_S9_S3_SB_S6_S9_S3_SB_S9_S3_PS5_21rocsparse_index_base_SD_SD_SD_bbb, .Lfunc_end2-_ZN9rocsparseL41csrgemm_numeric_fill_block_per_row_kernelILj128ELj16ELj256ELj137ELj32EiifEEvT5_PKS1_S3_NS_24const_host_device_scalarIT6_EEPKT4_S3_PKS5_S9_S3_SB_S6_S9_S3_SB_S9_S3_PS5_21rocsparse_index_base_SD_SD_SD_bbb
                                        ; -- End function
	.set _ZN9rocsparseL41csrgemm_numeric_fill_block_per_row_kernelILj128ELj16ELj256ELj137ELj32EiifEEvT5_PKS1_S3_NS_24const_host_device_scalarIT6_EEPKT4_S3_PKS5_S9_S3_SB_S6_S9_S3_SB_S9_S3_PS5_21rocsparse_index_base_SD_SD_SD_bbb.num_vgpr, 22
	.set _ZN9rocsparseL41csrgemm_numeric_fill_block_per_row_kernelILj128ELj16ELj256ELj137ELj32EiifEEvT5_PKS1_S3_NS_24const_host_device_scalarIT6_EEPKT4_S3_PKS5_S9_S3_SB_S6_S9_S3_SB_S9_S3_PS5_21rocsparse_index_base_SD_SD_SD_bbb.num_agpr, 0
	.set _ZN9rocsparseL41csrgemm_numeric_fill_block_per_row_kernelILj128ELj16ELj256ELj137ELj32EiifEEvT5_PKS1_S3_NS_24const_host_device_scalarIT6_EEPKT4_S3_PKS5_S9_S3_SB_S6_S9_S3_SB_S9_S3_PS5_21rocsparse_index_base_SD_SD_SD_bbb.numbered_sgpr, 41
	.set _ZN9rocsparseL41csrgemm_numeric_fill_block_per_row_kernelILj128ELj16ELj256ELj137ELj32EiifEEvT5_PKS1_S3_NS_24const_host_device_scalarIT6_EEPKT4_S3_PKS5_S9_S3_SB_S6_S9_S3_SB_S9_S3_PS5_21rocsparse_index_base_SD_SD_SD_bbb.num_named_barrier, 0
	.set _ZN9rocsparseL41csrgemm_numeric_fill_block_per_row_kernelILj128ELj16ELj256ELj137ELj32EiifEEvT5_PKS1_S3_NS_24const_host_device_scalarIT6_EEPKT4_S3_PKS5_S9_S3_SB_S6_S9_S3_SB_S9_S3_PS5_21rocsparse_index_base_SD_SD_SD_bbb.private_seg_size, 0
	.set _ZN9rocsparseL41csrgemm_numeric_fill_block_per_row_kernelILj128ELj16ELj256ELj137ELj32EiifEEvT5_PKS1_S3_NS_24const_host_device_scalarIT6_EEPKT4_S3_PKS5_S9_S3_SB_S6_S9_S3_SB_S9_S3_PS5_21rocsparse_index_base_SD_SD_SD_bbb.uses_vcc, 1
	.set _ZN9rocsparseL41csrgemm_numeric_fill_block_per_row_kernelILj128ELj16ELj256ELj137ELj32EiifEEvT5_PKS1_S3_NS_24const_host_device_scalarIT6_EEPKT4_S3_PKS5_S9_S3_SB_S6_S9_S3_SB_S9_S3_PS5_21rocsparse_index_base_SD_SD_SD_bbb.uses_flat_scratch, 0
	.set _ZN9rocsparseL41csrgemm_numeric_fill_block_per_row_kernelILj128ELj16ELj256ELj137ELj32EiifEEvT5_PKS1_S3_NS_24const_host_device_scalarIT6_EEPKT4_S3_PKS5_S9_S3_SB_S6_S9_S3_SB_S9_S3_PS5_21rocsparse_index_base_SD_SD_SD_bbb.has_dyn_sized_stack, 0
	.set _ZN9rocsparseL41csrgemm_numeric_fill_block_per_row_kernelILj128ELj16ELj256ELj137ELj32EiifEEvT5_PKS1_S3_NS_24const_host_device_scalarIT6_EEPKT4_S3_PKS5_S9_S3_SB_S6_S9_S3_SB_S9_S3_PS5_21rocsparse_index_base_SD_SD_SD_bbb.has_recursion, 0
	.set _ZN9rocsparseL41csrgemm_numeric_fill_block_per_row_kernelILj128ELj16ELj256ELj137ELj32EiifEEvT5_PKS1_S3_NS_24const_host_device_scalarIT6_EEPKT4_S3_PKS5_S9_S3_SB_S6_S9_S3_SB_S9_S3_PS5_21rocsparse_index_base_SD_SD_SD_bbb.has_indirect_call, 0
	.section	.AMDGPU.csdata,"",@progbits
; Kernel info:
; codeLenInByte = 2780
; TotalNumSgprs: 43
; NumVgprs: 22
; ScratchSize: 0
; MemoryBound: 0
; FloatMode: 240
; IeeeMode: 1
; LDSByteSize: 0 bytes/workgroup (compile time only)
; SGPRBlocks: 0
; VGPRBlocks: 1
; NumSGPRsForWavesPerEU: 43
; NumVGPRsForWavesPerEU: 22
; NamedBarCnt: 0
; Occupancy: 16
; WaveLimiterHint : 1
; COMPUTE_PGM_RSRC2:SCRATCH_EN: 0
; COMPUTE_PGM_RSRC2:USER_SGPR: 2
; COMPUTE_PGM_RSRC2:TRAP_HANDLER: 0
; COMPUTE_PGM_RSRC2:TGID_X_EN: 1
; COMPUTE_PGM_RSRC2:TGID_Y_EN: 0
; COMPUTE_PGM_RSRC2:TGID_Z_EN: 0
; COMPUTE_PGM_RSRC2:TIDIG_COMP_CNT: 0
	.section	.text._ZN9rocsparseL41csrgemm_numeric_fill_block_per_row_kernelILj128ELj16ELj256ELj137ELj64EiifEEvT5_PKS1_S3_NS_24const_host_device_scalarIT6_EEPKT4_S3_PKS5_S9_S3_SB_S6_S9_S3_SB_S9_S3_PS5_21rocsparse_index_base_SD_SD_SD_bbb,"axG",@progbits,_ZN9rocsparseL41csrgemm_numeric_fill_block_per_row_kernelILj128ELj16ELj256ELj137ELj64EiifEEvT5_PKS1_S3_NS_24const_host_device_scalarIT6_EEPKT4_S3_PKS5_S9_S3_SB_S6_S9_S3_SB_S9_S3_PS5_21rocsparse_index_base_SD_SD_SD_bbb,comdat
	.globl	_ZN9rocsparseL41csrgemm_numeric_fill_block_per_row_kernelILj128ELj16ELj256ELj137ELj64EiifEEvT5_PKS1_S3_NS_24const_host_device_scalarIT6_EEPKT4_S3_PKS5_S9_S3_SB_S6_S9_S3_SB_S9_S3_PS5_21rocsparse_index_base_SD_SD_SD_bbb ; -- Begin function _ZN9rocsparseL41csrgemm_numeric_fill_block_per_row_kernelILj128ELj16ELj256ELj137ELj64EiifEEvT5_PKS1_S3_NS_24const_host_device_scalarIT6_EEPKT4_S3_PKS5_S9_S3_SB_S6_S9_S3_SB_S9_S3_PS5_21rocsparse_index_base_SD_SD_SD_bbb
	.p2align	8
	.type	_ZN9rocsparseL41csrgemm_numeric_fill_block_per_row_kernelILj128ELj16ELj256ELj137ELj64EiifEEvT5_PKS1_S3_NS_24const_host_device_scalarIT6_EEPKT4_S3_PKS5_S9_S3_SB_S6_S9_S3_SB_S9_S3_PS5_21rocsparse_index_base_SD_SD_SD_bbb,@function
_ZN9rocsparseL41csrgemm_numeric_fill_block_per_row_kernelILj128ELj16ELj256ELj137ELj64EiifEEvT5_PKS1_S3_NS_24const_host_device_scalarIT6_EEPKT4_S3_PKS5_S9_S3_SB_S6_S9_S3_SB_S9_S3_PS5_21rocsparse_index_base_SD_SD_SD_bbb: ; @_ZN9rocsparseL41csrgemm_numeric_fill_block_per_row_kernelILj128ELj16ELj256ELj137ELj64EiifEEvT5_PKS1_S3_NS_24const_host_device_scalarIT6_EEPKT4_S3_PKS5_S9_S3_SB_S6_S9_S3_SB_S9_S3_PS5_21rocsparse_index_base_SD_SD_SD_bbb
; %bb.0:
	s_clause 0x2
	s_load_b32 s8, s[0:1], 0x98
	s_load_b64 s[4:5], s[0:1], 0x18
	s_load_b64 s[2:3], s[0:1], 0x50
	s_wait_kmcnt 0x0
	s_and_b32 s6, 1, s8
	s_bitcmp1_b32 s8, 16
	s_cselect_b32 s9, -1, 0
	s_cmp_eq_u32 s6, 1
	s_cselect_b32 s38, -1, 0
	s_delay_alu instid0(SALU_CYCLE_1) | instskip(SKIP_2) | instid1(SALU_CYCLE_1)
	s_and_b32 s6, s38, exec_lo
	s_cselect_b32 s36, s4, 0
	s_xor_b32 s6, s38, -1
	s_or_b32 s6, s9, s6
	s_delay_alu instid0(SALU_CYCLE_1)
	s_and_b32 vcc_lo, exec_lo, s6
	s_cbranch_vccnz .LBB3_2
; %bb.1:
	s_load_b32 s36, s[4:5], 0x0
.LBB3_2:
	s_wait_xcnt 0x0
	s_load_b128 s[4:7], s[0:1], 0x88
	s_bitcmp1_b32 s8, 8
	s_cselect_b32 s37, -1, 0
	s_delay_alu instid0(SALU_CYCLE_1) | instskip(SKIP_2) | instid1(SALU_CYCLE_1)
	s_and_b32 s8, s37, exec_lo
	s_cselect_b32 s33, s2, 0
	s_xor_b32 s8, s37, -1
	s_or_b32 s8, s9, s8
	s_delay_alu instid0(SALU_CYCLE_1)
	s_and_b32 vcc_lo, exec_lo, s8
	s_cbranch_vccnz .LBB3_4
; %bb.3:
	s_load_b32 s33, s[2:3], 0x0
.LBB3_4:
	s_clause 0x4
	s_load_b64 s[24:25], s[0:1], 0x80
	s_load_b128 s[8:11], s[0:1], 0x60
	s_load_b128 s[12:15], s[0:1], 0x40
	s_load_b64 s[28:29], s[0:1], 0x28
	s_load_b128 s[20:23], s[0:1], 0x8
	s_wait_xcnt 0x0
	s_load_b32 s3, s[0:1], 0x0
	v_cmp_gt_u32_e64 s2, 0x100, v0
	v_or_b32_e32 v1, 0xffffff80, v0
	v_lshl_add_u32 v6, v0, 2, 0
	s_and_saveexec_b32 s16, s2
	s_cbranch_execz .LBB3_7
; %bb.5:
	v_or_b32_e32 v2, 0xffffff80, v0
	v_lshl_add_u32 v3, v0, 2, 0
	s_wait_kmcnt 0x0
	v_dual_mov_b32 v4, s3 :: v_dual_mov_b32 v5, 0
	s_mov_b32 s17, 0
.LBB3_6:                                ; =>This Inner Loop Header: Depth=1
	v_add_co_u32 v2, s18, 0x80, v2
	s_xor_b32 s18, s18, -1
	ds_store_2addr_stride64_b32 v3, v4, v5 offset1:4
	v_add_nc_u32_e32 v3, 0x200, v3
	s_and_b32 s18, exec_lo, s18
	s_delay_alu instid0(SALU_CYCLE_1) | instskip(NEXT) | instid1(SALU_CYCLE_1)
	s_or_b32 s17, s18, s17
	s_and_not1_b32 exec_lo, exec_lo, s17
	s_cbranch_execnz .LBB3_6
.LBB3_7:
	s_or_b32 exec_lo, exec_lo, s16
	s_clause 0x3
	s_load_b64 s[26:27], s[0:1], 0x70
	s_load_b64 s[30:31], s[0:1], 0x58
	;; [unrolled: 1-line block ×3, first 2 shown]
	s_load_b128 s[16:19], s[0:1], 0x30
	s_wait_dscnt 0x0
	s_barrier_signal -1
	s_barrier_wait -1
	s_wait_kmcnt 0x0
	s_load_b32 s0, s[20:21], 0x0
	s_bfe_u32 s1, ttmp6, 0x4000c
	s_wait_xcnt 0x0
	s_and_b32 s20, ttmp6, 15
	s_add_co_i32 s1, s1, 1
	s_getreg_b32 s21, hwreg(HW_REG_IB_STS2, 6, 4)
	s_mul_i32 s1, ttmp9, s1
	v_lshrrev_b32_e32 v4, 4, v0
	s_add_co_i32 s20, s20, s1
	s_cmp_eq_u32 s21, 0
	s_cselect_b32 s1, ttmp9, s20
	s_and_b32 vcc_lo, exec_lo, s38
	s_wait_kmcnt 0x0
	s_add_co_i32 s0, s0, s1
	s_load_b32 s20, s[22:23], s0 offset:0x0 scale_offset
	s_cbranch_vccz .LBB3_25
; %bb.8:
	s_wait_kmcnt 0x0
	s_ashr_i32 s21, s20, 31
	v_subrev_nc_u32_e32 v2, s4, v4
	s_lshl_b64 s[0:1], s[20:21], 2
	s_delay_alu instid0(SALU_CYCLE_1)
	s_add_nc_u64 s[0:1], s[34:35], s[0:1]
	s_load_b64 s[22:23], s[0:1], 0x0
	s_wait_xcnt 0x0
	s_mov_b32 s1, exec_lo
	s_wait_kmcnt 0x0
	v_add_nc_u32_e32 v2, s22, v2
	s_sub_co_i32 s0, s23, s4
	s_delay_alu instid0(VALU_DEP_1) | instid1(SALU_CYCLE_1)
	v_cmpx_gt_i32_e64 s0, v2
	s_cbranch_execz .LBB3_24
; %bb.9:
	v_and_b32_e32 v3, 15, v0
	s_mov_b32 s21, 0
	s_delay_alu instid0(VALU_DEP_1)
	v_subrev_nc_u32_e32 v5, s5, v3
	s_branch .LBB3_11
.LBB3_10:                               ;   in Loop: Header=BB3_11 Depth=1
	s_or_b32 exec_lo, exec_lo, s22
	v_add_nc_u32_e32 v2, 8, v2
	s_delay_alu instid0(VALU_DEP_1) | instskip(SKIP_1) | instid1(SALU_CYCLE_1)
	v_cmp_le_i32_e32 vcc_lo, s0, v2
	s_or_b32 s21, vcc_lo, s21
	s_and_not1_b32 exec_lo, exec_lo, s21
	s_cbranch_execz .LBB3_24
.LBB3_11:                               ; =>This Loop Header: Depth=1
                                        ;     Child Loop BB3_15 Depth 2
                                        ;       Child Loop BB3_18 Depth 3
	global_load_b32 v3, v2, s[28:29] scale_offset
	s_mov_b32 s22, exec_lo
	s_wait_loadcnt 0x0
	v_subrev_nc_u32_e32 v8, s4, v3
	s_delay_alu instid0(VALU_DEP_1) | instskip(NEXT) | instid1(VALU_DEP_1)
	v_ashrrev_i32_e32 v9, 31, v8
	v_lshl_add_u64 v[8:9], v[8:9], 2, s[18:19]
	global_load_b64 v[8:9], v[8:9], off
	s_wait_loadcnt 0x0
	v_subrev_nc_u32_e32 v7, s5, v9
	s_wait_xcnt 0x0
	v_add_nc_u32_e32 v8, v8, v5
	s_delay_alu instid0(VALU_DEP_1)
	v_cmpx_lt_i32_e64 v8, v7
	s_cbranch_execz .LBB3_10
; %bb.12:                               ;   in Loop: Header=BB3_11 Depth=1
	v_ashrrev_i32_e32 v3, 31, v2
	s_mov_b32 s23, 0
	s_delay_alu instid0(VALU_DEP_1)
	v_lshl_add_u64 v[10:11], v[2:3], 2, s[16:17]
	global_load_b32 v3, v[10:11], off
	s_wait_loadcnt 0x0
	v_mul_f32_e32 v3, s36, v3
	s_branch .LBB3_15
.LBB3_13:                               ;   in Loop: Header=BB3_15 Depth=2
	s_or_b32 exec_lo, exec_lo, s35
.LBB3_14:                               ;   in Loop: Header=BB3_15 Depth=2
	s_delay_alu instid0(SALU_CYCLE_1) | instskip(SKIP_3) | instid1(VALU_DEP_2)
	s_or_b32 exec_lo, exec_lo, s34
	s_wait_loadcnt 0x0
	v_dual_mul_f32 v9, v3, v9 :: v_dual_add_nc_u32 v8, 16, v8
	v_lshl_add_u32 v10, v10, 2, 0
	v_cmp_ge_i32_e32 vcc_lo, v8, v7
	ds_add_f32 v10, v9 offset:1024
	s_or_b32 s23, vcc_lo, s23
	s_delay_alu instid0(SALU_CYCLE_1)
	s_and_not1_b32 exec_lo, exec_lo, s23
	s_cbranch_execz .LBB3_10
.LBB3_15:                               ;   Parent Loop BB3_11 Depth=1
                                        ; =>  This Loop Header: Depth=2
                                        ;       Child Loop BB3_18 Depth 3
	s_clause 0x1
	global_load_b32 v10, v8, s[12:13] scale_offset
	global_load_b32 v9, v8, s[14:15] scale_offset
	s_mov_b32 s34, exec_lo
	s_wait_loadcnt 0x1
	v_subrev_nc_u32_e32 v11, s5, v10
	s_delay_alu instid0(VALU_DEP_1) | instskip(NEXT) | instid1(VALU_DEP_1)
	v_mul_lo_u32 v10, 0x89, v11
	v_and_b32_e32 v10, 0xff, v10
	s_delay_alu instid0(VALU_DEP_1)
	v_lshl_add_u32 v12, v10, 2, 0
	ds_load_b32 v13, v12
	s_wait_dscnt 0x0
	s_wait_xcnt 0x0
	v_cmpx_ne_u32_e64 v13, v11
	s_cbranch_execz .LBB3_14
; %bb.16:                               ;   in Loop: Header=BB3_15 Depth=2
	s_mov_b32 s35, 0
	s_branch .LBB3_18
.LBB3_17:                               ;   in Loop: Header=BB3_18 Depth=3
	s_or_b32 exec_lo, exec_lo, s40
	s_delay_alu instid0(SALU_CYCLE_1) | instskip(NEXT) | instid1(SALU_CYCLE_1)
	s_and_b32 s38, exec_lo, s39
	s_or_b32 s35, s38, s35
	s_delay_alu instid0(SALU_CYCLE_1)
	s_and_not1_b32 exec_lo, exec_lo, s35
	s_cbranch_execz .LBB3_13
.LBB3_18:                               ;   Parent Loop BB3_11 Depth=1
                                        ;     Parent Loop BB3_15 Depth=2
                                        ; =>    This Inner Loop Header: Depth=3
	s_mov_b32 s38, 0
	s_mov_b32 s39, exec_lo
	v_cmpx_ne_u32_e64 s3, v13
	s_xor_b32 s39, exec_lo, s39
	s_cbranch_execz .LBB3_20
; %bb.19:                               ;   in Loop: Header=BB3_18 Depth=3
	v_add_nc_u32_e32 v10, 1, v10
	s_mov_b32 s38, exec_lo
                                        ; implicit-def: $vgpr12
	s_delay_alu instid0(VALU_DEP_1)
	v_and_b32_e32 v10, 0xff, v10
	s_and_not1_saveexec_b32 s39, s39
	s_cbranch_execz .LBB3_22
	s_branch .LBB3_21
.LBB3_20:                               ;   in Loop: Header=BB3_18 Depth=3
	s_and_not1_saveexec_b32 s39, s39
	s_cbranch_execz .LBB3_22
.LBB3_21:                               ;   in Loop: Header=BB3_18 Depth=3
	v_mov_b32_e32 v13, s3
	s_and_not1_b32 s38, s38, exec_lo
	ds_cmpstore_rtn_b32 v12, v12, v11, v13
	s_wait_dscnt 0x0
	v_cmp_ne_u32_e32 vcc_lo, s3, v12
	s_and_b32 s40, vcc_lo, exec_lo
	s_delay_alu instid0(SALU_CYCLE_1)
	s_or_b32 s38, s38, s40
.LBB3_22:                               ;   in Loop: Header=BB3_18 Depth=3
	s_or_b32 exec_lo, exec_lo, s39
	s_mov_b32 s39, -1
                                        ; implicit-def: $vgpr12
                                        ; implicit-def: $vgpr13
	s_and_saveexec_b32 s40, s38
	s_cbranch_execz .LBB3_17
; %bb.23:                               ;   in Loop: Header=BB3_18 Depth=3
	v_lshl_add_u32 v12, v10, 2, 0
	ds_load_b32 v13, v12
	s_wait_dscnt 0x0
	v_cmp_eq_u32_e32 vcc_lo, v13, v11
	s_or_not1_b32 s39, vcc_lo, exec_lo
	s_branch .LBB3_17
.LBB3_24:
	s_or_b32 exec_lo, exec_lo, s1
.LBB3_25:
	s_delay_alu instid0(SALU_CYCLE_1)
	s_and_not1_b32 vcc_lo, exec_lo, s37
	s_cbranch_vccnz .LBB3_40
; %bb.26:
	s_wait_kmcnt 0x0
	s_ashr_i32 s21, s20, 31
	v_subrev_nc_u32_e32 v2, s7, v0
	s_lshl_b64 s[0:1], s[20:21], 2
	s_delay_alu instid0(SALU_CYCLE_1)
	s_add_nc_u64 s[0:1], s[30:31], s[0:1]
	s_load_b64 s[4:5], s[0:1], 0x0
	s_wait_xcnt 0x0
	s_mov_b32 s1, exec_lo
	s_wait_kmcnt 0x0
	v_add_nc_u32_e32 v2, s4, v2
	s_sub_co_i32 s0, s5, s7
	s_delay_alu instid0(VALU_DEP_1) | instid1(SALU_CYCLE_1)
	v_cmpx_gt_i32_e64 s0, v2
	s_cbranch_execz .LBB3_39
; %bb.27:
	s_mov_b32 s4, 0
	s_branch .LBB3_30
.LBB3_28:                               ;   in Loop: Header=BB3_30 Depth=1
	s_or_b32 exec_lo, exec_lo, s12
.LBB3_29:                               ;   in Loop: Header=BB3_30 Depth=1
	s_delay_alu instid0(SALU_CYCLE_1) | instskip(SKIP_3) | instid1(VALU_DEP_2)
	s_or_b32 exec_lo, exec_lo, s5
	s_wait_loadcnt 0x0
	v_dual_mul_f32 v3, s33, v3 :: v_dual_add_nc_u32 v2, 0x80, v2
	v_lshl_add_u32 v5, v5, 2, 0
	v_cmp_le_i32_e32 vcc_lo, s0, v2
	ds_add_f32 v5, v3 offset:1024
	s_or_b32 s4, vcc_lo, s4
	s_delay_alu instid0(SALU_CYCLE_1)
	s_and_not1_b32 exec_lo, exec_lo, s4
	s_cbranch_execz .LBB3_39
.LBB3_30:                               ; =>This Loop Header: Depth=1
                                        ;     Child Loop BB3_33 Depth 2
	s_clause 0x1
	global_load_b32 v5, v2, s[8:9] scale_offset
	global_load_b32 v3, v2, s[10:11] scale_offset
	s_mov_b32 s5, exec_lo
	s_wait_loadcnt 0x1
	v_subrev_nc_u32_e32 v7, s7, v5
	s_delay_alu instid0(VALU_DEP_1) | instskip(NEXT) | instid1(VALU_DEP_1)
	v_mul_lo_u32 v5, 0x89, v7
	v_and_b32_e32 v5, 0xff, v5
	s_delay_alu instid0(VALU_DEP_1)
	v_lshl_add_u32 v8, v5, 2, 0
	ds_load_b32 v9, v8
	s_wait_dscnt 0x0
	s_wait_xcnt 0x0
	v_cmpx_ne_u32_e64 v9, v7
	s_cbranch_execz .LBB3_29
; %bb.31:                               ;   in Loop: Header=BB3_30 Depth=1
	s_mov_b32 s12, 0
	s_branch .LBB3_33
.LBB3_32:                               ;   in Loop: Header=BB3_33 Depth=2
	s_or_b32 exec_lo, exec_lo, s15
	s_delay_alu instid0(SALU_CYCLE_1) | instskip(NEXT) | instid1(SALU_CYCLE_1)
	s_and_b32 s13, exec_lo, s14
	s_or_b32 s12, s13, s12
	s_delay_alu instid0(SALU_CYCLE_1)
	s_and_not1_b32 exec_lo, exec_lo, s12
	s_cbranch_execz .LBB3_28
.LBB3_33:                               ;   Parent Loop BB3_30 Depth=1
                                        ; =>  This Inner Loop Header: Depth=2
	s_mov_b32 s13, 0
	s_mov_b32 s14, exec_lo
	v_cmpx_ne_u32_e64 s3, v9
	s_xor_b32 s14, exec_lo, s14
	s_cbranch_execz .LBB3_35
; %bb.34:                               ;   in Loop: Header=BB3_33 Depth=2
	v_add_nc_u32_e32 v5, 1, v5
	s_mov_b32 s13, exec_lo
                                        ; implicit-def: $vgpr8
	s_delay_alu instid0(VALU_DEP_1)
	v_and_b32_e32 v5, 0xff, v5
	s_and_not1_saveexec_b32 s14, s14
	s_cbranch_execz .LBB3_37
	s_branch .LBB3_36
.LBB3_35:                               ;   in Loop: Header=BB3_33 Depth=2
	s_and_not1_saveexec_b32 s14, s14
	s_cbranch_execz .LBB3_37
.LBB3_36:                               ;   in Loop: Header=BB3_33 Depth=2
	v_mov_b32_e32 v9, s3
	s_and_not1_b32 s13, s13, exec_lo
	ds_cmpstore_rtn_b32 v8, v8, v7, v9
	s_wait_dscnt 0x0
	v_cmp_ne_u32_e32 vcc_lo, s3, v8
	s_and_b32 s15, vcc_lo, exec_lo
	s_delay_alu instid0(SALU_CYCLE_1)
	s_or_b32 s13, s13, s15
.LBB3_37:                               ;   in Loop: Header=BB3_33 Depth=2
	s_or_b32 exec_lo, exec_lo, s14
	s_mov_b32 s14, -1
                                        ; implicit-def: $vgpr8
                                        ; implicit-def: $vgpr9
	s_and_saveexec_b32 s15, s13
	s_cbranch_execz .LBB3_32
; %bb.38:                               ;   in Loop: Header=BB3_33 Depth=2
	v_lshl_add_u32 v8, v5, 2, 0
	ds_load_b32 v9, v8
	s_wait_dscnt 0x0
	v_cmp_eq_u32_e32 vcc_lo, v9, v7
	s_or_not1_b32 s14, vcc_lo, exec_lo
	s_branch .LBB3_32
.LBB3_39:
	s_or_b32 exec_lo, exec_lo, s1
.LBB3_40:
	s_wait_dscnt 0x0
	s_barrier_signal -1
	s_barrier_wait -1
	s_and_saveexec_b32 s4, s2
	s_cbranch_execz .LBB3_49
; %bb.41:
	v_mbcnt_lo_u32_b32 v2, -1, 0
	v_dual_mov_b32 v3, 0 :: v_dual_bitop2_b32 v4, 4, v4 bitop3:0x40
	s_wait_xcnt 0x0
	v_cmp_eq_u32_e64 s0, 0x7f, v0
	s_delay_alu instid0(VALU_DEP_3) | instskip(NEXT) | instid1(VALU_DEP_3)
	v_dual_mov_b32 v8, 0 :: v_dual_bitop2_b32 v2, 31, v2 bitop3:0x14
	v_add_nc_u32_e32 v7, 0, v4
	s_mov_b32 s2, 0
	v_cmp_lt_u32_e32 vcc_lo, 63, v0
	s_delay_alu instid0(VALU_DEP_3)
	v_lshrrev_b32_e64 v2, v2, -1
	s_branch .LBB3_43
.LBB3_42:                               ;   in Loop: Header=BB3_43 Depth=1
	s_or_b32 exec_lo, exec_lo, s1
	s_wait_dscnt 0x0
	s_barrier_signal -1
	s_barrier_wait -1
	ds_load_b32 v4, v3 offset:2052
	v_add_co_u32 v1, s1, 0x80, v1
	s_xor_b32 s1, s1, -1
	v_add_nc_u32_e32 v6, 0x200, v6
	s_and_b32 s1, exec_lo, s1
	s_delay_alu instid0(SALU_CYCLE_1)
	s_or_b32 s2, s1, s2
	s_wait_dscnt 0x0
	v_add_nc_u32_e32 v8, v4, v8
	s_and_not1_b32 exec_lo, exec_lo, s2
	s_cbranch_execz .LBB3_49
.LBB3_43:                               ; =>This Inner Loop Header: Depth=1
	ds_load_2addr_stride64_b32 v[4:5], v6 offset1:4
	s_wait_dscnt 0x0
	s_barrier_signal -1
	s_barrier_wait -1
	v_cmp_gt_i32_e64 s1, s3, v4
	s_bcnt1_i32_b32 s5, s1
	s_delay_alu instid0(SALU_CYCLE_1) | instskip(NEXT) | instid1(VALU_DEP_1)
	v_dual_mov_b32 v10, s5 :: v_dual_bitop2_b32 v9, s1, v2 bitop3:0x40
	v_bcnt_u32_b32 v9, v9, 0
	ds_store_b32 v7, v10 offset:2048
	s_wait_dscnt 0x0
	s_barrier_signal -1
	s_barrier_wait -1
	s_and_saveexec_b32 s5, vcc_lo
	s_cbranch_execz .LBB3_46
; %bb.44:                               ;   in Loop: Header=BB3_43 Depth=1
	ds_load_b32 v10, v3 offset:2048
	s_wait_dscnt 0x0
	v_add_nc_u32_e32 v9, v10, v9
	s_or_b32 exec_lo, exec_lo, s5
	s_and_saveexec_b32 s5, s1
	s_cbranch_execnz .LBB3_47
.LBB3_45:                               ;   in Loop: Header=BB3_43 Depth=1
	s_or_b32 exec_lo, exec_lo, s5
	s_and_saveexec_b32 s1, s0
	s_cbranch_execz .LBB3_42
	s_branch .LBB3_48
.LBB3_46:                               ;   in Loop: Header=BB3_43 Depth=1
	s_or_b32 exec_lo, exec_lo, s5
	s_and_saveexec_b32 s5, s1
	s_cbranch_execz .LBB3_45
.LBB3_47:                               ;   in Loop: Header=BB3_43 Depth=1
	s_delay_alu instid0(VALU_DEP_1) | instskip(SKIP_1) | instid1(VALU_DEP_2)
	v_add3_u32 v10, v8, -1, v9
	v_add_nc_u32_e32 v11, v8, v9
	v_lshl_add_u32 v10, v10, 2, 0
	s_delay_alu instid0(VALU_DEP_2)
	v_lshl_add_u32 v11, v11, 2, 0
	ds_store_b32 v10, v4
	ds_store_b32 v11, v5 offset:1020
	s_or_b32 exec_lo, exec_lo, s5
	s_and_saveexec_b32 s1, s0
	s_cbranch_execz .LBB3_42
.LBB3_48:                               ;   in Loop: Header=BB3_43 Depth=1
	ds_store_b32 v3, v9 offset:2052
	s_branch .LBB3_42
.LBB3_49:
	s_or_b32 exec_lo, exec_lo, s4
	s_wait_kmcnt 0x0
	s_ashr_i32 s21, s20, 31
	s_delay_alu instid0(SALU_CYCLE_1) | instskip(NEXT) | instid1(SALU_CYCLE_1)
	s_lshl_b64 s[0:1], s[20:21], 2
	s_add_nc_u64 s[2:3], s[26:27], s[0:1]
	s_load_b64 s[0:1], s[2:3], 0x0
	s_wait_kmcnt 0x0
	s_sub_co_i32 s4, s1, s0
	s_mov_b32 s1, exec_lo
	v_cmpx_gt_i32_e64 s4, v0
	s_cbranch_execz .LBB3_63
; %bb.50:
	v_sub_co_u32 v1, s1, s4, 2
	s_sub_co_i32 s2, s0, s6
	s_xor_b32 s6, s1, -1
	s_and_b32 s5, s4, -2
	v_readfirstlane_b32 s3, v1
	s_lshr_b32 s0, s3, 1
	s_mov_b32 s3, 0
	s_add_co_i32 s0, s0, 1
	s_mov_b32 s11, s3
	s_and_b32 s1, s0, 7
	s_and_b32 s7, s0, -8
	s_cmp_lg_u32 s1, 0
	v_cmp_lt_u32_e64 s0, 13, v1
	s_cselect_b32 s8, -1, 0
	s_cmp_lg_u32 s4, s5
	s_cselect_b32 s9, -1, 0
	s_lshl_b32 s10, s1, 3
	s_branch .LBB3_52
.LBB3_51:                               ;   in Loop: Header=BB3_52 Depth=1
	v_add_nc_u32_e32 v0, 0x80, v0
	s_wait_dscnt 0x0
	global_store_b32 v1, v3, s[24:25] scale_offset
	v_cmp_le_i32_e32 vcc_lo, s4, v0
	s_or_b32 s11, vcc_lo, s11
	s_wait_xcnt 0x0
	s_and_not1_b32 exec_lo, exec_lo, s11
	s_cbranch_execz .LBB3_63
.LBB3_52:                               ; =>This Loop Header: Depth=1
                                        ;     Child Loop BB3_55 Depth 2
                                        ;     Child Loop BB3_58 Depth 2
	;; [unrolled: 1-line block ×3, first 2 shown]
	v_lshl_add_u32 v1, v0, 2, 0
	s_and_not1_b32 vcc_lo, exec_lo, s6
	s_mov_b32 s1, 0
	s_mov_b32 s12, -1
	ds_load_2addr_stride64_b32 v[2:3], v1 offset1:4
	v_mov_b32_e32 v1, s2
	s_cbranch_vccnz .LBB3_60
; %bb.53:                               ;   in Loop: Header=BB3_52 Depth=1
	v_mov_b64_e32 v[4:5], s[2:3]
	s_and_not1_b32 vcc_lo, exec_lo, s0
	s_mov_b32 s12, 0
	s_cbranch_vccnz .LBB3_56
; %bb.54:                               ;   in Loop: Header=BB3_52 Depth=1
	v_dual_mov_b32 v4, s2 :: v_dual_mov_b32 v5, 0
	s_mov_b32 s13, 0
	s_mov_b32 s14, s7
.LBB3_55:                               ;   Parent Loop BB3_52 Depth=1
                                        ; =>  This Inner Loop Header: Depth=2
	v_mov_b32_e32 v1, s13
	s_add_co_i32 s14, s14, -8
	s_add_co_i32 s12, s12, 16
	s_add_co_i32 s13, s13, 64
	s_cmp_lg_u32 s14, 0
	ds_load_2addr_b32 v[6:7], v1 offset1:1
	ds_load_2addr_b32 v[8:9], v1 offset0:2 offset1:3
	ds_load_2addr_b32 v[10:11], v1 offset0:4 offset1:5
	;; [unrolled: 1-line block ×7, first 2 shown]
	s_wait_dscnt 0x7
	v_cmp_gt_i32_e32 vcc_lo, v2, v7
	s_wait_dscnt 0x5
	v_cmp_gt_i32_e64 s1, v2, v10
	v_cndmask_b32_e64 v1, 0, 1, vcc_lo
	v_cmp_gt_i32_e32 vcc_lo, v2, v6
	s_delay_alu instid0(VALU_DEP_3) | instskip(SKIP_3) | instid1(VALU_DEP_3)
	v_cndmask_b32_e64 v7, 0, 1, s1
	v_cmp_gt_i32_e64 s1, v2, v11
	v_cndmask_b32_e64 v6, 0, 1, vcc_lo
	v_cmp_gt_i32_e32 vcc_lo, v2, v8
	v_cndmask_b32_e64 v8, 0, 1, s1
	s_wait_dscnt 0x4
	v_cmp_gt_i32_e64 s1, v2, v13
	v_add_co_ci_u32_e64 v4, null, v4, v6, vcc_lo
	s_delay_alu instid0(VALU_DEP_2) | instskip(SKIP_3) | instid1(VALU_DEP_2)
	v_cndmask_b32_e64 v10, 0, 1, s1
	v_cmp_gt_i32_e64 s1, v2, v12
	s_wait_dscnt 0x2
	v_cmp_gt_i32_e32 vcc_lo, v2, v16
	v_cndmask_b32_e64 v11, 0, 1, s1
	v_cmp_gt_i32_e64 s1, v2, v14
	v_add_co_ci_u32_e64 v4, null, v4, v7, vcc_lo
	s_wait_dscnt 0x1
	v_cmp_gt_i32_e32 vcc_lo, v2, v18
	s_delay_alu instid0(VALU_DEP_3) | instskip(SKIP_4) | instid1(VALU_DEP_3)
	v_cndmask_b32_e64 v12, 0, 1, s1
	v_cmp_gt_i32_e64 s1, v2, v15
	v_add_co_ci_u32_e64 v4, null, v4, v11, vcc_lo
	s_wait_dscnt 0x0
	v_cmp_gt_i32_e32 vcc_lo, v2, v20
	v_cndmask_b32_e64 v13, 0, 1, s1
	v_cmp_gt_i32_e64 s1, v2, v9
	v_add_co_ci_u32_e64 v4, null, v4, v12, vcc_lo
	s_delay_alu instid0(VALU_DEP_2) | instskip(SKIP_1) | instid1(VALU_DEP_1)
	v_add_co_ci_u32_e64 v1, null, v5, v1, s1
	v_cmp_gt_i32_e64 s1, v2, v17
	v_add_co_ci_u32_e64 v1, null, v1, v8, s1
	v_cmp_gt_i32_e64 s1, v2, v19
	s_delay_alu instid0(VALU_DEP_1) | instskip(SKIP_1) | instid1(VALU_DEP_1)
	v_add_co_ci_u32_e64 v1, null, v1, v10, s1
	v_cmp_gt_i32_e64 s1, v2, v21
	v_add_co_ci_u32_e64 v5, null, v1, v13, s1
	s_cbranch_scc1 .LBB3_55
.LBB3_56:                               ;   in Loop: Header=BB3_52 Depth=1
	s_and_not1_b32 vcc_lo, exec_lo, s8
	s_cbranch_vccnz .LBB3_59
; %bb.57:                               ;   in Loop: Header=BB3_52 Depth=1
	s_lshl_b32 s1, s12, 2
	s_mov_b32 s12, s10
	s_add_co_i32 s1, s1, 0
.LBB3_58:                               ;   Parent Loop BB3_52 Depth=1
                                        ; =>  This Inner Loop Header: Depth=2
	s_delay_alu instid0(SALU_CYCLE_1)
	v_mov_b32_e32 v1, s1
	s_add_co_i32 s12, s12, -8
	s_add_co_i32 s1, s1, 8
	s_cmp_lg_u32 s12, 0
	ds_load_2addr_b32 v[6:7], v1 offset1:1
	s_wait_dscnt 0x0
	v_cmp_gt_i32_e32 vcc_lo, v2, v7
	v_add_co_ci_u32_e64 v5, null, 0, v5, vcc_lo
	v_cmp_gt_i32_e32 vcc_lo, v2, v6
	v_add_co_ci_u32_e64 v4, null, 0, v4, vcc_lo
	s_cbranch_scc1 .LBB3_58
.LBB3_59:                               ;   in Loop: Header=BB3_52 Depth=1
	s_delay_alu instid0(VALU_DEP_1)
	v_add_nc_u32_e32 v1, v4, v5
	s_mov_b32 s1, s5
	s_mov_b32 s12, s9
.LBB3_60:                               ;   in Loop: Header=BB3_52 Depth=1
	s_delay_alu instid0(SALU_CYCLE_1)
	s_and_b32 vcc_lo, exec_lo, s12
	s_cbranch_vccz .LBB3_51
; %bb.61:                               ;   in Loop: Header=BB3_52 Depth=1
	s_lshl_b32 s12, s1, 2
	s_delay_alu instid0(SALU_CYCLE_1)
	s_add_co_i32 s12, s12, 0
.LBB3_62:                               ;   Parent Loop BB3_52 Depth=1
                                        ; =>  This Inner Loop Header: Depth=2
	s_delay_alu instid0(SALU_CYCLE_1)
	v_mov_b32_e32 v4, s12
	s_add_co_i32 s1, s1, 1
	s_add_co_i32 s12, s12, 4
	s_cmp_ge_i32 s1, s4
	ds_load_b32 v4, v4
	s_wait_dscnt 0x0
	v_cmp_gt_i32_e32 vcc_lo, v2, v4
	v_add_co_ci_u32_e64 v1, null, 0, v1, vcc_lo
	s_cbranch_scc0 .LBB3_62
	s_branch .LBB3_51
.LBB3_63:
	s_endpgm
	.section	.rodata,"a",@progbits
	.p2align	6, 0x0
	.amdhsa_kernel _ZN9rocsparseL41csrgemm_numeric_fill_block_per_row_kernelILj128ELj16ELj256ELj137ELj64EiifEEvT5_PKS1_S3_NS_24const_host_device_scalarIT6_EEPKT4_S3_PKS5_S9_S3_SB_S6_S9_S3_SB_S9_S3_PS5_21rocsparse_index_base_SD_SD_SD_bbb
		.amdhsa_group_segment_fixed_size 0
		.amdhsa_private_segment_fixed_size 0
		.amdhsa_kernarg_size 156
		.amdhsa_user_sgpr_count 2
		.amdhsa_user_sgpr_dispatch_ptr 0
		.amdhsa_user_sgpr_queue_ptr 0
		.amdhsa_user_sgpr_kernarg_segment_ptr 1
		.amdhsa_user_sgpr_dispatch_id 0
		.amdhsa_user_sgpr_kernarg_preload_length 0
		.amdhsa_user_sgpr_kernarg_preload_offset 0
		.amdhsa_user_sgpr_private_segment_size 0
		.amdhsa_wavefront_size32 1
		.amdhsa_uses_dynamic_stack 0
		.amdhsa_enable_private_segment 0
		.amdhsa_system_sgpr_workgroup_id_x 1
		.amdhsa_system_sgpr_workgroup_id_y 0
		.amdhsa_system_sgpr_workgroup_id_z 0
		.amdhsa_system_sgpr_workgroup_info 0
		.amdhsa_system_vgpr_workitem_id 0
		.amdhsa_next_free_vgpr 22
		.amdhsa_next_free_sgpr 41
		.amdhsa_named_barrier_count 0
		.amdhsa_reserve_vcc 1
		.amdhsa_float_round_mode_32 0
		.amdhsa_float_round_mode_16_64 0
		.amdhsa_float_denorm_mode_32 3
		.amdhsa_float_denorm_mode_16_64 3
		.amdhsa_fp16_overflow 0
		.amdhsa_memory_ordered 1
		.amdhsa_forward_progress 1
		.amdhsa_inst_pref_size 21
		.amdhsa_round_robin_scheduling 0
		.amdhsa_exception_fp_ieee_invalid_op 0
		.amdhsa_exception_fp_denorm_src 0
		.amdhsa_exception_fp_ieee_div_zero 0
		.amdhsa_exception_fp_ieee_overflow 0
		.amdhsa_exception_fp_ieee_underflow 0
		.amdhsa_exception_fp_ieee_inexact 0
		.amdhsa_exception_int_div_zero 0
	.end_amdhsa_kernel
	.section	.text._ZN9rocsparseL41csrgemm_numeric_fill_block_per_row_kernelILj128ELj16ELj256ELj137ELj64EiifEEvT5_PKS1_S3_NS_24const_host_device_scalarIT6_EEPKT4_S3_PKS5_S9_S3_SB_S6_S9_S3_SB_S9_S3_PS5_21rocsparse_index_base_SD_SD_SD_bbb,"axG",@progbits,_ZN9rocsparseL41csrgemm_numeric_fill_block_per_row_kernelILj128ELj16ELj256ELj137ELj64EiifEEvT5_PKS1_S3_NS_24const_host_device_scalarIT6_EEPKT4_S3_PKS5_S9_S3_SB_S6_S9_S3_SB_S9_S3_PS5_21rocsparse_index_base_SD_SD_SD_bbb,comdat
.Lfunc_end3:
	.size	_ZN9rocsparseL41csrgemm_numeric_fill_block_per_row_kernelILj128ELj16ELj256ELj137ELj64EiifEEvT5_PKS1_S3_NS_24const_host_device_scalarIT6_EEPKT4_S3_PKS5_S9_S3_SB_S6_S9_S3_SB_S9_S3_PS5_21rocsparse_index_base_SD_SD_SD_bbb, .Lfunc_end3-_ZN9rocsparseL41csrgemm_numeric_fill_block_per_row_kernelILj128ELj16ELj256ELj137ELj64EiifEEvT5_PKS1_S3_NS_24const_host_device_scalarIT6_EEPKT4_S3_PKS5_S9_S3_SB_S6_S9_S3_SB_S9_S3_PS5_21rocsparse_index_base_SD_SD_SD_bbb
                                        ; -- End function
	.set _ZN9rocsparseL41csrgemm_numeric_fill_block_per_row_kernelILj128ELj16ELj256ELj137ELj64EiifEEvT5_PKS1_S3_NS_24const_host_device_scalarIT6_EEPKT4_S3_PKS5_S9_S3_SB_S6_S9_S3_SB_S9_S3_PS5_21rocsparse_index_base_SD_SD_SD_bbb.num_vgpr, 22
	.set _ZN9rocsparseL41csrgemm_numeric_fill_block_per_row_kernelILj128ELj16ELj256ELj137ELj64EiifEEvT5_PKS1_S3_NS_24const_host_device_scalarIT6_EEPKT4_S3_PKS5_S9_S3_SB_S6_S9_S3_SB_S9_S3_PS5_21rocsparse_index_base_SD_SD_SD_bbb.num_agpr, 0
	.set _ZN9rocsparseL41csrgemm_numeric_fill_block_per_row_kernelILj128ELj16ELj256ELj137ELj64EiifEEvT5_PKS1_S3_NS_24const_host_device_scalarIT6_EEPKT4_S3_PKS5_S9_S3_SB_S6_S9_S3_SB_S9_S3_PS5_21rocsparse_index_base_SD_SD_SD_bbb.numbered_sgpr, 41
	.set _ZN9rocsparseL41csrgemm_numeric_fill_block_per_row_kernelILj128ELj16ELj256ELj137ELj64EiifEEvT5_PKS1_S3_NS_24const_host_device_scalarIT6_EEPKT4_S3_PKS5_S9_S3_SB_S6_S9_S3_SB_S9_S3_PS5_21rocsparse_index_base_SD_SD_SD_bbb.num_named_barrier, 0
	.set _ZN9rocsparseL41csrgemm_numeric_fill_block_per_row_kernelILj128ELj16ELj256ELj137ELj64EiifEEvT5_PKS1_S3_NS_24const_host_device_scalarIT6_EEPKT4_S3_PKS5_S9_S3_SB_S6_S9_S3_SB_S9_S3_PS5_21rocsparse_index_base_SD_SD_SD_bbb.private_seg_size, 0
	.set _ZN9rocsparseL41csrgemm_numeric_fill_block_per_row_kernelILj128ELj16ELj256ELj137ELj64EiifEEvT5_PKS1_S3_NS_24const_host_device_scalarIT6_EEPKT4_S3_PKS5_S9_S3_SB_S6_S9_S3_SB_S9_S3_PS5_21rocsparse_index_base_SD_SD_SD_bbb.uses_vcc, 1
	.set _ZN9rocsparseL41csrgemm_numeric_fill_block_per_row_kernelILj128ELj16ELj256ELj137ELj64EiifEEvT5_PKS1_S3_NS_24const_host_device_scalarIT6_EEPKT4_S3_PKS5_S9_S3_SB_S6_S9_S3_SB_S9_S3_PS5_21rocsparse_index_base_SD_SD_SD_bbb.uses_flat_scratch, 0
	.set _ZN9rocsparseL41csrgemm_numeric_fill_block_per_row_kernelILj128ELj16ELj256ELj137ELj64EiifEEvT5_PKS1_S3_NS_24const_host_device_scalarIT6_EEPKT4_S3_PKS5_S9_S3_SB_S6_S9_S3_SB_S9_S3_PS5_21rocsparse_index_base_SD_SD_SD_bbb.has_dyn_sized_stack, 0
	.set _ZN9rocsparseL41csrgemm_numeric_fill_block_per_row_kernelILj128ELj16ELj256ELj137ELj64EiifEEvT5_PKS1_S3_NS_24const_host_device_scalarIT6_EEPKT4_S3_PKS5_S9_S3_SB_S6_S9_S3_SB_S9_S3_PS5_21rocsparse_index_base_SD_SD_SD_bbb.has_recursion, 0
	.set _ZN9rocsparseL41csrgemm_numeric_fill_block_per_row_kernelILj128ELj16ELj256ELj137ELj64EiifEEvT5_PKS1_S3_NS_24const_host_device_scalarIT6_EEPKT4_S3_PKS5_S9_S3_SB_S6_S9_S3_SB_S9_S3_PS5_21rocsparse_index_base_SD_SD_SD_bbb.has_indirect_call, 0
	.section	.AMDGPU.csdata,"",@progbits
; Kernel info:
; codeLenInByte = 2680
; TotalNumSgprs: 43
; NumVgprs: 22
; ScratchSize: 0
; MemoryBound: 0
; FloatMode: 240
; IeeeMode: 1
; LDSByteSize: 0 bytes/workgroup (compile time only)
; SGPRBlocks: 0
; VGPRBlocks: 1
; NumSGPRsForWavesPerEU: 43
; NumVGPRsForWavesPerEU: 22
; NamedBarCnt: 0
; Occupancy: 16
; WaveLimiterHint : 1
; COMPUTE_PGM_RSRC2:SCRATCH_EN: 0
; COMPUTE_PGM_RSRC2:USER_SGPR: 2
; COMPUTE_PGM_RSRC2:TRAP_HANDLER: 0
; COMPUTE_PGM_RSRC2:TGID_X_EN: 1
; COMPUTE_PGM_RSRC2:TGID_Y_EN: 0
; COMPUTE_PGM_RSRC2:TGID_Z_EN: 0
; COMPUTE_PGM_RSRC2:TIDIG_COMP_CNT: 0
	.section	.text._ZN9rocsparseL41csrgemm_numeric_fill_block_per_row_kernelILj256ELj32ELj512ELj137ELj32EiifEEvT5_PKS1_S3_NS_24const_host_device_scalarIT6_EEPKT4_S3_PKS5_S9_S3_SB_S6_S9_S3_SB_S9_S3_PS5_21rocsparse_index_base_SD_SD_SD_bbb,"axG",@progbits,_ZN9rocsparseL41csrgemm_numeric_fill_block_per_row_kernelILj256ELj32ELj512ELj137ELj32EiifEEvT5_PKS1_S3_NS_24const_host_device_scalarIT6_EEPKT4_S3_PKS5_S9_S3_SB_S6_S9_S3_SB_S9_S3_PS5_21rocsparse_index_base_SD_SD_SD_bbb,comdat
	.globl	_ZN9rocsparseL41csrgemm_numeric_fill_block_per_row_kernelILj256ELj32ELj512ELj137ELj32EiifEEvT5_PKS1_S3_NS_24const_host_device_scalarIT6_EEPKT4_S3_PKS5_S9_S3_SB_S6_S9_S3_SB_S9_S3_PS5_21rocsparse_index_base_SD_SD_SD_bbb ; -- Begin function _ZN9rocsparseL41csrgemm_numeric_fill_block_per_row_kernelILj256ELj32ELj512ELj137ELj32EiifEEvT5_PKS1_S3_NS_24const_host_device_scalarIT6_EEPKT4_S3_PKS5_S9_S3_SB_S6_S9_S3_SB_S9_S3_PS5_21rocsparse_index_base_SD_SD_SD_bbb
	.p2align	8
	.type	_ZN9rocsparseL41csrgemm_numeric_fill_block_per_row_kernelILj256ELj32ELj512ELj137ELj32EiifEEvT5_PKS1_S3_NS_24const_host_device_scalarIT6_EEPKT4_S3_PKS5_S9_S3_SB_S6_S9_S3_SB_S9_S3_PS5_21rocsparse_index_base_SD_SD_SD_bbb,@function
_ZN9rocsparseL41csrgemm_numeric_fill_block_per_row_kernelILj256ELj32ELj512ELj137ELj32EiifEEvT5_PKS1_S3_NS_24const_host_device_scalarIT6_EEPKT4_S3_PKS5_S9_S3_SB_S6_S9_S3_SB_S9_S3_PS5_21rocsparse_index_base_SD_SD_SD_bbb: ; @_ZN9rocsparseL41csrgemm_numeric_fill_block_per_row_kernelILj256ELj32ELj512ELj137ELj32EiifEEvT5_PKS1_S3_NS_24const_host_device_scalarIT6_EEPKT4_S3_PKS5_S9_S3_SB_S6_S9_S3_SB_S9_S3_PS5_21rocsparse_index_base_SD_SD_SD_bbb
; %bb.0:
	s_clause 0x2
	s_load_b32 s6, s[0:1], 0x98
	s_load_b64 s[4:5], s[0:1], 0x18
	s_load_b64 s[2:3], s[0:1], 0x50
	s_wait_kmcnt 0x0
	s_and_b32 s8, 1, s6
	s_bitcmp1_b32 s6, 16
	s_cselect_b32 s7, -1, 0
	s_cmp_eq_u32 s8, 1
	s_cselect_b32 s39, -1, 0
	s_delay_alu instid0(SALU_CYCLE_1) | instskip(SKIP_2) | instid1(SALU_CYCLE_1)
	s_and_b32 s8, s39, exec_lo
	s_cselect_b32 s37, s4, 0
	s_xor_b32 s8, s39, -1
	s_or_b32 s8, s7, s8
	s_delay_alu instid0(SALU_CYCLE_1)
	s_and_b32 vcc_lo, exec_lo, s8
	s_cbranch_vccnz .LBB4_2
; %bb.1:
	s_load_b32 s37, s[4:5], 0x0
.LBB4_2:
	s_load_b128 s[8:11], s[0:1], 0x88
	s_bitcmp1_b32 s6, 8
	s_cselect_b32 s38, -1, 0
	s_wait_xcnt 0x0
	s_and_b32 s4, s38, exec_lo
	s_cselect_b32 s36, s2, 0
	s_xor_b32 s4, s38, -1
	s_delay_alu instid0(SALU_CYCLE_1) | instskip(NEXT) | instid1(SALU_CYCLE_1)
	s_or_b32 s4, s7, s4
	s_and_b32 vcc_lo, exec_lo, s4
	s_cbranch_vccnz .LBB4_4
; %bb.3:
	s_load_b32 s36, s[2:3], 0x0
.LBB4_4:
	s_clause 0x5
	s_load_b64 s[24:25], s[0:1], 0x80
	s_load_b128 s[4:7], s[0:1], 0x60
	s_load_b128 s[12:15], s[0:1], 0x40
	s_load_b64 s[28:29], s[0:1], 0x28
	s_load_b128 s[20:23], s[0:1], 0x8
	s_load_b32 s33, s[0:1], 0x0
	s_wait_xcnt 0x0
	v_cmp_gt_u32_e64 s2, 0x200, v0
	v_or_b32_e32 v1, 0xffffff00, v0
	v_lshl_add_u32 v6, v0, 2, 0
	s_and_saveexec_b32 s3, s2
	s_cbranch_execz .LBB4_7
; %bb.5:
	v_or_b32_e32 v2, 0xffffff00, v0
	v_lshl_add_u32 v3, v0, 2, 0
	s_wait_kmcnt 0x0
	v_dual_mov_b32 v4, s33 :: v_dual_mov_b32 v5, 0
	s_mov_b32 s16, 0
.LBB4_6:                                ; =>This Inner Loop Header: Depth=1
	v_add_co_u32 v2, s17, 0x100, v2
	s_xor_b32 s17, s17, -1
	ds_store_2addr_stride64_b32 v3, v4, v5 offset1:8
	v_add_nc_u32_e32 v3, 0x400, v3
	s_and_b32 s17, exec_lo, s17
	s_delay_alu instid0(SALU_CYCLE_1) | instskip(NEXT) | instid1(SALU_CYCLE_1)
	s_or_b32 s16, s17, s16
	s_and_not1_b32 exec_lo, exec_lo, s16
	s_cbranch_execnz .LBB4_6
.LBB4_7:
	s_or_b32 exec_lo, exec_lo, s3
	s_clause 0x3
	s_load_b64 s[26:27], s[0:1], 0x70
	s_load_b64 s[30:31], s[0:1], 0x58
	;; [unrolled: 1-line block ×3, first 2 shown]
	s_load_b128 s[16:19], s[0:1], 0x30
	s_wait_dscnt 0x0
	s_barrier_signal -1
	s_barrier_wait -1
	s_wait_kmcnt 0x0
	s_load_b32 s0, s[20:21], 0x0
	s_bfe_u32 s1, ttmp6, 0x4000c
	s_and_b32 s3, ttmp6, 15
	s_add_co_i32 s1, s1, 1
	s_wait_xcnt 0x0
	s_getreg_b32 s20, hwreg(HW_REG_IB_STS2, 6, 4)
	s_mul_i32 s1, ttmp9, s1
	v_lshrrev_b32_e32 v4, 5, v0
	s_add_co_i32 s3, s3, s1
	s_cmp_eq_u32 s20, 0
	s_cselect_b32 s1, ttmp9, s3
	s_and_b32 vcc_lo, exec_lo, s39
	s_wait_kmcnt 0x0
	s_add_co_i32 s0, s0, s1
	s_load_b32 s20, s[22:23], s0 offset:0x0 scale_offset
	s_cbranch_vccz .LBB4_25
; %bb.8:
	s_wait_kmcnt 0x0
	s_ashr_i32 s21, s20, 31
	v_subrev_nc_u32_e32 v2, s8, v4
	s_lshl_b64 s[0:1], s[20:21], 2
	s_delay_alu instid0(SALU_CYCLE_1)
	s_add_nc_u64 s[0:1], s[34:35], s[0:1]
	s_load_b64 s[22:23], s[0:1], 0x0
	s_wait_xcnt 0x0
	s_mov_b32 s1, exec_lo
	s_wait_kmcnt 0x0
	v_add_nc_u32_e32 v2, s22, v2
	s_sub_co_i32 s0, s23, s8
	s_delay_alu instid0(VALU_DEP_1) | instid1(SALU_CYCLE_1)
	v_cmpx_gt_i32_e64 s0, v2
	s_cbranch_execz .LBB4_24
; %bb.9:
	v_and_b32_e32 v3, 31, v0
	s_mov_b32 s3, 0
	s_delay_alu instid0(VALU_DEP_1)
	v_subrev_nc_u32_e32 v5, s9, v3
	s_branch .LBB4_11
.LBB4_10:                               ;   in Loop: Header=BB4_11 Depth=1
	s_or_b32 exec_lo, exec_lo, s21
	v_add_nc_u32_e32 v2, 8, v2
	s_delay_alu instid0(VALU_DEP_1) | instskip(SKIP_1) | instid1(SALU_CYCLE_1)
	v_cmp_le_i32_e32 vcc_lo, s0, v2
	s_or_b32 s3, vcc_lo, s3
	s_and_not1_b32 exec_lo, exec_lo, s3
	s_cbranch_execz .LBB4_24
.LBB4_11:                               ; =>This Loop Header: Depth=1
                                        ;     Child Loop BB4_15 Depth 2
                                        ;       Child Loop BB4_18 Depth 3
	global_load_b32 v3, v2, s[28:29] scale_offset
	s_mov_b32 s21, exec_lo
	s_wait_loadcnt 0x0
	v_subrev_nc_u32_e32 v8, s8, v3
	s_delay_alu instid0(VALU_DEP_1) | instskip(NEXT) | instid1(VALU_DEP_1)
	v_ashrrev_i32_e32 v9, 31, v8
	v_lshl_add_u64 v[8:9], v[8:9], 2, s[18:19]
	global_load_b64 v[8:9], v[8:9], off
	s_wait_loadcnt 0x0
	v_subrev_nc_u32_e32 v7, s9, v9
	s_wait_xcnt 0x0
	v_add_nc_u32_e32 v8, v8, v5
	s_delay_alu instid0(VALU_DEP_1)
	v_cmpx_lt_i32_e64 v8, v7
	s_cbranch_execz .LBB4_10
; %bb.12:                               ;   in Loop: Header=BB4_11 Depth=1
	v_ashrrev_i32_e32 v3, 31, v2
	s_mov_b32 s22, 0
	s_delay_alu instid0(VALU_DEP_1)
	v_lshl_add_u64 v[10:11], v[2:3], 2, s[16:17]
	global_load_b32 v3, v[10:11], off
	s_wait_loadcnt 0x0
	v_mul_f32_e32 v3, s37, v3
	s_branch .LBB4_15
.LBB4_13:                               ;   in Loop: Header=BB4_15 Depth=2
	s_or_b32 exec_lo, exec_lo, s34
.LBB4_14:                               ;   in Loop: Header=BB4_15 Depth=2
	s_delay_alu instid0(SALU_CYCLE_1) | instskip(SKIP_3) | instid1(VALU_DEP_2)
	s_or_b32 exec_lo, exec_lo, s23
	s_wait_loadcnt 0x0
	v_dual_mul_f32 v9, v3, v9 :: v_dual_add_nc_u32 v8, 32, v8
	v_lshl_add_u32 v10, v10, 2, 0
	v_cmp_ge_i32_e32 vcc_lo, v8, v7
	ds_add_f32 v10, v9 offset:2048
	s_or_b32 s22, vcc_lo, s22
	s_delay_alu instid0(SALU_CYCLE_1)
	s_and_not1_b32 exec_lo, exec_lo, s22
	s_cbranch_execz .LBB4_10
.LBB4_15:                               ;   Parent Loop BB4_11 Depth=1
                                        ; =>  This Loop Header: Depth=2
                                        ;       Child Loop BB4_18 Depth 3
	s_clause 0x1
	global_load_b32 v10, v8, s[12:13] scale_offset
	global_load_b32 v9, v8, s[14:15] scale_offset
	s_mov_b32 s23, exec_lo
	s_wait_loadcnt 0x1
	v_subrev_nc_u32_e32 v11, s9, v10
	s_delay_alu instid0(VALU_DEP_1) | instskip(NEXT) | instid1(VALU_DEP_1)
	v_mul_lo_u32 v10, 0x89, v11
	v_and_b32_e32 v10, 0x1ff, v10
	s_delay_alu instid0(VALU_DEP_1)
	v_lshl_add_u32 v12, v10, 2, 0
	ds_load_b32 v13, v12
	s_wait_dscnt 0x0
	s_wait_xcnt 0x0
	v_cmpx_ne_u32_e64 v13, v11
	s_cbranch_execz .LBB4_14
; %bb.16:                               ;   in Loop: Header=BB4_15 Depth=2
	s_mov_b32 s34, 0
	s_branch .LBB4_18
.LBB4_17:                               ;   in Loop: Header=BB4_18 Depth=3
	s_or_b32 exec_lo, exec_lo, s40
	s_delay_alu instid0(SALU_CYCLE_1) | instskip(NEXT) | instid1(SALU_CYCLE_1)
	s_and_b32 s35, exec_lo, s39
	s_or_b32 s34, s35, s34
	s_delay_alu instid0(SALU_CYCLE_1)
	s_and_not1_b32 exec_lo, exec_lo, s34
	s_cbranch_execz .LBB4_13
.LBB4_18:                               ;   Parent Loop BB4_11 Depth=1
                                        ;     Parent Loop BB4_15 Depth=2
                                        ; =>    This Inner Loop Header: Depth=3
	s_mov_b32 s35, 0
	s_mov_b32 s39, exec_lo
	v_cmpx_ne_u32_e64 s33, v13
	s_xor_b32 s39, exec_lo, s39
	s_cbranch_execz .LBB4_20
; %bb.19:                               ;   in Loop: Header=BB4_18 Depth=3
	v_add_nc_u32_e32 v10, 1, v10
	s_mov_b32 s35, exec_lo
                                        ; implicit-def: $vgpr12
	s_delay_alu instid0(VALU_DEP_1)
	v_and_b32_e32 v10, 0x1ff, v10
	s_and_not1_saveexec_b32 s39, s39
	s_cbranch_execz .LBB4_22
	s_branch .LBB4_21
.LBB4_20:                               ;   in Loop: Header=BB4_18 Depth=3
	s_and_not1_saveexec_b32 s39, s39
	s_cbranch_execz .LBB4_22
.LBB4_21:                               ;   in Loop: Header=BB4_18 Depth=3
	v_mov_b32_e32 v13, s33
	s_and_not1_b32 s35, s35, exec_lo
	ds_cmpstore_rtn_b32 v12, v12, v11, v13
	s_wait_dscnt 0x0
	v_cmp_ne_u32_e32 vcc_lo, s33, v12
	s_and_b32 s40, vcc_lo, exec_lo
	s_delay_alu instid0(SALU_CYCLE_1)
	s_or_b32 s35, s35, s40
.LBB4_22:                               ;   in Loop: Header=BB4_18 Depth=3
	s_or_b32 exec_lo, exec_lo, s39
	s_mov_b32 s39, -1
                                        ; implicit-def: $vgpr12
                                        ; implicit-def: $vgpr13
	s_and_saveexec_b32 s40, s35
	s_cbranch_execz .LBB4_17
; %bb.23:                               ;   in Loop: Header=BB4_18 Depth=3
	v_lshl_add_u32 v12, v10, 2, 0
	ds_load_b32 v13, v12
	s_wait_dscnt 0x0
	v_cmp_eq_u32_e32 vcc_lo, v13, v11
	s_or_not1_b32 s39, vcc_lo, exec_lo
	s_branch .LBB4_17
.LBB4_24:
	s_or_b32 exec_lo, exec_lo, s1
.LBB4_25:
	s_delay_alu instid0(SALU_CYCLE_1)
	s_and_not1_b32 vcc_lo, exec_lo, s38
	s_cbranch_vccnz .LBB4_40
; %bb.26:
	s_wait_kmcnt 0x0
	s_ashr_i32 s21, s20, 31
	v_subrev_nc_u32_e32 v2, s11, v0
	s_lshl_b64 s[0:1], s[20:21], 2
	s_delay_alu instid0(SALU_CYCLE_1)
	s_add_nc_u64 s[0:1], s[30:31], s[0:1]
	s_load_b64 s[8:9], s[0:1], 0x0
	s_wait_xcnt 0x0
	s_mov_b32 s1, exec_lo
	s_wait_kmcnt 0x0
	v_add_nc_u32_e32 v2, s8, v2
	s_sub_co_i32 s0, s9, s11
	s_delay_alu instid0(VALU_DEP_1) | instid1(SALU_CYCLE_1)
	v_cmpx_gt_i32_e64 s0, v2
	s_cbranch_execz .LBB4_39
; %bb.27:
	s_mov_b32 s3, 0
	s_branch .LBB4_30
.LBB4_28:                               ;   in Loop: Header=BB4_30 Depth=1
	s_or_b32 exec_lo, exec_lo, s9
.LBB4_29:                               ;   in Loop: Header=BB4_30 Depth=1
	s_delay_alu instid0(SALU_CYCLE_1) | instskip(SKIP_3) | instid1(VALU_DEP_2)
	s_or_b32 exec_lo, exec_lo, s8
	s_wait_loadcnt 0x0
	v_dual_mul_f32 v3, s36, v3 :: v_dual_add_nc_u32 v2, 0x100, v2
	v_lshl_add_u32 v5, v5, 2, 0
	v_cmp_le_i32_e32 vcc_lo, s0, v2
	ds_add_f32 v5, v3 offset:2048
	s_or_b32 s3, vcc_lo, s3
	s_delay_alu instid0(SALU_CYCLE_1)
	s_and_not1_b32 exec_lo, exec_lo, s3
	s_cbranch_execz .LBB4_39
.LBB4_30:                               ; =>This Loop Header: Depth=1
                                        ;     Child Loop BB4_33 Depth 2
	s_clause 0x1
	global_load_b32 v5, v2, s[4:5] scale_offset
	global_load_b32 v3, v2, s[6:7] scale_offset
	s_mov_b32 s8, exec_lo
	s_wait_loadcnt 0x1
	v_subrev_nc_u32_e32 v7, s11, v5
	s_delay_alu instid0(VALU_DEP_1) | instskip(NEXT) | instid1(VALU_DEP_1)
	v_mul_lo_u32 v5, 0x89, v7
	v_and_b32_e32 v5, 0x1ff, v5
	s_delay_alu instid0(VALU_DEP_1)
	v_lshl_add_u32 v8, v5, 2, 0
	ds_load_b32 v9, v8
	s_wait_dscnt 0x0
	s_wait_xcnt 0x0
	v_cmpx_ne_u32_e64 v9, v7
	s_cbranch_execz .LBB4_29
; %bb.31:                               ;   in Loop: Header=BB4_30 Depth=1
	s_mov_b32 s9, 0
	s_branch .LBB4_33
.LBB4_32:                               ;   in Loop: Header=BB4_33 Depth=2
	s_or_b32 exec_lo, exec_lo, s14
	s_delay_alu instid0(SALU_CYCLE_1) | instskip(NEXT) | instid1(SALU_CYCLE_1)
	s_and_b32 s12, exec_lo, s13
	s_or_b32 s9, s12, s9
	s_delay_alu instid0(SALU_CYCLE_1)
	s_and_not1_b32 exec_lo, exec_lo, s9
	s_cbranch_execz .LBB4_28
.LBB4_33:                               ;   Parent Loop BB4_30 Depth=1
                                        ; =>  This Inner Loop Header: Depth=2
	s_mov_b32 s12, 0
	s_mov_b32 s13, exec_lo
	v_cmpx_ne_u32_e64 s33, v9
	s_xor_b32 s13, exec_lo, s13
	s_cbranch_execz .LBB4_35
; %bb.34:                               ;   in Loop: Header=BB4_33 Depth=2
	v_add_nc_u32_e32 v5, 1, v5
	s_mov_b32 s12, exec_lo
                                        ; implicit-def: $vgpr8
	s_delay_alu instid0(VALU_DEP_1)
	v_and_b32_e32 v5, 0x1ff, v5
	s_and_not1_saveexec_b32 s13, s13
	s_cbranch_execz .LBB4_37
	s_branch .LBB4_36
.LBB4_35:                               ;   in Loop: Header=BB4_33 Depth=2
	s_and_not1_saveexec_b32 s13, s13
	s_cbranch_execz .LBB4_37
.LBB4_36:                               ;   in Loop: Header=BB4_33 Depth=2
	v_mov_b32_e32 v9, s33
	s_and_not1_b32 s12, s12, exec_lo
	ds_cmpstore_rtn_b32 v8, v8, v7, v9
	s_wait_dscnt 0x0
	v_cmp_ne_u32_e32 vcc_lo, s33, v8
	s_and_b32 s14, vcc_lo, exec_lo
	s_delay_alu instid0(SALU_CYCLE_1)
	s_or_b32 s12, s12, s14
.LBB4_37:                               ;   in Loop: Header=BB4_33 Depth=2
	s_or_b32 exec_lo, exec_lo, s13
	s_mov_b32 s13, -1
                                        ; implicit-def: $vgpr8
                                        ; implicit-def: $vgpr9
	s_and_saveexec_b32 s14, s12
	s_cbranch_execz .LBB4_32
; %bb.38:                               ;   in Loop: Header=BB4_33 Depth=2
	v_lshl_add_u32 v8, v5, 2, 0
	ds_load_b32 v9, v8
	s_wait_dscnt 0x0
	v_cmp_eq_u32_e32 vcc_lo, v9, v7
	s_or_not1_b32 s13, vcc_lo, exec_lo
	s_branch .LBB4_32
.LBB4_39:
	s_or_b32 exec_lo, exec_lo, s1
.LBB4_40:
	s_wait_dscnt 0x0
	s_barrier_signal -1
	s_barrier_wait -1
	s_and_saveexec_b32 s8, s2
	s_cbranch_execz .LBB4_61
; %bb.41:
	v_mbcnt_lo_u32_b32 v2, -1, 0
	v_mov_b32_e32 v3, 0
	v_lshl_add_u32 v7, v4, 2, 0
	s_wait_xcnt 0x0
	v_cmp_lt_u32_e64 s0, 31, v0
	v_cmp_lt_u32_e64 s1, 63, v0
	v_xor_b32_e32 v2, 31, v2
	v_cmp_lt_u32_e64 s2, 0x5f, v0
	v_cmp_lt_u32_e64 s3, 0x7f, v0
	;; [unrolled: 1-line block ×4, first 2 shown]
	v_lshrrev_b32_e64 v2, v2, -1
	v_cmp_lt_u32_e64 s6, 0xdf, v0
	v_mov_b32_e32 v8, 0
	s_mov_b32 s9, 0
	v_cmp_eq_u32_e32 vcc_lo, 0xff, v0
	s_branch .LBB4_43
.LBB4_42:                               ;   in Loop: Header=BB4_43 Depth=1
	s_or_b32 exec_lo, exec_lo, s7
	s_wait_dscnt 0x0
	s_barrier_signal -1
	s_barrier_wait -1
	ds_load_b32 v4, v3 offset:4124
	v_add_co_u32 v1, s7, 0x100, v1
	s_xor_b32 s7, s7, -1
	v_add_nc_u32_e32 v6, 0x400, v6
	s_and_b32 s7, exec_lo, s7
	s_delay_alu instid0(SALU_CYCLE_1)
	s_or_b32 s9, s7, s9
	s_wait_dscnt 0x0
	v_add_nc_u32_e32 v8, v4, v8
	s_and_not1_b32 exec_lo, exec_lo, s9
	s_cbranch_execz .LBB4_61
.LBB4_43:                               ; =>This Inner Loop Header: Depth=1
	ds_load_2addr_stride64_b32 v[4:5], v6 offset1:8
	s_wait_dscnt 0x0
	s_barrier_signal -1
	s_barrier_wait -1
	v_cmp_gt_i32_e64 s7, s33, v4
	s_bcnt1_i32_b32 s11, s7
	s_delay_alu instid0(SALU_CYCLE_1) | instskip(NEXT) | instid1(VALU_DEP_1)
	v_dual_mov_b32 v10, s11 :: v_dual_bitop2_b32 v9, s7, v2 bitop3:0x40
	v_bcnt_u32_b32 v9, v9, 0
	ds_store_b32 v7, v10 offset:4096
	s_wait_dscnt 0x0
	s_barrier_signal -1
	s_barrier_wait -1
	s_and_saveexec_b32 s11, s0
	s_cbranch_execz .LBB4_52
; %bb.44:                               ;   in Loop: Header=BB4_43 Depth=1
	ds_load_b32 v10, v3 offset:4096
	s_wait_dscnt 0x0
	v_add_nc_u32_e32 v9, v10, v9
	s_or_b32 exec_lo, exec_lo, s11
	s_and_saveexec_b32 s11, s1
	s_cbranch_execnz .LBB4_53
.LBB4_45:                               ;   in Loop: Header=BB4_43 Depth=1
	s_or_b32 exec_lo, exec_lo, s11
	s_and_saveexec_b32 s11, s2
	s_cbranch_execz .LBB4_54
.LBB4_46:                               ;   in Loop: Header=BB4_43 Depth=1
	ds_load_b32 v10, v3 offset:4104
	s_wait_dscnt 0x0
	v_add_nc_u32_e32 v9, v10, v9
	s_or_b32 exec_lo, exec_lo, s11
	s_and_saveexec_b32 s11, s3
	s_cbranch_execnz .LBB4_55
.LBB4_47:                               ;   in Loop: Header=BB4_43 Depth=1
	s_or_b32 exec_lo, exec_lo, s11
	s_and_saveexec_b32 s11, s4
	s_cbranch_execz .LBB4_56
.LBB4_48:                               ;   in Loop: Header=BB4_43 Depth=1
	ds_load_b32 v10, v3 offset:4112
	s_wait_dscnt 0x0
	v_add_nc_u32_e32 v9, v10, v9
	s_or_b32 exec_lo, exec_lo, s11
	s_and_saveexec_b32 s11, s5
	s_cbranch_execnz .LBB4_57
.LBB4_49:                               ;   in Loop: Header=BB4_43 Depth=1
	s_or_b32 exec_lo, exec_lo, s11
	s_and_saveexec_b32 s11, s6
	s_cbranch_execz .LBB4_58
.LBB4_50:                               ;   in Loop: Header=BB4_43 Depth=1
	ds_load_b32 v10, v3 offset:4120
	s_wait_dscnt 0x0
	v_add_nc_u32_e32 v9, v10, v9
	s_or_b32 exec_lo, exec_lo, s11
	s_and_saveexec_b32 s11, s7
	s_cbranch_execnz .LBB4_59
.LBB4_51:                               ;   in Loop: Header=BB4_43 Depth=1
	s_or_b32 exec_lo, exec_lo, s11
	s_and_saveexec_b32 s7, vcc_lo
	s_cbranch_execz .LBB4_42
	s_branch .LBB4_60
.LBB4_52:                               ;   in Loop: Header=BB4_43 Depth=1
	s_or_b32 exec_lo, exec_lo, s11
	s_and_saveexec_b32 s11, s1
	s_cbranch_execz .LBB4_45
.LBB4_53:                               ;   in Loop: Header=BB4_43 Depth=1
	ds_load_b32 v10, v3 offset:4100
	s_wait_dscnt 0x0
	v_add_nc_u32_e32 v9, v10, v9
	s_or_b32 exec_lo, exec_lo, s11
	s_and_saveexec_b32 s11, s2
	s_cbranch_execnz .LBB4_46
.LBB4_54:                               ;   in Loop: Header=BB4_43 Depth=1
	s_or_b32 exec_lo, exec_lo, s11
	s_and_saveexec_b32 s11, s3
	s_cbranch_execz .LBB4_47
.LBB4_55:                               ;   in Loop: Header=BB4_43 Depth=1
	ds_load_b32 v10, v3 offset:4108
	s_wait_dscnt 0x0
	v_add_nc_u32_e32 v9, v10, v9
	s_or_b32 exec_lo, exec_lo, s11
	s_and_saveexec_b32 s11, s4
	s_cbranch_execnz .LBB4_48
.LBB4_56:                               ;   in Loop: Header=BB4_43 Depth=1
	s_or_b32 exec_lo, exec_lo, s11
	s_and_saveexec_b32 s11, s5
	s_cbranch_execz .LBB4_49
.LBB4_57:                               ;   in Loop: Header=BB4_43 Depth=1
	ds_load_b32 v10, v3 offset:4116
	s_wait_dscnt 0x0
	v_add_nc_u32_e32 v9, v10, v9
	s_or_b32 exec_lo, exec_lo, s11
	s_and_saveexec_b32 s11, s6
	s_cbranch_execnz .LBB4_50
.LBB4_58:                               ;   in Loop: Header=BB4_43 Depth=1
	s_or_b32 exec_lo, exec_lo, s11
	s_and_saveexec_b32 s11, s7
	s_cbranch_execz .LBB4_51
.LBB4_59:                               ;   in Loop: Header=BB4_43 Depth=1
	s_delay_alu instid0(VALU_DEP_1) | instskip(SKIP_1) | instid1(VALU_DEP_2)
	v_add3_u32 v10, v8, -1, v9
	v_add_nc_u32_e32 v11, v8, v9
	v_lshl_add_u32 v10, v10, 2, 0
	s_delay_alu instid0(VALU_DEP_2)
	v_lshl_add_u32 v11, v11, 2, 0
	ds_store_b32 v10, v4
	ds_store_b32 v11, v5 offset:2044
	s_or_b32 exec_lo, exec_lo, s11
	s_and_saveexec_b32 s7, vcc_lo
	s_cbranch_execz .LBB4_42
.LBB4_60:                               ;   in Loop: Header=BB4_43 Depth=1
	ds_store_b32 v3, v9 offset:4124
	s_branch .LBB4_42
.LBB4_61:
	s_or_b32 exec_lo, exec_lo, s8
	s_wait_kmcnt 0x0
	s_ashr_i32 s21, s20, 31
	s_delay_alu instid0(SALU_CYCLE_1) | instskip(NEXT) | instid1(SALU_CYCLE_1)
	s_lshl_b64 s[0:1], s[20:21], 2
	s_add_nc_u64 s[2:3], s[26:27], s[0:1]
	s_load_b64 s[0:1], s[2:3], 0x0
	s_wait_kmcnt 0x0
	s_sub_co_i32 s4, s1, s0
	s_mov_b32 s1, exec_lo
	v_cmpx_gt_i32_e64 s4, v0
	s_cbranch_execz .LBB4_75
; %bb.62:
	v_sub_co_u32 v1, s1, s4, 2
	s_sub_co_i32 s2, s0, s10
	s_xor_b32 s6, s1, -1
	s_and_b32 s5, s4, -2
	v_readfirstlane_b32 s3, v1
	s_lshr_b32 s0, s3, 1
	s_mov_b32 s3, 0
	s_add_co_i32 s0, s0, 1
	s_mov_b32 s11, s3
	s_and_b32 s1, s0, 7
	s_and_b32 s7, s0, -8
	s_cmp_lg_u32 s1, 0
	v_cmp_lt_u32_e64 s0, 13, v1
	s_cselect_b32 s8, -1, 0
	s_cmp_lg_u32 s4, s5
	s_cselect_b32 s9, -1, 0
	s_lshl_b32 s10, s1, 3
	s_branch .LBB4_64
.LBB4_63:                               ;   in Loop: Header=BB4_64 Depth=1
	v_add_nc_u32_e32 v0, 0x100, v0
	s_wait_dscnt 0x0
	global_store_b32 v1, v3, s[24:25] scale_offset
	v_cmp_le_i32_e32 vcc_lo, s4, v0
	s_or_b32 s11, vcc_lo, s11
	s_wait_xcnt 0x0
	s_and_not1_b32 exec_lo, exec_lo, s11
	s_cbranch_execz .LBB4_75
.LBB4_64:                               ; =>This Loop Header: Depth=1
                                        ;     Child Loop BB4_67 Depth 2
                                        ;     Child Loop BB4_70 Depth 2
	;; [unrolled: 1-line block ×3, first 2 shown]
	v_lshl_add_u32 v1, v0, 2, 0
	s_and_not1_b32 vcc_lo, exec_lo, s6
	s_mov_b32 s1, 0
	s_mov_b32 s12, -1
	ds_load_2addr_stride64_b32 v[2:3], v1 offset1:8
	v_mov_b32_e32 v1, s2
	s_cbranch_vccnz .LBB4_72
; %bb.65:                               ;   in Loop: Header=BB4_64 Depth=1
	v_mov_b64_e32 v[4:5], s[2:3]
	s_and_not1_b32 vcc_lo, exec_lo, s0
	s_mov_b32 s12, 0
	s_cbranch_vccnz .LBB4_68
; %bb.66:                               ;   in Loop: Header=BB4_64 Depth=1
	v_dual_mov_b32 v4, s2 :: v_dual_mov_b32 v5, 0
	s_mov_b32 s13, 0
	s_mov_b32 s14, s7
.LBB4_67:                               ;   Parent Loop BB4_64 Depth=1
                                        ; =>  This Inner Loop Header: Depth=2
	v_mov_b32_e32 v1, s13
	s_add_co_i32 s14, s14, -8
	s_add_co_i32 s12, s12, 16
	s_add_co_i32 s13, s13, 64
	s_cmp_lg_u32 s14, 0
	ds_load_2addr_b32 v[6:7], v1 offset1:1
	ds_load_2addr_b32 v[8:9], v1 offset0:2 offset1:3
	ds_load_2addr_b32 v[10:11], v1 offset0:4 offset1:5
	;; [unrolled: 1-line block ×7, first 2 shown]
	s_wait_dscnt 0x7
	v_cmp_gt_i32_e32 vcc_lo, v2, v7
	s_wait_dscnt 0x5
	v_cmp_gt_i32_e64 s1, v2, v10
	v_cndmask_b32_e64 v1, 0, 1, vcc_lo
	v_cmp_gt_i32_e32 vcc_lo, v2, v6
	s_delay_alu instid0(VALU_DEP_3) | instskip(SKIP_3) | instid1(VALU_DEP_3)
	v_cndmask_b32_e64 v7, 0, 1, s1
	v_cmp_gt_i32_e64 s1, v2, v11
	v_cndmask_b32_e64 v6, 0, 1, vcc_lo
	v_cmp_gt_i32_e32 vcc_lo, v2, v8
	v_cndmask_b32_e64 v8, 0, 1, s1
	s_wait_dscnt 0x4
	v_cmp_gt_i32_e64 s1, v2, v13
	v_add_co_ci_u32_e64 v4, null, v4, v6, vcc_lo
	s_delay_alu instid0(VALU_DEP_2) | instskip(SKIP_3) | instid1(VALU_DEP_2)
	v_cndmask_b32_e64 v10, 0, 1, s1
	v_cmp_gt_i32_e64 s1, v2, v12
	s_wait_dscnt 0x2
	v_cmp_gt_i32_e32 vcc_lo, v2, v16
	v_cndmask_b32_e64 v11, 0, 1, s1
	v_cmp_gt_i32_e64 s1, v2, v14
	v_add_co_ci_u32_e64 v4, null, v4, v7, vcc_lo
	s_wait_dscnt 0x1
	v_cmp_gt_i32_e32 vcc_lo, v2, v18
	s_delay_alu instid0(VALU_DEP_3) | instskip(SKIP_4) | instid1(VALU_DEP_3)
	v_cndmask_b32_e64 v12, 0, 1, s1
	v_cmp_gt_i32_e64 s1, v2, v15
	v_add_co_ci_u32_e64 v4, null, v4, v11, vcc_lo
	s_wait_dscnt 0x0
	v_cmp_gt_i32_e32 vcc_lo, v2, v20
	v_cndmask_b32_e64 v13, 0, 1, s1
	v_cmp_gt_i32_e64 s1, v2, v9
	v_add_co_ci_u32_e64 v4, null, v4, v12, vcc_lo
	s_delay_alu instid0(VALU_DEP_2) | instskip(SKIP_1) | instid1(VALU_DEP_1)
	v_add_co_ci_u32_e64 v1, null, v5, v1, s1
	v_cmp_gt_i32_e64 s1, v2, v17
	v_add_co_ci_u32_e64 v1, null, v1, v8, s1
	v_cmp_gt_i32_e64 s1, v2, v19
	s_delay_alu instid0(VALU_DEP_1) | instskip(SKIP_1) | instid1(VALU_DEP_1)
	v_add_co_ci_u32_e64 v1, null, v1, v10, s1
	v_cmp_gt_i32_e64 s1, v2, v21
	v_add_co_ci_u32_e64 v5, null, v1, v13, s1
	s_cbranch_scc1 .LBB4_67
.LBB4_68:                               ;   in Loop: Header=BB4_64 Depth=1
	s_and_not1_b32 vcc_lo, exec_lo, s8
	s_cbranch_vccnz .LBB4_71
; %bb.69:                               ;   in Loop: Header=BB4_64 Depth=1
	s_lshl_b32 s1, s12, 2
	s_mov_b32 s12, s10
	s_add_co_i32 s1, s1, 0
.LBB4_70:                               ;   Parent Loop BB4_64 Depth=1
                                        ; =>  This Inner Loop Header: Depth=2
	s_delay_alu instid0(SALU_CYCLE_1)
	v_mov_b32_e32 v1, s1
	s_add_co_i32 s12, s12, -8
	s_add_co_i32 s1, s1, 8
	s_cmp_lg_u32 s12, 0
	ds_load_2addr_b32 v[6:7], v1 offset1:1
	s_wait_dscnt 0x0
	v_cmp_gt_i32_e32 vcc_lo, v2, v7
	v_add_co_ci_u32_e64 v5, null, 0, v5, vcc_lo
	v_cmp_gt_i32_e32 vcc_lo, v2, v6
	v_add_co_ci_u32_e64 v4, null, 0, v4, vcc_lo
	s_cbranch_scc1 .LBB4_70
.LBB4_71:                               ;   in Loop: Header=BB4_64 Depth=1
	s_delay_alu instid0(VALU_DEP_1)
	v_add_nc_u32_e32 v1, v4, v5
	s_mov_b32 s1, s5
	s_mov_b32 s12, s9
.LBB4_72:                               ;   in Loop: Header=BB4_64 Depth=1
	s_delay_alu instid0(SALU_CYCLE_1)
	s_and_b32 vcc_lo, exec_lo, s12
	s_cbranch_vccz .LBB4_63
; %bb.73:                               ;   in Loop: Header=BB4_64 Depth=1
	s_lshl_b32 s12, s1, 2
	s_delay_alu instid0(SALU_CYCLE_1)
	s_add_co_i32 s12, s12, 0
.LBB4_74:                               ;   Parent Loop BB4_64 Depth=1
                                        ; =>  This Inner Loop Header: Depth=2
	s_delay_alu instid0(SALU_CYCLE_1)
	v_mov_b32_e32 v4, s12
	s_add_co_i32 s1, s1, 1
	s_add_co_i32 s12, s12, 4
	s_cmp_ge_i32 s1, s4
	ds_load_b32 v4, v4
	s_wait_dscnt 0x0
	v_cmp_gt_i32_e32 vcc_lo, v2, v4
	v_add_co_ci_u32_e64 v1, null, 0, v1, vcc_lo
	s_cbranch_scc0 .LBB4_74
	s_branch .LBB4_63
.LBB4_75:
	s_endpgm
	.section	.rodata,"a",@progbits
	.p2align	6, 0x0
	.amdhsa_kernel _ZN9rocsparseL41csrgemm_numeric_fill_block_per_row_kernelILj256ELj32ELj512ELj137ELj32EiifEEvT5_PKS1_S3_NS_24const_host_device_scalarIT6_EEPKT4_S3_PKS5_S9_S3_SB_S6_S9_S3_SB_S9_S3_PS5_21rocsparse_index_base_SD_SD_SD_bbb
		.amdhsa_group_segment_fixed_size 0
		.amdhsa_private_segment_fixed_size 0
		.amdhsa_kernarg_size 156
		.amdhsa_user_sgpr_count 2
		.amdhsa_user_sgpr_dispatch_ptr 0
		.amdhsa_user_sgpr_queue_ptr 0
		.amdhsa_user_sgpr_kernarg_segment_ptr 1
		.amdhsa_user_sgpr_dispatch_id 0
		.amdhsa_user_sgpr_kernarg_preload_length 0
		.amdhsa_user_sgpr_kernarg_preload_offset 0
		.amdhsa_user_sgpr_private_segment_size 0
		.amdhsa_wavefront_size32 1
		.amdhsa_uses_dynamic_stack 0
		.amdhsa_enable_private_segment 0
		.amdhsa_system_sgpr_workgroup_id_x 1
		.amdhsa_system_sgpr_workgroup_id_y 0
		.amdhsa_system_sgpr_workgroup_id_z 0
		.amdhsa_system_sgpr_workgroup_info 0
		.amdhsa_system_vgpr_workitem_id 0
		.amdhsa_next_free_vgpr 22
		.amdhsa_next_free_sgpr 41
		.amdhsa_named_barrier_count 0
		.amdhsa_reserve_vcc 1
		.amdhsa_float_round_mode_32 0
		.amdhsa_float_round_mode_16_64 0
		.amdhsa_float_denorm_mode_32 3
		.amdhsa_float_denorm_mode_16_64 3
		.amdhsa_fp16_overflow 0
		.amdhsa_memory_ordered 1
		.amdhsa_forward_progress 1
		.amdhsa_inst_pref_size 24
		.amdhsa_round_robin_scheduling 0
		.amdhsa_exception_fp_ieee_invalid_op 0
		.amdhsa_exception_fp_denorm_src 0
		.amdhsa_exception_fp_ieee_div_zero 0
		.amdhsa_exception_fp_ieee_overflow 0
		.amdhsa_exception_fp_ieee_underflow 0
		.amdhsa_exception_fp_ieee_inexact 0
		.amdhsa_exception_int_div_zero 0
	.end_amdhsa_kernel
	.section	.text._ZN9rocsparseL41csrgemm_numeric_fill_block_per_row_kernelILj256ELj32ELj512ELj137ELj32EiifEEvT5_PKS1_S3_NS_24const_host_device_scalarIT6_EEPKT4_S3_PKS5_S9_S3_SB_S6_S9_S3_SB_S9_S3_PS5_21rocsparse_index_base_SD_SD_SD_bbb,"axG",@progbits,_ZN9rocsparseL41csrgemm_numeric_fill_block_per_row_kernelILj256ELj32ELj512ELj137ELj32EiifEEvT5_PKS1_S3_NS_24const_host_device_scalarIT6_EEPKT4_S3_PKS5_S9_S3_SB_S6_S9_S3_SB_S9_S3_PS5_21rocsparse_index_base_SD_SD_SD_bbb,comdat
.Lfunc_end4:
	.size	_ZN9rocsparseL41csrgemm_numeric_fill_block_per_row_kernelILj256ELj32ELj512ELj137ELj32EiifEEvT5_PKS1_S3_NS_24const_host_device_scalarIT6_EEPKT4_S3_PKS5_S9_S3_SB_S6_S9_S3_SB_S9_S3_PS5_21rocsparse_index_base_SD_SD_SD_bbb, .Lfunc_end4-_ZN9rocsparseL41csrgemm_numeric_fill_block_per_row_kernelILj256ELj32ELj512ELj137ELj32EiifEEvT5_PKS1_S3_NS_24const_host_device_scalarIT6_EEPKT4_S3_PKS5_S9_S3_SB_S6_S9_S3_SB_S9_S3_PS5_21rocsparse_index_base_SD_SD_SD_bbb
                                        ; -- End function
	.set _ZN9rocsparseL41csrgemm_numeric_fill_block_per_row_kernelILj256ELj32ELj512ELj137ELj32EiifEEvT5_PKS1_S3_NS_24const_host_device_scalarIT6_EEPKT4_S3_PKS5_S9_S3_SB_S6_S9_S3_SB_S9_S3_PS5_21rocsparse_index_base_SD_SD_SD_bbb.num_vgpr, 22
	.set _ZN9rocsparseL41csrgemm_numeric_fill_block_per_row_kernelILj256ELj32ELj512ELj137ELj32EiifEEvT5_PKS1_S3_NS_24const_host_device_scalarIT6_EEPKT4_S3_PKS5_S9_S3_SB_S6_S9_S3_SB_S9_S3_PS5_21rocsparse_index_base_SD_SD_SD_bbb.num_agpr, 0
	.set _ZN9rocsparseL41csrgemm_numeric_fill_block_per_row_kernelILj256ELj32ELj512ELj137ELj32EiifEEvT5_PKS1_S3_NS_24const_host_device_scalarIT6_EEPKT4_S3_PKS5_S9_S3_SB_S6_S9_S3_SB_S9_S3_PS5_21rocsparse_index_base_SD_SD_SD_bbb.numbered_sgpr, 41
	.set _ZN9rocsparseL41csrgemm_numeric_fill_block_per_row_kernelILj256ELj32ELj512ELj137ELj32EiifEEvT5_PKS1_S3_NS_24const_host_device_scalarIT6_EEPKT4_S3_PKS5_S9_S3_SB_S6_S9_S3_SB_S9_S3_PS5_21rocsparse_index_base_SD_SD_SD_bbb.num_named_barrier, 0
	.set _ZN9rocsparseL41csrgemm_numeric_fill_block_per_row_kernelILj256ELj32ELj512ELj137ELj32EiifEEvT5_PKS1_S3_NS_24const_host_device_scalarIT6_EEPKT4_S3_PKS5_S9_S3_SB_S6_S9_S3_SB_S9_S3_PS5_21rocsparse_index_base_SD_SD_SD_bbb.private_seg_size, 0
	.set _ZN9rocsparseL41csrgemm_numeric_fill_block_per_row_kernelILj256ELj32ELj512ELj137ELj32EiifEEvT5_PKS1_S3_NS_24const_host_device_scalarIT6_EEPKT4_S3_PKS5_S9_S3_SB_S6_S9_S3_SB_S9_S3_PS5_21rocsparse_index_base_SD_SD_SD_bbb.uses_vcc, 1
	.set _ZN9rocsparseL41csrgemm_numeric_fill_block_per_row_kernelILj256ELj32ELj512ELj137ELj32EiifEEvT5_PKS1_S3_NS_24const_host_device_scalarIT6_EEPKT4_S3_PKS5_S9_S3_SB_S6_S9_S3_SB_S9_S3_PS5_21rocsparse_index_base_SD_SD_SD_bbb.uses_flat_scratch, 0
	.set _ZN9rocsparseL41csrgemm_numeric_fill_block_per_row_kernelILj256ELj32ELj512ELj137ELj32EiifEEvT5_PKS1_S3_NS_24const_host_device_scalarIT6_EEPKT4_S3_PKS5_S9_S3_SB_S6_S9_S3_SB_S9_S3_PS5_21rocsparse_index_base_SD_SD_SD_bbb.has_dyn_sized_stack, 0
	.set _ZN9rocsparseL41csrgemm_numeric_fill_block_per_row_kernelILj256ELj32ELj512ELj137ELj32EiifEEvT5_PKS1_S3_NS_24const_host_device_scalarIT6_EEPKT4_S3_PKS5_S9_S3_SB_S6_S9_S3_SB_S9_S3_PS5_21rocsparse_index_base_SD_SD_SD_bbb.has_recursion, 0
	.set _ZN9rocsparseL41csrgemm_numeric_fill_block_per_row_kernelILj256ELj32ELj512ELj137ELj32EiifEEvT5_PKS1_S3_NS_24const_host_device_scalarIT6_EEPKT4_S3_PKS5_S9_S3_SB_S6_S9_S3_SB_S9_S3_PS5_21rocsparse_index_base_SD_SD_SD_bbb.has_indirect_call, 0
	.section	.AMDGPU.csdata,"",@progbits
; Kernel info:
; codeLenInByte = 2968
; TotalNumSgprs: 43
; NumVgprs: 22
; ScratchSize: 0
; MemoryBound: 0
; FloatMode: 240
; IeeeMode: 1
; LDSByteSize: 0 bytes/workgroup (compile time only)
; SGPRBlocks: 0
; VGPRBlocks: 1
; NumSGPRsForWavesPerEU: 43
; NumVGPRsForWavesPerEU: 22
; NamedBarCnt: 0
; Occupancy: 16
; WaveLimiterHint : 1
; COMPUTE_PGM_RSRC2:SCRATCH_EN: 0
; COMPUTE_PGM_RSRC2:USER_SGPR: 2
; COMPUTE_PGM_RSRC2:TRAP_HANDLER: 0
; COMPUTE_PGM_RSRC2:TGID_X_EN: 1
; COMPUTE_PGM_RSRC2:TGID_Y_EN: 0
; COMPUTE_PGM_RSRC2:TGID_Z_EN: 0
; COMPUTE_PGM_RSRC2:TIDIG_COMP_CNT: 0
	.section	.text._ZN9rocsparseL41csrgemm_numeric_fill_block_per_row_kernelILj256ELj32ELj512ELj137ELj64EiifEEvT5_PKS1_S3_NS_24const_host_device_scalarIT6_EEPKT4_S3_PKS5_S9_S3_SB_S6_S9_S3_SB_S9_S3_PS5_21rocsparse_index_base_SD_SD_SD_bbb,"axG",@progbits,_ZN9rocsparseL41csrgemm_numeric_fill_block_per_row_kernelILj256ELj32ELj512ELj137ELj64EiifEEvT5_PKS1_S3_NS_24const_host_device_scalarIT6_EEPKT4_S3_PKS5_S9_S3_SB_S6_S9_S3_SB_S9_S3_PS5_21rocsparse_index_base_SD_SD_SD_bbb,comdat
	.globl	_ZN9rocsparseL41csrgemm_numeric_fill_block_per_row_kernelILj256ELj32ELj512ELj137ELj64EiifEEvT5_PKS1_S3_NS_24const_host_device_scalarIT6_EEPKT4_S3_PKS5_S9_S3_SB_S6_S9_S3_SB_S9_S3_PS5_21rocsparse_index_base_SD_SD_SD_bbb ; -- Begin function _ZN9rocsparseL41csrgemm_numeric_fill_block_per_row_kernelILj256ELj32ELj512ELj137ELj64EiifEEvT5_PKS1_S3_NS_24const_host_device_scalarIT6_EEPKT4_S3_PKS5_S9_S3_SB_S6_S9_S3_SB_S9_S3_PS5_21rocsparse_index_base_SD_SD_SD_bbb
	.p2align	8
	.type	_ZN9rocsparseL41csrgemm_numeric_fill_block_per_row_kernelILj256ELj32ELj512ELj137ELj64EiifEEvT5_PKS1_S3_NS_24const_host_device_scalarIT6_EEPKT4_S3_PKS5_S9_S3_SB_S6_S9_S3_SB_S9_S3_PS5_21rocsparse_index_base_SD_SD_SD_bbb,@function
_ZN9rocsparseL41csrgemm_numeric_fill_block_per_row_kernelILj256ELj32ELj512ELj137ELj64EiifEEvT5_PKS1_S3_NS_24const_host_device_scalarIT6_EEPKT4_S3_PKS5_S9_S3_SB_S6_S9_S3_SB_S9_S3_PS5_21rocsparse_index_base_SD_SD_SD_bbb: ; @_ZN9rocsparseL41csrgemm_numeric_fill_block_per_row_kernelILj256ELj32ELj512ELj137ELj64EiifEEvT5_PKS1_S3_NS_24const_host_device_scalarIT6_EEPKT4_S3_PKS5_S9_S3_SB_S6_S9_S3_SB_S9_S3_PS5_21rocsparse_index_base_SD_SD_SD_bbb
; %bb.0:
	s_clause 0x2
	s_load_b32 s8, s[0:1], 0x98
	s_load_b64 s[4:5], s[0:1], 0x18
	s_load_b64 s[2:3], s[0:1], 0x50
	s_wait_kmcnt 0x0
	s_and_b32 s6, 1, s8
	s_bitcmp1_b32 s8, 16
	s_cselect_b32 s9, -1, 0
	s_cmp_eq_u32 s6, 1
	s_cselect_b32 s39, -1, 0
	s_delay_alu instid0(SALU_CYCLE_1) | instskip(SKIP_2) | instid1(SALU_CYCLE_1)
	s_and_b32 s6, s39, exec_lo
	s_cselect_b32 s37, s4, 0
	s_xor_b32 s6, s39, -1
	s_or_b32 s6, s9, s6
	s_delay_alu instid0(SALU_CYCLE_1)
	s_and_b32 vcc_lo, exec_lo, s6
	s_cbranch_vccnz .LBB5_2
; %bb.1:
	s_load_b32 s37, s[4:5], 0x0
.LBB5_2:
	s_wait_xcnt 0x0
	s_load_b128 s[4:7], s[0:1], 0x88
	s_bitcmp1_b32 s8, 8
	s_cselect_b32 s38, -1, 0
	s_delay_alu instid0(SALU_CYCLE_1) | instskip(SKIP_2) | instid1(SALU_CYCLE_1)
	s_and_b32 s8, s38, exec_lo
	s_cselect_b32 s36, s2, 0
	s_xor_b32 s8, s38, -1
	s_or_b32 s8, s9, s8
	s_delay_alu instid0(SALU_CYCLE_1)
	s_and_b32 vcc_lo, exec_lo, s8
	s_cbranch_vccnz .LBB5_4
; %bb.3:
	s_load_b32 s36, s[2:3], 0x0
.LBB5_4:
	s_clause 0x5
	s_load_b64 s[24:25], s[0:1], 0x80
	s_load_b128 s[8:11], s[0:1], 0x60
	s_load_b128 s[12:15], s[0:1], 0x40
	s_load_b64 s[28:29], s[0:1], 0x28
	s_load_b128 s[20:23], s[0:1], 0x8
	s_load_b32 s33, s[0:1], 0x0
	s_wait_xcnt 0x0
	v_cmp_gt_u32_e64 s2, 0x200, v0
	v_or_b32_e32 v1, 0xffffff00, v0
	v_lshl_add_u32 v6, v0, 2, 0
	s_and_saveexec_b32 s3, s2
	s_cbranch_execz .LBB5_7
; %bb.5:
	v_or_b32_e32 v2, 0xffffff00, v0
	v_lshl_add_u32 v3, v0, 2, 0
	s_wait_kmcnt 0x0
	v_dual_mov_b32 v4, s33 :: v_dual_mov_b32 v5, 0
	s_mov_b32 s16, 0
.LBB5_6:                                ; =>This Inner Loop Header: Depth=1
	v_add_co_u32 v2, s17, 0x100, v2
	s_xor_b32 s17, s17, -1
	ds_store_2addr_stride64_b32 v3, v4, v5 offset1:8
	v_add_nc_u32_e32 v3, 0x400, v3
	s_and_b32 s17, exec_lo, s17
	s_delay_alu instid0(SALU_CYCLE_1) | instskip(NEXT) | instid1(SALU_CYCLE_1)
	s_or_b32 s16, s17, s16
	s_and_not1_b32 exec_lo, exec_lo, s16
	s_cbranch_execnz .LBB5_6
.LBB5_7:
	s_or_b32 exec_lo, exec_lo, s3
	s_clause 0x3
	s_load_b64 s[26:27], s[0:1], 0x70
	s_load_b64 s[30:31], s[0:1], 0x58
	;; [unrolled: 1-line block ×3, first 2 shown]
	s_load_b128 s[16:19], s[0:1], 0x30
	s_wait_dscnt 0x0
	s_barrier_signal -1
	s_barrier_wait -1
	s_wait_kmcnt 0x0
	s_load_b32 s0, s[20:21], 0x0
	s_bfe_u32 s1, ttmp6, 0x4000c
	s_and_b32 s3, ttmp6, 15
	s_add_co_i32 s1, s1, 1
	s_wait_xcnt 0x0
	s_getreg_b32 s20, hwreg(HW_REG_IB_STS2, 6, 4)
	s_mul_i32 s1, ttmp9, s1
	s_delay_alu instid0(SALU_CYCLE_1)
	s_add_co_i32 s3, s3, s1
	s_cmp_eq_u32 s20, 0
	s_cselect_b32 s1, ttmp9, s3
	s_and_b32 vcc_lo, exec_lo, s39
	s_wait_kmcnt 0x0
	s_add_co_i32 s0, s0, s1
	s_load_b32 s20, s[22:23], s0 offset:0x0 scale_offset
	s_cbranch_vccz .LBB5_25
; %bb.8:
	s_wait_kmcnt 0x0
	s_ashr_i32 s21, s20, 31
	v_lshrrev_b32_e32 v2, 5, v0
	s_lshl_b64 s[0:1], s[20:21], 2
	s_delay_alu instid0(SALU_CYCLE_1) | instskip(NEXT) | instid1(VALU_DEP_1)
	s_add_nc_u64 s[0:1], s[34:35], s[0:1]
	v_subrev_nc_u32_e32 v2, s4, v2
	s_load_b64 s[22:23], s[0:1], 0x0
	s_wait_xcnt 0x0
	s_mov_b32 s1, exec_lo
	s_wait_kmcnt 0x0
	v_add_nc_u32_e32 v2, s22, v2
	s_sub_co_i32 s0, s23, s4
	s_delay_alu instid0(VALU_DEP_1) | instid1(SALU_CYCLE_1)
	v_cmpx_gt_i32_e64 s0, v2
	s_cbranch_execz .LBB5_24
; %bb.9:
	v_and_b32_e32 v3, 31, v0
	s_mov_b32 s3, 0
	s_delay_alu instid0(VALU_DEP_1)
	v_subrev_nc_u32_e32 v4, s5, v3
	s_branch .LBB5_11
.LBB5_10:                               ;   in Loop: Header=BB5_11 Depth=1
	s_or_b32 exec_lo, exec_lo, s21
	v_add_nc_u32_e32 v2, 8, v2
	s_delay_alu instid0(VALU_DEP_1) | instskip(SKIP_1) | instid1(SALU_CYCLE_1)
	v_cmp_le_i32_e32 vcc_lo, s0, v2
	s_or_b32 s3, vcc_lo, s3
	s_and_not1_b32 exec_lo, exec_lo, s3
	s_cbranch_execz .LBB5_24
.LBB5_11:                               ; =>This Loop Header: Depth=1
                                        ;     Child Loop BB5_15 Depth 2
                                        ;       Child Loop BB5_18 Depth 3
	global_load_b32 v3, v2, s[28:29] scale_offset
	s_mov_b32 s21, exec_lo
	s_wait_loadcnt 0x0
	v_subrev_nc_u32_e32 v8, s4, v3
	s_delay_alu instid0(VALU_DEP_1) | instskip(NEXT) | instid1(VALU_DEP_1)
	v_ashrrev_i32_e32 v9, 31, v8
	v_lshl_add_u64 v[8:9], v[8:9], 2, s[18:19]
	global_load_b64 v[8:9], v[8:9], off
	s_wait_loadcnt 0x0
	v_subrev_nc_u32_e32 v5, s5, v9
	v_add_nc_u32_e32 v7, v8, v4
	s_wait_xcnt 0x0
	s_delay_alu instid0(VALU_DEP_1)
	v_cmpx_lt_i32_e64 v7, v5
	s_cbranch_execz .LBB5_10
; %bb.12:                               ;   in Loop: Header=BB5_11 Depth=1
	v_ashrrev_i32_e32 v3, 31, v2
	s_mov_b32 s22, 0
	s_delay_alu instid0(VALU_DEP_1)
	v_lshl_add_u64 v[8:9], v[2:3], 2, s[16:17]
	global_load_b32 v3, v[8:9], off
	s_wait_loadcnt 0x0
	v_mul_f32_e32 v3, s37, v3
	s_branch .LBB5_15
.LBB5_13:                               ;   in Loop: Header=BB5_15 Depth=2
	s_or_b32 exec_lo, exec_lo, s34
.LBB5_14:                               ;   in Loop: Header=BB5_15 Depth=2
	s_delay_alu instid0(SALU_CYCLE_1) | instskip(SKIP_3) | instid1(VALU_DEP_2)
	s_or_b32 exec_lo, exec_lo, s23
	s_wait_loadcnt 0x0
	v_dual_mul_f32 v8, v3, v8 :: v_dual_add_nc_u32 v7, 32, v7
	v_lshl_add_u32 v9, v9, 2, 0
	v_cmp_ge_i32_e32 vcc_lo, v7, v5
	ds_add_f32 v9, v8 offset:2048
	s_or_b32 s22, vcc_lo, s22
	s_delay_alu instid0(SALU_CYCLE_1)
	s_and_not1_b32 exec_lo, exec_lo, s22
	s_cbranch_execz .LBB5_10
.LBB5_15:                               ;   Parent Loop BB5_11 Depth=1
                                        ; =>  This Loop Header: Depth=2
                                        ;       Child Loop BB5_18 Depth 3
	s_clause 0x1
	global_load_b32 v9, v7, s[12:13] scale_offset
	global_load_b32 v8, v7, s[14:15] scale_offset
	s_mov_b32 s23, exec_lo
	s_wait_loadcnt 0x1
	v_subrev_nc_u32_e32 v10, s5, v9
	s_delay_alu instid0(VALU_DEP_1) | instskip(NEXT) | instid1(VALU_DEP_1)
	v_mul_lo_u32 v9, 0x89, v10
	v_and_b32_e32 v9, 0x1ff, v9
	s_delay_alu instid0(VALU_DEP_1)
	v_lshl_add_u32 v11, v9, 2, 0
	ds_load_b32 v12, v11
	s_wait_dscnt 0x0
	s_wait_xcnt 0x0
	v_cmpx_ne_u32_e64 v12, v10
	s_cbranch_execz .LBB5_14
; %bb.16:                               ;   in Loop: Header=BB5_15 Depth=2
	s_mov_b32 s34, 0
	s_branch .LBB5_18
.LBB5_17:                               ;   in Loop: Header=BB5_18 Depth=3
	s_or_b32 exec_lo, exec_lo, s40
	s_delay_alu instid0(SALU_CYCLE_1) | instskip(NEXT) | instid1(SALU_CYCLE_1)
	s_and_b32 s35, exec_lo, s39
	s_or_b32 s34, s35, s34
	s_delay_alu instid0(SALU_CYCLE_1)
	s_and_not1_b32 exec_lo, exec_lo, s34
	s_cbranch_execz .LBB5_13
.LBB5_18:                               ;   Parent Loop BB5_11 Depth=1
                                        ;     Parent Loop BB5_15 Depth=2
                                        ; =>    This Inner Loop Header: Depth=3
	s_mov_b32 s35, 0
	s_mov_b32 s39, exec_lo
	v_cmpx_ne_u32_e64 s33, v12
	s_xor_b32 s39, exec_lo, s39
	s_cbranch_execz .LBB5_20
; %bb.19:                               ;   in Loop: Header=BB5_18 Depth=3
	v_add_nc_u32_e32 v9, 1, v9
	s_mov_b32 s35, exec_lo
                                        ; implicit-def: $vgpr11
	s_delay_alu instid0(VALU_DEP_1)
	v_and_b32_e32 v9, 0x1ff, v9
	s_and_not1_saveexec_b32 s39, s39
	s_cbranch_execz .LBB5_22
	s_branch .LBB5_21
.LBB5_20:                               ;   in Loop: Header=BB5_18 Depth=3
	s_and_not1_saveexec_b32 s39, s39
	s_cbranch_execz .LBB5_22
.LBB5_21:                               ;   in Loop: Header=BB5_18 Depth=3
	v_mov_b32_e32 v12, s33
	s_and_not1_b32 s35, s35, exec_lo
	ds_cmpstore_rtn_b32 v11, v11, v10, v12
	s_wait_dscnt 0x0
	v_cmp_ne_u32_e32 vcc_lo, s33, v11
	s_and_b32 s40, vcc_lo, exec_lo
	s_delay_alu instid0(SALU_CYCLE_1)
	s_or_b32 s35, s35, s40
.LBB5_22:                               ;   in Loop: Header=BB5_18 Depth=3
	s_or_b32 exec_lo, exec_lo, s39
	s_mov_b32 s39, -1
                                        ; implicit-def: $vgpr11
                                        ; implicit-def: $vgpr12
	s_and_saveexec_b32 s40, s35
	s_cbranch_execz .LBB5_17
; %bb.23:                               ;   in Loop: Header=BB5_18 Depth=3
	v_lshl_add_u32 v11, v9, 2, 0
	ds_load_b32 v12, v11
	s_wait_dscnt 0x0
	v_cmp_eq_u32_e32 vcc_lo, v12, v10
	s_or_not1_b32 s39, vcc_lo, exec_lo
	s_branch .LBB5_17
.LBB5_24:
	s_or_b32 exec_lo, exec_lo, s1
.LBB5_25:
	s_delay_alu instid0(SALU_CYCLE_1)
	s_and_not1_b32 vcc_lo, exec_lo, s38
	s_cbranch_vccnz .LBB5_40
; %bb.26:
	s_wait_kmcnt 0x0
	s_ashr_i32 s21, s20, 31
	v_subrev_nc_u32_e32 v2, s7, v0
	s_lshl_b64 s[0:1], s[20:21], 2
	s_delay_alu instid0(SALU_CYCLE_1)
	s_add_nc_u64 s[0:1], s[30:31], s[0:1]
	s_load_b64 s[4:5], s[0:1], 0x0
	s_wait_xcnt 0x0
	s_mov_b32 s1, exec_lo
	s_wait_kmcnt 0x0
	v_add_nc_u32_e32 v2, s4, v2
	s_sub_co_i32 s0, s5, s7
	s_delay_alu instid0(VALU_DEP_1) | instid1(SALU_CYCLE_1)
	v_cmpx_gt_i32_e64 s0, v2
	s_cbranch_execz .LBB5_39
; %bb.27:
	s_mov_b32 s3, 0
	s_branch .LBB5_30
.LBB5_28:                               ;   in Loop: Header=BB5_30 Depth=1
	s_or_b32 exec_lo, exec_lo, s5
.LBB5_29:                               ;   in Loop: Header=BB5_30 Depth=1
	s_delay_alu instid0(SALU_CYCLE_1) | instskip(SKIP_3) | instid1(VALU_DEP_2)
	s_or_b32 exec_lo, exec_lo, s4
	s_wait_loadcnt 0x0
	v_dual_mul_f32 v3, s36, v3 :: v_dual_add_nc_u32 v2, 0x100, v2
	v_lshl_add_u32 v4, v4, 2, 0
	v_cmp_le_i32_e32 vcc_lo, s0, v2
	ds_add_f32 v4, v3 offset:2048
	s_or_b32 s3, vcc_lo, s3
	s_delay_alu instid0(SALU_CYCLE_1)
	s_and_not1_b32 exec_lo, exec_lo, s3
	s_cbranch_execz .LBB5_39
.LBB5_30:                               ; =>This Loop Header: Depth=1
                                        ;     Child Loop BB5_33 Depth 2
	s_clause 0x1
	global_load_b32 v4, v2, s[8:9] scale_offset
	global_load_b32 v3, v2, s[10:11] scale_offset
	s_mov_b32 s4, exec_lo
	s_wait_loadcnt 0x1
	v_subrev_nc_u32_e32 v5, s7, v4
	s_delay_alu instid0(VALU_DEP_1) | instskip(NEXT) | instid1(VALU_DEP_1)
	v_mul_lo_u32 v4, 0x89, v5
	v_and_b32_e32 v4, 0x1ff, v4
	s_delay_alu instid0(VALU_DEP_1)
	v_lshl_add_u32 v7, v4, 2, 0
	ds_load_b32 v8, v7
	s_wait_dscnt 0x0
	s_wait_xcnt 0x0
	v_cmpx_ne_u32_e64 v8, v5
	s_cbranch_execz .LBB5_29
; %bb.31:                               ;   in Loop: Header=BB5_30 Depth=1
	s_mov_b32 s5, 0
	s_branch .LBB5_33
.LBB5_32:                               ;   in Loop: Header=BB5_33 Depth=2
	s_or_b32 exec_lo, exec_lo, s14
	s_delay_alu instid0(SALU_CYCLE_1) | instskip(NEXT) | instid1(SALU_CYCLE_1)
	s_and_b32 s12, exec_lo, s13
	s_or_b32 s5, s12, s5
	s_delay_alu instid0(SALU_CYCLE_1)
	s_and_not1_b32 exec_lo, exec_lo, s5
	s_cbranch_execz .LBB5_28
.LBB5_33:                               ;   Parent Loop BB5_30 Depth=1
                                        ; =>  This Inner Loop Header: Depth=2
	s_mov_b32 s12, 0
	s_mov_b32 s13, exec_lo
	v_cmpx_ne_u32_e64 s33, v8
	s_xor_b32 s13, exec_lo, s13
	s_cbranch_execz .LBB5_35
; %bb.34:                               ;   in Loop: Header=BB5_33 Depth=2
	v_add_nc_u32_e32 v4, 1, v4
	s_mov_b32 s12, exec_lo
                                        ; implicit-def: $vgpr7
	s_delay_alu instid0(VALU_DEP_1)
	v_and_b32_e32 v4, 0x1ff, v4
	s_and_not1_saveexec_b32 s13, s13
	s_cbranch_execz .LBB5_37
	s_branch .LBB5_36
.LBB5_35:                               ;   in Loop: Header=BB5_33 Depth=2
	s_and_not1_saveexec_b32 s13, s13
	s_cbranch_execz .LBB5_37
.LBB5_36:                               ;   in Loop: Header=BB5_33 Depth=2
	v_mov_b32_e32 v8, s33
	s_and_not1_b32 s12, s12, exec_lo
	ds_cmpstore_rtn_b32 v7, v7, v5, v8
	s_wait_dscnt 0x0
	v_cmp_ne_u32_e32 vcc_lo, s33, v7
	s_and_b32 s14, vcc_lo, exec_lo
	s_delay_alu instid0(SALU_CYCLE_1)
	s_or_b32 s12, s12, s14
.LBB5_37:                               ;   in Loop: Header=BB5_33 Depth=2
	s_or_b32 exec_lo, exec_lo, s13
	s_mov_b32 s13, -1
                                        ; implicit-def: $vgpr7
                                        ; implicit-def: $vgpr8
	s_and_saveexec_b32 s14, s12
	s_cbranch_execz .LBB5_32
; %bb.38:                               ;   in Loop: Header=BB5_33 Depth=2
	v_lshl_add_u32 v7, v4, 2, 0
	ds_load_b32 v8, v7
	s_wait_dscnt 0x0
	v_cmp_eq_u32_e32 vcc_lo, v8, v5
	s_or_not1_b32 s13, vcc_lo, exec_lo
	s_branch .LBB5_32
.LBB5_39:
	s_or_b32 exec_lo, exec_lo, s1
.LBB5_40:
	s_wait_dscnt 0x0
	s_barrier_signal -1
	s_barrier_wait -1
	s_and_saveexec_b32 s4, s2
	s_cbranch_execz .LBB5_53
; %bb.41:
	v_mbcnt_lo_u32_b32 v2, -1, 0
	v_dual_mov_b32 v3, 0 :: v_dual_lshrrev_b32 v4, 4, v0
	s_wait_xcnt 0x0
	v_cmp_lt_u32_e64 s0, 63, v0
	v_cmp_lt_u32_e64 s1, 0x7f, v0
	s_delay_alu instid0(VALU_DEP_3)
	v_dual_mov_b32 v8, 0 :: v_dual_bitop2_b32 v4, 12, v4 bitop3:0x40
	v_xor_b32_e32 v2, 31, v2
	v_cmp_lt_u32_e64 s2, 0xbf, v0
	s_mov_b32 s5, 0
	v_cmp_eq_u32_e32 vcc_lo, 0xff, v0
	v_add_nc_u32_e32 v7, 0, v4
	v_lshrrev_b32_e64 v2, v2, -1
	s_branch .LBB5_43
.LBB5_42:                               ;   in Loop: Header=BB5_43 Depth=1
	s_or_b32 exec_lo, exec_lo, s3
	s_wait_dscnt 0x0
	s_barrier_signal -1
	s_barrier_wait -1
	ds_load_b32 v4, v3 offset:4108
	v_add_co_u32 v1, s3, 0x100, v1
	s_xor_b32 s3, s3, -1
	v_add_nc_u32_e32 v6, 0x400, v6
	s_and_b32 s3, exec_lo, s3
	s_delay_alu instid0(SALU_CYCLE_1)
	s_or_b32 s5, s3, s5
	s_wait_dscnt 0x0
	v_add_nc_u32_e32 v8, v4, v8
	s_and_not1_b32 exec_lo, exec_lo, s5
	s_cbranch_execz .LBB5_53
.LBB5_43:                               ; =>This Inner Loop Header: Depth=1
	ds_load_2addr_stride64_b32 v[4:5], v6 offset1:8
	s_wait_dscnt 0x0
	s_barrier_signal -1
	s_barrier_wait -1
	v_cmp_gt_i32_e64 s3, s33, v4
	s_bcnt1_i32_b32 s7, s3
	s_delay_alu instid0(SALU_CYCLE_1) | instskip(NEXT) | instid1(VALU_DEP_1)
	v_dual_mov_b32 v10, s7 :: v_dual_bitop2_b32 v9, s3, v2 bitop3:0x40
	v_bcnt_u32_b32 v9, v9, 0
	ds_store_b32 v7, v10 offset:4096
	s_wait_dscnt 0x0
	s_barrier_signal -1
	s_barrier_wait -1
	s_and_saveexec_b32 s7, s0
	s_cbranch_execz .LBB5_48
; %bb.44:                               ;   in Loop: Header=BB5_43 Depth=1
	ds_load_b32 v10, v3 offset:4096
	s_wait_dscnt 0x0
	v_add_nc_u32_e32 v9, v10, v9
	s_or_b32 exec_lo, exec_lo, s7
	s_and_saveexec_b32 s7, s1
	s_cbranch_execnz .LBB5_49
.LBB5_45:                               ;   in Loop: Header=BB5_43 Depth=1
	s_or_b32 exec_lo, exec_lo, s7
	s_and_saveexec_b32 s7, s2
	s_cbranch_execz .LBB5_50
.LBB5_46:                               ;   in Loop: Header=BB5_43 Depth=1
	ds_load_b32 v10, v3 offset:4104
	s_wait_dscnt 0x0
	v_add_nc_u32_e32 v9, v10, v9
	s_or_b32 exec_lo, exec_lo, s7
	s_and_saveexec_b32 s7, s3
	s_cbranch_execnz .LBB5_51
.LBB5_47:                               ;   in Loop: Header=BB5_43 Depth=1
	s_or_b32 exec_lo, exec_lo, s7
	s_and_saveexec_b32 s3, vcc_lo
	s_cbranch_execz .LBB5_42
	s_branch .LBB5_52
.LBB5_48:                               ;   in Loop: Header=BB5_43 Depth=1
	s_or_b32 exec_lo, exec_lo, s7
	s_and_saveexec_b32 s7, s1
	s_cbranch_execz .LBB5_45
.LBB5_49:                               ;   in Loop: Header=BB5_43 Depth=1
	ds_load_b32 v10, v3 offset:4100
	s_wait_dscnt 0x0
	v_add_nc_u32_e32 v9, v10, v9
	s_or_b32 exec_lo, exec_lo, s7
	s_and_saveexec_b32 s7, s2
	s_cbranch_execnz .LBB5_46
.LBB5_50:                               ;   in Loop: Header=BB5_43 Depth=1
	s_or_b32 exec_lo, exec_lo, s7
	s_and_saveexec_b32 s7, s3
	s_cbranch_execz .LBB5_47
.LBB5_51:                               ;   in Loop: Header=BB5_43 Depth=1
	s_delay_alu instid0(VALU_DEP_1) | instskip(SKIP_1) | instid1(VALU_DEP_2)
	v_add3_u32 v10, v8, -1, v9
	v_add_nc_u32_e32 v11, v8, v9
	v_lshl_add_u32 v10, v10, 2, 0
	s_delay_alu instid0(VALU_DEP_2)
	v_lshl_add_u32 v11, v11, 2, 0
	ds_store_b32 v10, v4
	ds_store_b32 v11, v5 offset:2044
	s_or_b32 exec_lo, exec_lo, s7
	s_and_saveexec_b32 s3, vcc_lo
	s_cbranch_execz .LBB5_42
.LBB5_52:                               ;   in Loop: Header=BB5_43 Depth=1
	ds_store_b32 v3, v9 offset:4108
	s_branch .LBB5_42
.LBB5_53:
	s_or_b32 exec_lo, exec_lo, s4
	s_wait_kmcnt 0x0
	s_ashr_i32 s21, s20, 31
	s_delay_alu instid0(SALU_CYCLE_1) | instskip(NEXT) | instid1(SALU_CYCLE_1)
	s_lshl_b64 s[0:1], s[20:21], 2
	s_add_nc_u64 s[2:3], s[26:27], s[0:1]
	s_load_b64 s[0:1], s[2:3], 0x0
	s_wait_kmcnt 0x0
	s_sub_co_i32 s4, s1, s0
	s_mov_b32 s1, exec_lo
	v_cmpx_gt_i32_e64 s4, v0
	s_cbranch_execz .LBB5_67
; %bb.54:
	v_sub_co_u32 v1, s1, s4, 2
	s_sub_co_i32 s2, s0, s6
	s_xor_b32 s6, s1, -1
	s_and_b32 s5, s4, -2
	v_readfirstlane_b32 s3, v1
	s_lshr_b32 s0, s3, 1
	s_mov_b32 s3, 0
	s_add_co_i32 s0, s0, 1
	s_mov_b32 s11, s3
	s_and_b32 s1, s0, 7
	s_and_b32 s7, s0, -8
	s_cmp_lg_u32 s1, 0
	v_cmp_lt_u32_e64 s0, 13, v1
	s_cselect_b32 s8, -1, 0
	s_cmp_lg_u32 s4, s5
	s_cselect_b32 s9, -1, 0
	s_lshl_b32 s10, s1, 3
	s_branch .LBB5_56
.LBB5_55:                               ;   in Loop: Header=BB5_56 Depth=1
	v_add_nc_u32_e32 v0, 0x100, v0
	s_wait_dscnt 0x0
	global_store_b32 v1, v3, s[24:25] scale_offset
	v_cmp_le_i32_e32 vcc_lo, s4, v0
	s_or_b32 s11, vcc_lo, s11
	s_wait_xcnt 0x0
	s_and_not1_b32 exec_lo, exec_lo, s11
	s_cbranch_execz .LBB5_67
.LBB5_56:                               ; =>This Loop Header: Depth=1
                                        ;     Child Loop BB5_59 Depth 2
                                        ;     Child Loop BB5_62 Depth 2
	;; [unrolled: 1-line block ×3, first 2 shown]
	v_lshl_add_u32 v1, v0, 2, 0
	s_and_not1_b32 vcc_lo, exec_lo, s6
	s_mov_b32 s1, 0
	s_mov_b32 s12, -1
	ds_load_2addr_stride64_b32 v[2:3], v1 offset1:8
	v_mov_b32_e32 v1, s2
	s_cbranch_vccnz .LBB5_64
; %bb.57:                               ;   in Loop: Header=BB5_56 Depth=1
	v_mov_b64_e32 v[4:5], s[2:3]
	s_and_not1_b32 vcc_lo, exec_lo, s0
	s_mov_b32 s12, 0
	s_cbranch_vccnz .LBB5_60
; %bb.58:                               ;   in Loop: Header=BB5_56 Depth=1
	v_dual_mov_b32 v4, s2 :: v_dual_mov_b32 v5, 0
	s_mov_b32 s13, 0
	s_mov_b32 s14, s7
.LBB5_59:                               ;   Parent Loop BB5_56 Depth=1
                                        ; =>  This Inner Loop Header: Depth=2
	v_mov_b32_e32 v1, s13
	s_add_co_i32 s14, s14, -8
	s_add_co_i32 s12, s12, 16
	s_add_co_i32 s13, s13, 64
	s_cmp_lg_u32 s14, 0
	ds_load_2addr_b32 v[6:7], v1 offset1:1
	ds_load_2addr_b32 v[8:9], v1 offset0:2 offset1:3
	ds_load_2addr_b32 v[10:11], v1 offset0:4 offset1:5
	;; [unrolled: 1-line block ×7, first 2 shown]
	s_wait_dscnt 0x7
	v_cmp_gt_i32_e32 vcc_lo, v2, v7
	s_wait_dscnt 0x5
	v_cmp_gt_i32_e64 s1, v2, v10
	v_cndmask_b32_e64 v1, 0, 1, vcc_lo
	v_cmp_gt_i32_e32 vcc_lo, v2, v6
	s_delay_alu instid0(VALU_DEP_3) | instskip(SKIP_3) | instid1(VALU_DEP_3)
	v_cndmask_b32_e64 v7, 0, 1, s1
	v_cmp_gt_i32_e64 s1, v2, v11
	v_cndmask_b32_e64 v6, 0, 1, vcc_lo
	v_cmp_gt_i32_e32 vcc_lo, v2, v8
	v_cndmask_b32_e64 v8, 0, 1, s1
	s_wait_dscnt 0x4
	v_cmp_gt_i32_e64 s1, v2, v13
	v_add_co_ci_u32_e64 v4, null, v4, v6, vcc_lo
	s_delay_alu instid0(VALU_DEP_2) | instskip(SKIP_3) | instid1(VALU_DEP_2)
	v_cndmask_b32_e64 v10, 0, 1, s1
	v_cmp_gt_i32_e64 s1, v2, v12
	s_wait_dscnt 0x2
	v_cmp_gt_i32_e32 vcc_lo, v2, v16
	v_cndmask_b32_e64 v11, 0, 1, s1
	v_cmp_gt_i32_e64 s1, v2, v14
	v_add_co_ci_u32_e64 v4, null, v4, v7, vcc_lo
	s_wait_dscnt 0x1
	v_cmp_gt_i32_e32 vcc_lo, v2, v18
	s_delay_alu instid0(VALU_DEP_3) | instskip(SKIP_4) | instid1(VALU_DEP_3)
	v_cndmask_b32_e64 v12, 0, 1, s1
	v_cmp_gt_i32_e64 s1, v2, v15
	v_add_co_ci_u32_e64 v4, null, v4, v11, vcc_lo
	s_wait_dscnt 0x0
	v_cmp_gt_i32_e32 vcc_lo, v2, v20
	v_cndmask_b32_e64 v13, 0, 1, s1
	v_cmp_gt_i32_e64 s1, v2, v9
	v_add_co_ci_u32_e64 v4, null, v4, v12, vcc_lo
	s_delay_alu instid0(VALU_DEP_2) | instskip(SKIP_1) | instid1(VALU_DEP_1)
	v_add_co_ci_u32_e64 v1, null, v5, v1, s1
	v_cmp_gt_i32_e64 s1, v2, v17
	v_add_co_ci_u32_e64 v1, null, v1, v8, s1
	v_cmp_gt_i32_e64 s1, v2, v19
	s_delay_alu instid0(VALU_DEP_1) | instskip(SKIP_1) | instid1(VALU_DEP_1)
	v_add_co_ci_u32_e64 v1, null, v1, v10, s1
	v_cmp_gt_i32_e64 s1, v2, v21
	v_add_co_ci_u32_e64 v5, null, v1, v13, s1
	s_cbranch_scc1 .LBB5_59
.LBB5_60:                               ;   in Loop: Header=BB5_56 Depth=1
	s_and_not1_b32 vcc_lo, exec_lo, s8
	s_cbranch_vccnz .LBB5_63
; %bb.61:                               ;   in Loop: Header=BB5_56 Depth=1
	s_lshl_b32 s1, s12, 2
	s_mov_b32 s12, s10
	s_add_co_i32 s1, s1, 0
.LBB5_62:                               ;   Parent Loop BB5_56 Depth=1
                                        ; =>  This Inner Loop Header: Depth=2
	s_delay_alu instid0(SALU_CYCLE_1)
	v_mov_b32_e32 v1, s1
	s_add_co_i32 s12, s12, -8
	s_add_co_i32 s1, s1, 8
	s_cmp_lg_u32 s12, 0
	ds_load_2addr_b32 v[6:7], v1 offset1:1
	s_wait_dscnt 0x0
	v_cmp_gt_i32_e32 vcc_lo, v2, v7
	v_add_co_ci_u32_e64 v5, null, 0, v5, vcc_lo
	v_cmp_gt_i32_e32 vcc_lo, v2, v6
	v_add_co_ci_u32_e64 v4, null, 0, v4, vcc_lo
	s_cbranch_scc1 .LBB5_62
.LBB5_63:                               ;   in Loop: Header=BB5_56 Depth=1
	s_delay_alu instid0(VALU_DEP_1)
	v_add_nc_u32_e32 v1, v4, v5
	s_mov_b32 s1, s5
	s_mov_b32 s12, s9
.LBB5_64:                               ;   in Loop: Header=BB5_56 Depth=1
	s_delay_alu instid0(SALU_CYCLE_1)
	s_and_b32 vcc_lo, exec_lo, s12
	s_cbranch_vccz .LBB5_55
; %bb.65:                               ;   in Loop: Header=BB5_56 Depth=1
	s_lshl_b32 s12, s1, 2
	s_delay_alu instid0(SALU_CYCLE_1)
	s_add_co_i32 s12, s12, 0
.LBB5_66:                               ;   Parent Loop BB5_56 Depth=1
                                        ; =>  This Inner Loop Header: Depth=2
	s_delay_alu instid0(SALU_CYCLE_1)
	v_mov_b32_e32 v4, s12
	s_add_co_i32 s1, s1, 1
	s_add_co_i32 s12, s12, 4
	s_cmp_ge_i32 s1, s4
	ds_load_b32 v4, v4
	s_wait_dscnt 0x0
	v_cmp_gt_i32_e32 vcc_lo, v2, v4
	v_add_co_ci_u32_e64 v1, null, 0, v1, vcc_lo
	s_cbranch_scc0 .LBB5_66
	s_branch .LBB5_55
.LBB5_67:
	s_endpgm
	.section	.rodata,"a",@progbits
	.p2align	6, 0x0
	.amdhsa_kernel _ZN9rocsparseL41csrgemm_numeric_fill_block_per_row_kernelILj256ELj32ELj512ELj137ELj64EiifEEvT5_PKS1_S3_NS_24const_host_device_scalarIT6_EEPKT4_S3_PKS5_S9_S3_SB_S6_S9_S3_SB_S9_S3_PS5_21rocsparse_index_base_SD_SD_SD_bbb
		.amdhsa_group_segment_fixed_size 0
		.amdhsa_private_segment_fixed_size 0
		.amdhsa_kernarg_size 156
		.amdhsa_user_sgpr_count 2
		.amdhsa_user_sgpr_dispatch_ptr 0
		.amdhsa_user_sgpr_queue_ptr 0
		.amdhsa_user_sgpr_kernarg_segment_ptr 1
		.amdhsa_user_sgpr_dispatch_id 0
		.amdhsa_user_sgpr_kernarg_preload_length 0
		.amdhsa_user_sgpr_kernarg_preload_offset 0
		.amdhsa_user_sgpr_private_segment_size 0
		.amdhsa_wavefront_size32 1
		.amdhsa_uses_dynamic_stack 0
		.amdhsa_enable_private_segment 0
		.amdhsa_system_sgpr_workgroup_id_x 1
		.amdhsa_system_sgpr_workgroup_id_y 0
		.amdhsa_system_sgpr_workgroup_id_z 0
		.amdhsa_system_sgpr_workgroup_info 0
		.amdhsa_system_vgpr_workitem_id 0
		.amdhsa_next_free_vgpr 22
		.amdhsa_next_free_sgpr 41
		.amdhsa_named_barrier_count 0
		.amdhsa_reserve_vcc 1
		.amdhsa_float_round_mode_32 0
		.amdhsa_float_round_mode_16_64 0
		.amdhsa_float_denorm_mode_32 3
		.amdhsa_float_denorm_mode_16_64 3
		.amdhsa_fp16_overflow 0
		.amdhsa_memory_ordered 1
		.amdhsa_forward_progress 1
		.amdhsa_inst_pref_size 22
		.amdhsa_round_robin_scheduling 0
		.amdhsa_exception_fp_ieee_invalid_op 0
		.amdhsa_exception_fp_denorm_src 0
		.amdhsa_exception_fp_ieee_div_zero 0
		.amdhsa_exception_fp_ieee_overflow 0
		.amdhsa_exception_fp_ieee_underflow 0
		.amdhsa_exception_fp_ieee_inexact 0
		.amdhsa_exception_int_div_zero 0
	.end_amdhsa_kernel
	.section	.text._ZN9rocsparseL41csrgemm_numeric_fill_block_per_row_kernelILj256ELj32ELj512ELj137ELj64EiifEEvT5_PKS1_S3_NS_24const_host_device_scalarIT6_EEPKT4_S3_PKS5_S9_S3_SB_S6_S9_S3_SB_S9_S3_PS5_21rocsparse_index_base_SD_SD_SD_bbb,"axG",@progbits,_ZN9rocsparseL41csrgemm_numeric_fill_block_per_row_kernelILj256ELj32ELj512ELj137ELj64EiifEEvT5_PKS1_S3_NS_24const_host_device_scalarIT6_EEPKT4_S3_PKS5_S9_S3_SB_S6_S9_S3_SB_S9_S3_PS5_21rocsparse_index_base_SD_SD_SD_bbb,comdat
.Lfunc_end5:
	.size	_ZN9rocsparseL41csrgemm_numeric_fill_block_per_row_kernelILj256ELj32ELj512ELj137ELj64EiifEEvT5_PKS1_S3_NS_24const_host_device_scalarIT6_EEPKT4_S3_PKS5_S9_S3_SB_S6_S9_S3_SB_S9_S3_PS5_21rocsparse_index_base_SD_SD_SD_bbb, .Lfunc_end5-_ZN9rocsparseL41csrgemm_numeric_fill_block_per_row_kernelILj256ELj32ELj512ELj137ELj64EiifEEvT5_PKS1_S3_NS_24const_host_device_scalarIT6_EEPKT4_S3_PKS5_S9_S3_SB_S6_S9_S3_SB_S9_S3_PS5_21rocsparse_index_base_SD_SD_SD_bbb
                                        ; -- End function
	.set _ZN9rocsparseL41csrgemm_numeric_fill_block_per_row_kernelILj256ELj32ELj512ELj137ELj64EiifEEvT5_PKS1_S3_NS_24const_host_device_scalarIT6_EEPKT4_S3_PKS5_S9_S3_SB_S6_S9_S3_SB_S9_S3_PS5_21rocsparse_index_base_SD_SD_SD_bbb.num_vgpr, 22
	.set _ZN9rocsparseL41csrgemm_numeric_fill_block_per_row_kernelILj256ELj32ELj512ELj137ELj64EiifEEvT5_PKS1_S3_NS_24const_host_device_scalarIT6_EEPKT4_S3_PKS5_S9_S3_SB_S6_S9_S3_SB_S9_S3_PS5_21rocsparse_index_base_SD_SD_SD_bbb.num_agpr, 0
	.set _ZN9rocsparseL41csrgemm_numeric_fill_block_per_row_kernelILj256ELj32ELj512ELj137ELj64EiifEEvT5_PKS1_S3_NS_24const_host_device_scalarIT6_EEPKT4_S3_PKS5_S9_S3_SB_S6_S9_S3_SB_S9_S3_PS5_21rocsparse_index_base_SD_SD_SD_bbb.numbered_sgpr, 41
	.set _ZN9rocsparseL41csrgemm_numeric_fill_block_per_row_kernelILj256ELj32ELj512ELj137ELj64EiifEEvT5_PKS1_S3_NS_24const_host_device_scalarIT6_EEPKT4_S3_PKS5_S9_S3_SB_S6_S9_S3_SB_S9_S3_PS5_21rocsparse_index_base_SD_SD_SD_bbb.num_named_barrier, 0
	.set _ZN9rocsparseL41csrgemm_numeric_fill_block_per_row_kernelILj256ELj32ELj512ELj137ELj64EiifEEvT5_PKS1_S3_NS_24const_host_device_scalarIT6_EEPKT4_S3_PKS5_S9_S3_SB_S6_S9_S3_SB_S9_S3_PS5_21rocsparse_index_base_SD_SD_SD_bbb.private_seg_size, 0
	.set _ZN9rocsparseL41csrgemm_numeric_fill_block_per_row_kernelILj256ELj32ELj512ELj137ELj64EiifEEvT5_PKS1_S3_NS_24const_host_device_scalarIT6_EEPKT4_S3_PKS5_S9_S3_SB_S6_S9_S3_SB_S9_S3_PS5_21rocsparse_index_base_SD_SD_SD_bbb.uses_vcc, 1
	.set _ZN9rocsparseL41csrgemm_numeric_fill_block_per_row_kernelILj256ELj32ELj512ELj137ELj64EiifEEvT5_PKS1_S3_NS_24const_host_device_scalarIT6_EEPKT4_S3_PKS5_S9_S3_SB_S6_S9_S3_SB_S9_S3_PS5_21rocsparse_index_base_SD_SD_SD_bbb.uses_flat_scratch, 0
	.set _ZN9rocsparseL41csrgemm_numeric_fill_block_per_row_kernelILj256ELj32ELj512ELj137ELj64EiifEEvT5_PKS1_S3_NS_24const_host_device_scalarIT6_EEPKT4_S3_PKS5_S9_S3_SB_S6_S9_S3_SB_S9_S3_PS5_21rocsparse_index_base_SD_SD_SD_bbb.has_dyn_sized_stack, 0
	.set _ZN9rocsparseL41csrgemm_numeric_fill_block_per_row_kernelILj256ELj32ELj512ELj137ELj64EiifEEvT5_PKS1_S3_NS_24const_host_device_scalarIT6_EEPKT4_S3_PKS5_S9_S3_SB_S6_S9_S3_SB_S9_S3_PS5_21rocsparse_index_base_SD_SD_SD_bbb.has_recursion, 0
	.set _ZN9rocsparseL41csrgemm_numeric_fill_block_per_row_kernelILj256ELj32ELj512ELj137ELj64EiifEEvT5_PKS1_S3_NS_24const_host_device_scalarIT6_EEPKT4_S3_PKS5_S9_S3_SB_S6_S9_S3_SB_S9_S3_PS5_21rocsparse_index_base_SD_SD_SD_bbb.has_indirect_call, 0
	.section	.AMDGPU.csdata,"",@progbits
; Kernel info:
; codeLenInByte = 2784
; TotalNumSgprs: 43
; NumVgprs: 22
; ScratchSize: 0
; MemoryBound: 0
; FloatMode: 240
; IeeeMode: 1
; LDSByteSize: 0 bytes/workgroup (compile time only)
; SGPRBlocks: 0
; VGPRBlocks: 1
; NumSGPRsForWavesPerEU: 43
; NumVGPRsForWavesPerEU: 22
; NamedBarCnt: 0
; Occupancy: 16
; WaveLimiterHint : 1
; COMPUTE_PGM_RSRC2:SCRATCH_EN: 0
; COMPUTE_PGM_RSRC2:USER_SGPR: 2
; COMPUTE_PGM_RSRC2:TRAP_HANDLER: 0
; COMPUTE_PGM_RSRC2:TGID_X_EN: 1
; COMPUTE_PGM_RSRC2:TGID_Y_EN: 0
; COMPUTE_PGM_RSRC2:TGID_Z_EN: 0
; COMPUTE_PGM_RSRC2:TIDIG_COMP_CNT: 0
	.section	.text._ZN9rocsparseL41csrgemm_numeric_fill_block_per_row_kernelILj512ELj32ELj1024ELj137ELj32EiifEEvT5_PKS1_S3_NS_24const_host_device_scalarIT6_EEPKT4_S3_PKS5_S9_S3_SB_S6_S9_S3_SB_S9_S3_PS5_21rocsparse_index_base_SD_SD_SD_bbb,"axG",@progbits,_ZN9rocsparseL41csrgemm_numeric_fill_block_per_row_kernelILj512ELj32ELj1024ELj137ELj32EiifEEvT5_PKS1_S3_NS_24const_host_device_scalarIT6_EEPKT4_S3_PKS5_S9_S3_SB_S6_S9_S3_SB_S9_S3_PS5_21rocsparse_index_base_SD_SD_SD_bbb,comdat
	.globl	_ZN9rocsparseL41csrgemm_numeric_fill_block_per_row_kernelILj512ELj32ELj1024ELj137ELj32EiifEEvT5_PKS1_S3_NS_24const_host_device_scalarIT6_EEPKT4_S3_PKS5_S9_S3_SB_S6_S9_S3_SB_S9_S3_PS5_21rocsparse_index_base_SD_SD_SD_bbb ; -- Begin function _ZN9rocsparseL41csrgemm_numeric_fill_block_per_row_kernelILj512ELj32ELj1024ELj137ELj32EiifEEvT5_PKS1_S3_NS_24const_host_device_scalarIT6_EEPKT4_S3_PKS5_S9_S3_SB_S6_S9_S3_SB_S9_S3_PS5_21rocsparse_index_base_SD_SD_SD_bbb
	.p2align	8
	.type	_ZN9rocsparseL41csrgemm_numeric_fill_block_per_row_kernelILj512ELj32ELj1024ELj137ELj32EiifEEvT5_PKS1_S3_NS_24const_host_device_scalarIT6_EEPKT4_S3_PKS5_S9_S3_SB_S6_S9_S3_SB_S9_S3_PS5_21rocsparse_index_base_SD_SD_SD_bbb,@function
_ZN9rocsparseL41csrgemm_numeric_fill_block_per_row_kernelILj512ELj32ELj1024ELj137ELj32EiifEEvT5_PKS1_S3_NS_24const_host_device_scalarIT6_EEPKT4_S3_PKS5_S9_S3_SB_S6_S9_S3_SB_S9_S3_PS5_21rocsparse_index_base_SD_SD_SD_bbb: ; @_ZN9rocsparseL41csrgemm_numeric_fill_block_per_row_kernelILj512ELj32ELj1024ELj137ELj32EiifEEvT5_PKS1_S3_NS_24const_host_device_scalarIT6_EEPKT4_S3_PKS5_S9_S3_SB_S6_S9_S3_SB_S9_S3_PS5_21rocsparse_index_base_SD_SD_SD_bbb
; %bb.0:
	s_clause 0x3
	s_load_b32 s14, s[0:1], 0x98
	s_load_b64 s[2:3], s[0:1], 0x18
	s_load_b128 s[16:19], s[0:1], 0x88
	s_load_b64 s[12:13], s[0:1], 0x50
	s_wait_kmcnt 0x0
	s_and_b32 s4, 1, s14
	s_bitcmp1_b32 s14, 16
	s_cselect_b32 s15, -1, 0
	s_cmp_eq_u32 s4, 1
	s_cselect_b32 s37, -1, 0
	s_delay_alu instid0(SALU_CYCLE_1) | instskip(SKIP_2) | instid1(SALU_CYCLE_1)
	s_and_b32 s4, s37, exec_lo
	s_cselect_b32 s35, s2, 0
	s_xor_b32 s4, s37, -1
	s_or_b32 s4, s15, s4
	s_delay_alu instid0(SALU_CYCLE_1)
	s_and_b32 vcc_lo, exec_lo, s4
	s_cbranch_vccnz .LBB6_2
; %bb.1:
	s_load_b32 s35, s[2:3], 0x0
.LBB6_2:
	s_clause 0x3
	s_load_b64 s[24:25], s[0:1], 0x80
	s_load_b128 s[4:7], s[0:1], 0x60
	s_load_b128 s[8:11], s[0:1], 0x40
	;; [unrolled: 1-line block ×3, first 2 shown]
	s_wait_xcnt 0x0
	s_load_b64 s[2:3], s[0:1], 0x28
	s_bitcmp1_b32 s14, 8
	s_cselect_b32 s36, -1, 0
	s_delay_alu instid0(SALU_CYCLE_1) | instskip(SKIP_2) | instid1(SALU_CYCLE_1)
	s_and_b32 s14, s36, exec_lo
	s_cselect_b32 s34, s12, 0
	s_xor_b32 s14, s36, -1
	s_or_b32 s14, s15, s14
	s_delay_alu instid0(SALU_CYCLE_1)
	s_and_b32 vcc_lo, exec_lo, s14
	s_cbranch_vccnz .LBB6_4
; %bb.3:
	s_load_b32 s34, s[12:13], 0x0
.LBB6_4:
	s_clause 0x3
	s_load_b32 s33, s[0:1], 0x0
	s_load_b64 s[30:31], s[0:1], 0x20
	s_load_b64 s[26:27], s[0:1], 0x70
	;; [unrolled: 1-line block ×3, first 2 shown]
	s_wait_xcnt 0x0
	s_load_b128 s[12:15], s[0:1], 0x30
	v_lshl_add_u32 v1, v0, 2, 0
	v_or_b32_e32 v6, 0xfffffe00, v0
	v_mov_b32_e32 v2, 0
	s_wait_xcnt 0x0
	s_mov_b32 s0, 0
	s_delay_alu instid0(VALU_DEP_2)
	v_dual_mov_b32 v3, v1 :: v_dual_mov_b32 v5, v6
	s_wait_kmcnt 0x0
	v_mov_b32_e32 v4, s33
.LBB6_5:                                ; =>This Inner Loop Header: Depth=1
	s_delay_alu instid0(VALU_DEP_2) | instskip(SKIP_4) | instid1(SALU_CYCLE_1)
	v_add_co_u32 v5, s1, 0x200, v5
	s_xor_b32 s1, s1, -1
	ds_store_2addr_stride64_b32 v3, v4, v2 offset1:16
	v_add_nc_u32_e32 v3, 0x800, v3
	s_and_b32 s1, exec_lo, s1
	s_or_b32 s0, s1, s0
	s_delay_alu instid0(SALU_CYCLE_1)
	s_and_not1_b32 exec_lo, exec_lo, s0
	s_cbranch_execnz .LBB6_5
; %bb.6:
	s_or_b32 exec_lo, exec_lo, s0
	s_wait_dscnt 0x0
	s_barrier_signal -1
	s_barrier_wait -1
	s_load_b32 s0, s[20:21], 0x0
	s_bfe_u32 s1, ttmp6, 0x4000c
	s_wait_xcnt 0x0
	s_and_b32 s20, ttmp6, 15
	s_add_co_i32 s1, s1, 1
	s_getreg_b32 s21, hwreg(HW_REG_IB_STS2, 6, 4)
	s_mul_i32 s1, ttmp9, s1
	v_lshrrev_b32_e32 v4, 5, v0
	s_add_co_i32 s20, s20, s1
	s_cmp_eq_u32 s21, 0
	s_cselect_b32 s1, ttmp9, s20
	s_and_b32 vcc_lo, exec_lo, s37
	s_wait_kmcnt 0x0
	s_add_co_i32 s0, s0, s1
	s_load_b32 s20, s[22:23], s0 offset:0x0 scale_offset
	s_cbranch_vccz .LBB6_24
; %bb.7:
	s_wait_kmcnt 0x0
	s_ashr_i32 s21, s20, 31
	v_subrev_nc_u32_e32 v2, s16, v4
	s_lshl_b64 s[0:1], s[20:21], 2
	s_delay_alu instid0(SALU_CYCLE_1)
	s_add_nc_u64 s[0:1], s[30:31], s[0:1]
	s_load_b64 s[22:23], s[0:1], 0x0
	s_wait_xcnt 0x0
	s_mov_b32 s1, exec_lo
	s_wait_kmcnt 0x0
	v_add_nc_u32_e32 v2, s22, v2
	s_sub_co_i32 s0, s23, s16
	s_delay_alu instid0(VALU_DEP_1) | instid1(SALU_CYCLE_1)
	v_cmpx_gt_i32_e64 s0, v2
	s_cbranch_execz .LBB6_23
; %bb.8:
	v_and_b32_e32 v3, 31, v0
	s_mov_b32 s21, 0
	s_delay_alu instid0(VALU_DEP_1)
	v_subrev_nc_u32_e32 v5, s17, v3
	s_branch .LBB6_10
.LBB6_9:                                ;   in Loop: Header=BB6_10 Depth=1
	s_or_b32 exec_lo, exec_lo, s22
	v_add_nc_u32_e32 v2, 16, v2
	s_delay_alu instid0(VALU_DEP_1) | instskip(SKIP_1) | instid1(SALU_CYCLE_1)
	v_cmp_le_i32_e32 vcc_lo, s0, v2
	s_or_b32 s21, vcc_lo, s21
	s_and_not1_b32 exec_lo, exec_lo, s21
	s_cbranch_execz .LBB6_23
.LBB6_10:                               ; =>This Loop Header: Depth=1
                                        ;     Child Loop BB6_14 Depth 2
                                        ;       Child Loop BB6_17 Depth 3
	global_load_b32 v3, v2, s[2:3] scale_offset
	s_mov_b32 s22, exec_lo
	s_wait_loadcnt 0x0
	v_subrev_nc_u32_e32 v8, s16, v3
	s_delay_alu instid0(VALU_DEP_1) | instskip(NEXT) | instid1(VALU_DEP_1)
	v_ashrrev_i32_e32 v9, 31, v8
	v_lshl_add_u64 v[8:9], v[8:9], 2, s[14:15]
	global_load_b64 v[8:9], v[8:9], off
	s_wait_loadcnt 0x0
	v_subrev_nc_u32_e32 v7, s17, v9
	s_wait_xcnt 0x0
	v_add_nc_u32_e32 v8, v8, v5
	s_delay_alu instid0(VALU_DEP_1)
	v_cmpx_lt_i32_e64 v8, v7
	s_cbranch_execz .LBB6_9
; %bb.11:                               ;   in Loop: Header=BB6_10 Depth=1
	v_ashrrev_i32_e32 v3, 31, v2
	s_mov_b32 s23, 0
	s_delay_alu instid0(VALU_DEP_1)
	v_lshl_add_u64 v[10:11], v[2:3], 2, s[12:13]
	global_load_b32 v3, v[10:11], off
	s_wait_loadcnt 0x0
	v_mul_f32_e32 v3, s35, v3
	s_branch .LBB6_14
.LBB6_12:                               ;   in Loop: Header=BB6_14 Depth=2
	s_or_b32 exec_lo, exec_lo, s31
.LBB6_13:                               ;   in Loop: Header=BB6_14 Depth=2
	s_delay_alu instid0(SALU_CYCLE_1) | instskip(SKIP_3) | instid1(VALU_DEP_2)
	s_or_b32 exec_lo, exec_lo, s30
	s_wait_loadcnt 0x0
	v_dual_mul_f32 v9, v3, v9 :: v_dual_add_nc_u32 v8, 32, v8
	v_lshl_add_u32 v10, v10, 2, 0
	v_cmp_ge_i32_e32 vcc_lo, v8, v7
	ds_add_f32 v10, v9 offset:4096
	s_or_b32 s23, vcc_lo, s23
	s_delay_alu instid0(SALU_CYCLE_1)
	s_and_not1_b32 exec_lo, exec_lo, s23
	s_cbranch_execz .LBB6_9
.LBB6_14:                               ;   Parent Loop BB6_10 Depth=1
                                        ; =>  This Loop Header: Depth=2
                                        ;       Child Loop BB6_17 Depth 3
	s_clause 0x1
	global_load_b32 v10, v8, s[8:9] scale_offset
	global_load_b32 v9, v8, s[10:11] scale_offset
	s_mov_b32 s30, exec_lo
	s_wait_loadcnt 0x1
	v_subrev_nc_u32_e32 v11, s17, v10
	s_delay_alu instid0(VALU_DEP_1) | instskip(NEXT) | instid1(VALU_DEP_1)
	v_mul_lo_u32 v10, 0x89, v11
	v_and_b32_e32 v10, 0x3ff, v10
	s_delay_alu instid0(VALU_DEP_1)
	v_lshl_add_u32 v12, v10, 2, 0
	ds_load_b32 v13, v12
	s_wait_dscnt 0x0
	s_wait_xcnt 0x0
	v_cmpx_ne_u32_e64 v13, v11
	s_cbranch_execz .LBB6_13
; %bb.15:                               ;   in Loop: Header=BB6_14 Depth=2
	s_mov_b32 s31, 0
	s_branch .LBB6_17
.LBB6_16:                               ;   in Loop: Header=BB6_17 Depth=3
	s_or_b32 exec_lo, exec_lo, s39
	s_delay_alu instid0(SALU_CYCLE_1) | instskip(NEXT) | instid1(SALU_CYCLE_1)
	s_and_b32 s37, exec_lo, s38
	s_or_b32 s31, s37, s31
	s_delay_alu instid0(SALU_CYCLE_1)
	s_and_not1_b32 exec_lo, exec_lo, s31
	s_cbranch_execz .LBB6_12
.LBB6_17:                               ;   Parent Loop BB6_10 Depth=1
                                        ;     Parent Loop BB6_14 Depth=2
                                        ; =>    This Inner Loop Header: Depth=3
	s_mov_b32 s37, 0
	s_mov_b32 s38, exec_lo
	v_cmpx_ne_u32_e64 s33, v13
	s_xor_b32 s38, exec_lo, s38
	s_cbranch_execz .LBB6_19
; %bb.18:                               ;   in Loop: Header=BB6_17 Depth=3
	v_add_nc_u32_e32 v10, 1, v10
	s_mov_b32 s37, exec_lo
                                        ; implicit-def: $vgpr12
	s_delay_alu instid0(VALU_DEP_1)
	v_and_b32_e32 v10, 0x3ff, v10
	s_and_not1_saveexec_b32 s38, s38
	s_cbranch_execz .LBB6_21
	s_branch .LBB6_20
.LBB6_19:                               ;   in Loop: Header=BB6_17 Depth=3
	s_and_not1_saveexec_b32 s38, s38
	s_cbranch_execz .LBB6_21
.LBB6_20:                               ;   in Loop: Header=BB6_17 Depth=3
	v_mov_b32_e32 v13, s33
	s_and_not1_b32 s37, s37, exec_lo
	ds_cmpstore_rtn_b32 v12, v12, v11, v13
	s_wait_dscnt 0x0
	v_cmp_ne_u32_e32 vcc_lo, s33, v12
	s_and_b32 s39, vcc_lo, exec_lo
	s_delay_alu instid0(SALU_CYCLE_1)
	s_or_b32 s37, s37, s39
.LBB6_21:                               ;   in Loop: Header=BB6_17 Depth=3
	s_or_b32 exec_lo, exec_lo, s38
	s_mov_b32 s38, -1
                                        ; implicit-def: $vgpr12
                                        ; implicit-def: $vgpr13
	s_and_saveexec_b32 s39, s37
	s_cbranch_execz .LBB6_16
; %bb.22:                               ;   in Loop: Header=BB6_17 Depth=3
	v_lshl_add_u32 v12, v10, 2, 0
	ds_load_b32 v13, v12
	s_wait_dscnt 0x0
	v_cmp_eq_u32_e32 vcc_lo, v13, v11
	s_or_not1_b32 s38, vcc_lo, exec_lo
	s_branch .LBB6_16
.LBB6_23:
	s_or_b32 exec_lo, exec_lo, s1
.LBB6_24:
	s_delay_alu instid0(SALU_CYCLE_1)
	s_and_not1_b32 vcc_lo, exec_lo, s36
	s_cbranch_vccnz .LBB6_39
; %bb.25:
	s_wait_kmcnt 0x0
	s_ashr_i32 s21, s20, 31
	v_subrev_nc_u32_e32 v2, s19, v0
	s_lshl_b64 s[0:1], s[20:21], 2
	s_delay_alu instid0(SALU_CYCLE_1)
	s_add_nc_u64 s[0:1], s[28:29], s[0:1]
	s_load_b64 s[2:3], s[0:1], 0x0
	s_wait_xcnt 0x0
	s_mov_b32 s1, exec_lo
	s_wait_kmcnt 0x0
	v_add_nc_u32_e32 v2, s2, v2
	s_sub_co_i32 s0, s3, s19
	s_delay_alu instid0(VALU_DEP_1) | instid1(SALU_CYCLE_1)
	v_cmpx_gt_i32_e64 s0, v2
	s_cbranch_execz .LBB6_38
; %bb.26:
	s_mov_b32 s2, 0
	s_branch .LBB6_29
.LBB6_27:                               ;   in Loop: Header=BB6_29 Depth=1
	s_or_b32 exec_lo, exec_lo, s8
.LBB6_28:                               ;   in Loop: Header=BB6_29 Depth=1
	s_delay_alu instid0(SALU_CYCLE_1) | instskip(SKIP_3) | instid1(VALU_DEP_2)
	s_or_b32 exec_lo, exec_lo, s3
	s_wait_loadcnt 0x0
	v_dual_mul_f32 v3, s34, v3 :: v_dual_add_nc_u32 v2, 0x200, v2
	v_lshl_add_u32 v5, v5, 2, 0
	v_cmp_le_i32_e32 vcc_lo, s0, v2
	ds_add_f32 v5, v3 offset:4096
	s_or_b32 s2, vcc_lo, s2
	s_delay_alu instid0(SALU_CYCLE_1)
	s_and_not1_b32 exec_lo, exec_lo, s2
	s_cbranch_execz .LBB6_38
.LBB6_29:                               ; =>This Loop Header: Depth=1
                                        ;     Child Loop BB6_32 Depth 2
	s_clause 0x1
	global_load_b32 v5, v2, s[4:5] scale_offset
	global_load_b32 v3, v2, s[6:7] scale_offset
	s_mov_b32 s3, exec_lo
	s_wait_loadcnt 0x1
	v_subrev_nc_u32_e32 v7, s19, v5
	s_delay_alu instid0(VALU_DEP_1) | instskip(NEXT) | instid1(VALU_DEP_1)
	v_mul_lo_u32 v5, 0x89, v7
	v_and_b32_e32 v5, 0x3ff, v5
	s_delay_alu instid0(VALU_DEP_1)
	v_lshl_add_u32 v8, v5, 2, 0
	ds_load_b32 v9, v8
	s_wait_dscnt 0x0
	s_wait_xcnt 0x0
	v_cmpx_ne_u32_e64 v9, v7
	s_cbranch_execz .LBB6_28
; %bb.30:                               ;   in Loop: Header=BB6_29 Depth=1
	s_mov_b32 s8, 0
	s_branch .LBB6_32
.LBB6_31:                               ;   in Loop: Header=BB6_32 Depth=2
	s_or_b32 exec_lo, exec_lo, s11
	s_delay_alu instid0(SALU_CYCLE_1) | instskip(NEXT) | instid1(SALU_CYCLE_1)
	s_and_b32 s9, exec_lo, s10
	s_or_b32 s8, s9, s8
	s_delay_alu instid0(SALU_CYCLE_1)
	s_and_not1_b32 exec_lo, exec_lo, s8
	s_cbranch_execz .LBB6_27
.LBB6_32:                               ;   Parent Loop BB6_29 Depth=1
                                        ; =>  This Inner Loop Header: Depth=2
	s_mov_b32 s9, 0
	s_mov_b32 s10, exec_lo
	v_cmpx_ne_u32_e64 s33, v9
	s_xor_b32 s10, exec_lo, s10
	s_cbranch_execz .LBB6_34
; %bb.33:                               ;   in Loop: Header=BB6_32 Depth=2
	v_add_nc_u32_e32 v5, 1, v5
	s_mov_b32 s9, exec_lo
                                        ; implicit-def: $vgpr8
	s_delay_alu instid0(VALU_DEP_1)
	v_and_b32_e32 v5, 0x3ff, v5
	s_and_not1_saveexec_b32 s10, s10
	s_cbranch_execz .LBB6_36
	s_branch .LBB6_35
.LBB6_34:                               ;   in Loop: Header=BB6_32 Depth=2
	s_and_not1_saveexec_b32 s10, s10
	s_cbranch_execz .LBB6_36
.LBB6_35:                               ;   in Loop: Header=BB6_32 Depth=2
	v_mov_b32_e32 v9, s33
	s_and_not1_b32 s9, s9, exec_lo
	ds_cmpstore_rtn_b32 v8, v8, v7, v9
	s_wait_dscnt 0x0
	v_cmp_ne_u32_e32 vcc_lo, s33, v8
	s_and_b32 s11, vcc_lo, exec_lo
	s_delay_alu instid0(SALU_CYCLE_1)
	s_or_b32 s9, s9, s11
.LBB6_36:                               ;   in Loop: Header=BB6_32 Depth=2
	s_or_b32 exec_lo, exec_lo, s10
	s_mov_b32 s10, -1
                                        ; implicit-def: $vgpr8
                                        ; implicit-def: $vgpr9
	s_and_saveexec_b32 s11, s9
	s_cbranch_execz .LBB6_31
; %bb.37:                               ;   in Loop: Header=BB6_32 Depth=2
	v_lshl_add_u32 v8, v5, 2, 0
	ds_load_b32 v9, v8
	s_wait_dscnt 0x0
	v_cmp_eq_u32_e32 vcc_lo, v9, v7
	s_or_not1_b32 s10, vcc_lo, exec_lo
	s_branch .LBB6_31
.LBB6_38:
	s_or_b32 exec_lo, exec_lo, s1
.LBB6_39:
	v_mbcnt_lo_u32_b32 v2, -1, 0
	v_mov_b32_e32 v3, 0
	v_lshl_add_u32 v7, v4, 2, 0
	s_wait_xcnt 0x0
	v_cmp_lt_u32_e64 s0, 31, v0
	v_cmp_lt_u32_e64 s1, 63, v0
	v_xor_b32_e32 v2, 31, v2
	v_cmp_lt_u32_e64 s2, 0x5f, v0
	v_cmp_lt_u32_e64 s3, 0x7f, v0
	v_cmp_lt_u32_e64 s4, 0x9f, v0
	v_cmp_lt_u32_e64 s5, 0xbf, v0
	v_lshrrev_b32_e64 v2, v2, -1
	v_cmp_lt_u32_e64 s6, 0xdf, v0
	v_cmp_lt_u32_e64 s7, 0xff, v0
	;; [unrolled: 1-line block ×9, first 2 shown]
	v_mov_b32_e32 v8, 0
	s_mov_b32 s16, 0
	s_wait_dscnt 0x0
	v_cmp_eq_u32_e32 vcc_lo, 0x1ff, v0
	s_barrier_signal -1
	s_barrier_wait -1
	s_branch .LBB6_41
.LBB6_40:                               ;   in Loop: Header=BB6_41 Depth=1
	s_or_b32 exec_lo, exec_lo, s15
	s_wait_dscnt 0x0
	s_barrier_signal -1
	s_barrier_wait -1
	ds_load_b32 v4, v3 offset:8252
	v_add_co_u32 v6, s15, 0x200, v6
	s_xor_b32 s15, s15, -1
	v_add_nc_u32_e32 v1, 0x800, v1
	s_and_b32 s15, exec_lo, s15
	s_delay_alu instid0(SALU_CYCLE_1)
	s_or_b32 s16, s15, s16
	s_wait_dscnt 0x0
	v_add_nc_u32_e32 v8, v4, v8
	s_and_not1_b32 exec_lo, exec_lo, s16
	s_cbranch_execz .LBB6_75
.LBB6_41:                               ; =>This Inner Loop Header: Depth=1
	ds_load_2addr_stride64_b32 v[4:5], v1 offset1:16
	s_wait_dscnt 0x0
	s_barrier_signal -1
	s_barrier_wait -1
	v_cmp_gt_i32_e64 s15, s33, v4
	s_bcnt1_i32_b32 s17, s15
	s_delay_alu instid0(SALU_CYCLE_1) | instskip(NEXT) | instid1(VALU_DEP_1)
	v_dual_mov_b32 v10, s17 :: v_dual_bitop2_b32 v9, s15, v2 bitop3:0x40
	v_bcnt_u32_b32 v9, v9, 0
	ds_store_b32 v7, v10 offset:8192
	s_wait_dscnt 0x0
	s_barrier_signal -1
	s_barrier_wait -1
	s_and_saveexec_b32 s17, s0
	s_cbranch_execz .LBB6_58
; %bb.42:                               ;   in Loop: Header=BB6_41 Depth=1
	ds_load_b32 v10, v3 offset:8192
	s_wait_dscnt 0x0
	v_add_nc_u32_e32 v9, v10, v9
	s_or_b32 exec_lo, exec_lo, s17
	s_and_saveexec_b32 s17, s1
	s_cbranch_execnz .LBB6_59
.LBB6_43:                               ;   in Loop: Header=BB6_41 Depth=1
	s_or_b32 exec_lo, exec_lo, s17
	s_and_saveexec_b32 s17, s2
	s_cbranch_execz .LBB6_60
.LBB6_44:                               ;   in Loop: Header=BB6_41 Depth=1
	ds_load_b32 v10, v3 offset:8200
	s_wait_dscnt 0x0
	v_add_nc_u32_e32 v9, v10, v9
	s_or_b32 exec_lo, exec_lo, s17
	s_and_saveexec_b32 s17, s3
	s_cbranch_execnz .LBB6_61
.LBB6_45:                               ;   in Loop: Header=BB6_41 Depth=1
	s_or_b32 exec_lo, exec_lo, s17
	s_and_saveexec_b32 s17, s4
	s_cbranch_execz .LBB6_62
.LBB6_46:                               ;   in Loop: Header=BB6_41 Depth=1
	ds_load_b32 v10, v3 offset:8208
	s_wait_dscnt 0x0
	v_add_nc_u32_e32 v9, v10, v9
	s_or_b32 exec_lo, exec_lo, s17
	s_and_saveexec_b32 s17, s5
	s_cbranch_execnz .LBB6_63
.LBB6_47:                               ;   in Loop: Header=BB6_41 Depth=1
	s_or_b32 exec_lo, exec_lo, s17
	s_and_saveexec_b32 s17, s6
	s_cbranch_execz .LBB6_64
.LBB6_48:                               ;   in Loop: Header=BB6_41 Depth=1
	ds_load_b32 v10, v3 offset:8216
	s_wait_dscnt 0x0
	v_add_nc_u32_e32 v9, v10, v9
	s_or_b32 exec_lo, exec_lo, s17
	s_and_saveexec_b32 s17, s7
	s_cbranch_execnz .LBB6_65
.LBB6_49:                               ;   in Loop: Header=BB6_41 Depth=1
	s_or_b32 exec_lo, exec_lo, s17
	s_and_saveexec_b32 s17, s8
	s_cbranch_execz .LBB6_66
.LBB6_50:                               ;   in Loop: Header=BB6_41 Depth=1
	ds_load_b32 v10, v3 offset:8224
	s_wait_dscnt 0x0
	v_add_nc_u32_e32 v9, v10, v9
	s_or_b32 exec_lo, exec_lo, s17
	s_and_saveexec_b32 s17, s9
	s_cbranch_execnz .LBB6_67
.LBB6_51:                               ;   in Loop: Header=BB6_41 Depth=1
	s_or_b32 exec_lo, exec_lo, s17
	s_and_saveexec_b32 s17, s10
	s_cbranch_execz .LBB6_68
.LBB6_52:                               ;   in Loop: Header=BB6_41 Depth=1
	ds_load_b32 v10, v3 offset:8232
	s_wait_dscnt 0x0
	v_add_nc_u32_e32 v9, v10, v9
	s_or_b32 exec_lo, exec_lo, s17
	s_and_saveexec_b32 s17, s11
	s_cbranch_execnz .LBB6_69
.LBB6_53:                               ;   in Loop: Header=BB6_41 Depth=1
	s_or_b32 exec_lo, exec_lo, s17
	s_and_saveexec_b32 s17, s12
	s_cbranch_execz .LBB6_70
.LBB6_54:                               ;   in Loop: Header=BB6_41 Depth=1
	ds_load_b32 v10, v3 offset:8240
	s_wait_dscnt 0x0
	v_add_nc_u32_e32 v9, v10, v9
	s_or_b32 exec_lo, exec_lo, s17
	s_and_saveexec_b32 s17, s13
	s_cbranch_execnz .LBB6_71
.LBB6_55:                               ;   in Loop: Header=BB6_41 Depth=1
	s_or_b32 exec_lo, exec_lo, s17
	s_and_saveexec_b32 s17, s14
	s_cbranch_execz .LBB6_72
.LBB6_56:                               ;   in Loop: Header=BB6_41 Depth=1
	ds_load_b32 v10, v3 offset:8248
	s_wait_dscnt 0x0
	v_add_nc_u32_e32 v9, v10, v9
	s_or_b32 exec_lo, exec_lo, s17
	s_and_saveexec_b32 s17, s15
	s_cbranch_execnz .LBB6_73
.LBB6_57:                               ;   in Loop: Header=BB6_41 Depth=1
	s_or_b32 exec_lo, exec_lo, s17
	s_and_saveexec_b32 s15, vcc_lo
	s_cbranch_execz .LBB6_40
	s_branch .LBB6_74
.LBB6_58:                               ;   in Loop: Header=BB6_41 Depth=1
	s_or_b32 exec_lo, exec_lo, s17
	s_and_saveexec_b32 s17, s1
	s_cbranch_execz .LBB6_43
.LBB6_59:                               ;   in Loop: Header=BB6_41 Depth=1
	ds_load_b32 v10, v3 offset:8196
	s_wait_dscnt 0x0
	v_add_nc_u32_e32 v9, v10, v9
	s_or_b32 exec_lo, exec_lo, s17
	s_and_saveexec_b32 s17, s2
	s_cbranch_execnz .LBB6_44
.LBB6_60:                               ;   in Loop: Header=BB6_41 Depth=1
	s_or_b32 exec_lo, exec_lo, s17
	s_and_saveexec_b32 s17, s3
	s_cbranch_execz .LBB6_45
.LBB6_61:                               ;   in Loop: Header=BB6_41 Depth=1
	ds_load_b32 v10, v3 offset:8204
	s_wait_dscnt 0x0
	v_add_nc_u32_e32 v9, v10, v9
	s_or_b32 exec_lo, exec_lo, s17
	s_and_saveexec_b32 s17, s4
	s_cbranch_execnz .LBB6_46
.LBB6_62:                               ;   in Loop: Header=BB6_41 Depth=1
	s_or_b32 exec_lo, exec_lo, s17
	s_and_saveexec_b32 s17, s5
	s_cbranch_execz .LBB6_47
.LBB6_63:                               ;   in Loop: Header=BB6_41 Depth=1
	ds_load_b32 v10, v3 offset:8212
	s_wait_dscnt 0x0
	v_add_nc_u32_e32 v9, v10, v9
	s_or_b32 exec_lo, exec_lo, s17
	s_and_saveexec_b32 s17, s6
	s_cbranch_execnz .LBB6_48
.LBB6_64:                               ;   in Loop: Header=BB6_41 Depth=1
	s_or_b32 exec_lo, exec_lo, s17
	s_and_saveexec_b32 s17, s7
	s_cbranch_execz .LBB6_49
.LBB6_65:                               ;   in Loop: Header=BB6_41 Depth=1
	ds_load_b32 v10, v3 offset:8220
	s_wait_dscnt 0x0
	v_add_nc_u32_e32 v9, v10, v9
	s_or_b32 exec_lo, exec_lo, s17
	s_and_saveexec_b32 s17, s8
	s_cbranch_execnz .LBB6_50
.LBB6_66:                               ;   in Loop: Header=BB6_41 Depth=1
	s_or_b32 exec_lo, exec_lo, s17
	s_and_saveexec_b32 s17, s9
	s_cbranch_execz .LBB6_51
.LBB6_67:                               ;   in Loop: Header=BB6_41 Depth=1
	ds_load_b32 v10, v3 offset:8228
	s_wait_dscnt 0x0
	v_add_nc_u32_e32 v9, v10, v9
	s_or_b32 exec_lo, exec_lo, s17
	s_and_saveexec_b32 s17, s10
	s_cbranch_execnz .LBB6_52
.LBB6_68:                               ;   in Loop: Header=BB6_41 Depth=1
	s_or_b32 exec_lo, exec_lo, s17
	s_and_saveexec_b32 s17, s11
	s_cbranch_execz .LBB6_53
.LBB6_69:                               ;   in Loop: Header=BB6_41 Depth=1
	ds_load_b32 v10, v3 offset:8236
	s_wait_dscnt 0x0
	v_add_nc_u32_e32 v9, v10, v9
	s_or_b32 exec_lo, exec_lo, s17
	s_and_saveexec_b32 s17, s12
	s_cbranch_execnz .LBB6_54
.LBB6_70:                               ;   in Loop: Header=BB6_41 Depth=1
	s_or_b32 exec_lo, exec_lo, s17
	s_and_saveexec_b32 s17, s13
	s_cbranch_execz .LBB6_55
.LBB6_71:                               ;   in Loop: Header=BB6_41 Depth=1
	ds_load_b32 v10, v3 offset:8244
	s_wait_dscnt 0x0
	v_add_nc_u32_e32 v9, v10, v9
	s_or_b32 exec_lo, exec_lo, s17
	s_and_saveexec_b32 s17, s14
	s_cbranch_execnz .LBB6_56
.LBB6_72:                               ;   in Loop: Header=BB6_41 Depth=1
	s_or_b32 exec_lo, exec_lo, s17
	s_and_saveexec_b32 s17, s15
	s_cbranch_execz .LBB6_57
.LBB6_73:                               ;   in Loop: Header=BB6_41 Depth=1
	s_delay_alu instid0(VALU_DEP_1) | instskip(SKIP_1) | instid1(VALU_DEP_2)
	v_add3_u32 v10, v8, -1, v9
	v_add_nc_u32_e32 v11, v8, v9
	v_lshl_add_u32 v10, v10, 2, 0
	s_delay_alu instid0(VALU_DEP_2)
	v_lshl_add_u32 v11, v11, 2, 0
	ds_store_b32 v10, v4
	ds_store_b32 v11, v5 offset:4092
	s_or_b32 exec_lo, exec_lo, s17
	s_and_saveexec_b32 s15, vcc_lo
	s_cbranch_execz .LBB6_40
.LBB6_74:                               ;   in Loop: Header=BB6_41 Depth=1
	ds_store_b32 v3, v9 offset:8252
	s_branch .LBB6_40
.LBB6_75:
	s_or_b32 exec_lo, exec_lo, s16
	s_wait_kmcnt 0x0
	s_ashr_i32 s21, s20, 31
	s_delay_alu instid0(SALU_CYCLE_1) | instskip(NEXT) | instid1(SALU_CYCLE_1)
	s_lshl_b64 s[0:1], s[20:21], 2
	s_add_nc_u64 s[2:3], s[26:27], s[0:1]
	s_load_b64 s[0:1], s[2:3], 0x0
	s_wait_kmcnt 0x0
	s_sub_co_i32 s4, s1, s0
	s_mov_b32 s1, exec_lo
	v_cmpx_gt_i32_e64 s4, v0
	s_cbranch_execz .LBB6_89
; %bb.76:
	v_sub_co_u32 v1, s1, s4, 2
	s_sub_co_i32 s2, s0, s18
	s_xor_b32 s6, s1, -1
	s_and_b32 s5, s4, -2
	v_readfirstlane_b32 s3, v1
	s_lshr_b32 s0, s3, 1
	s_mov_b32 s3, 0
	s_add_co_i32 s0, s0, 1
	s_mov_b32 s11, s3
	s_and_b32 s1, s0, 7
	s_and_b32 s7, s0, -8
	s_cmp_lg_u32 s1, 0
	v_cmp_lt_u32_e64 s0, 13, v1
	s_cselect_b32 s8, -1, 0
	s_cmp_lg_u32 s4, s5
	s_cselect_b32 s9, -1, 0
	s_lshl_b32 s10, s1, 3
	s_branch .LBB6_78
.LBB6_77:                               ;   in Loop: Header=BB6_78 Depth=1
	v_add_nc_u32_e32 v0, 0x200, v0
	s_wait_dscnt 0x0
	global_store_b32 v1, v3, s[24:25] scale_offset
	v_cmp_le_i32_e32 vcc_lo, s4, v0
	s_or_b32 s11, vcc_lo, s11
	s_wait_xcnt 0x0
	s_and_not1_b32 exec_lo, exec_lo, s11
	s_cbranch_execz .LBB6_89
.LBB6_78:                               ; =>This Loop Header: Depth=1
                                        ;     Child Loop BB6_81 Depth 2
                                        ;     Child Loop BB6_84 Depth 2
	;; [unrolled: 1-line block ×3, first 2 shown]
	v_lshl_add_u32 v1, v0, 2, 0
	s_and_not1_b32 vcc_lo, exec_lo, s6
	s_mov_b32 s1, 0
	s_mov_b32 s12, -1
	ds_load_2addr_stride64_b32 v[2:3], v1 offset1:16
	v_mov_b32_e32 v1, s2
	s_cbranch_vccnz .LBB6_86
; %bb.79:                               ;   in Loop: Header=BB6_78 Depth=1
	v_mov_b64_e32 v[4:5], s[2:3]
	s_and_not1_b32 vcc_lo, exec_lo, s0
	s_mov_b32 s12, 0
	s_cbranch_vccnz .LBB6_82
; %bb.80:                               ;   in Loop: Header=BB6_78 Depth=1
	v_dual_mov_b32 v4, s2 :: v_dual_mov_b32 v5, 0
	s_mov_b32 s13, 0
	s_mov_b32 s14, s7
.LBB6_81:                               ;   Parent Loop BB6_78 Depth=1
                                        ; =>  This Inner Loop Header: Depth=2
	v_mov_b32_e32 v1, s13
	s_add_co_i32 s14, s14, -8
	s_add_co_i32 s12, s12, 16
	s_add_co_i32 s13, s13, 64
	s_cmp_lg_u32 s14, 0
	ds_load_2addr_b32 v[6:7], v1 offset1:1
	ds_load_2addr_b32 v[8:9], v1 offset0:2 offset1:3
	ds_load_2addr_b32 v[10:11], v1 offset0:4 offset1:5
	;; [unrolled: 1-line block ×7, first 2 shown]
	s_wait_dscnt 0x7
	v_cmp_gt_i32_e32 vcc_lo, v2, v7
	s_wait_dscnt 0x5
	v_cmp_gt_i32_e64 s1, v2, v10
	v_cndmask_b32_e64 v1, 0, 1, vcc_lo
	v_cmp_gt_i32_e32 vcc_lo, v2, v6
	s_delay_alu instid0(VALU_DEP_3) | instskip(SKIP_3) | instid1(VALU_DEP_3)
	v_cndmask_b32_e64 v7, 0, 1, s1
	v_cmp_gt_i32_e64 s1, v2, v11
	v_cndmask_b32_e64 v6, 0, 1, vcc_lo
	v_cmp_gt_i32_e32 vcc_lo, v2, v8
	v_cndmask_b32_e64 v8, 0, 1, s1
	s_wait_dscnt 0x4
	v_cmp_gt_i32_e64 s1, v2, v13
	v_add_co_ci_u32_e64 v4, null, v4, v6, vcc_lo
	s_delay_alu instid0(VALU_DEP_2) | instskip(SKIP_3) | instid1(VALU_DEP_2)
	v_cndmask_b32_e64 v10, 0, 1, s1
	v_cmp_gt_i32_e64 s1, v2, v12
	s_wait_dscnt 0x2
	v_cmp_gt_i32_e32 vcc_lo, v2, v16
	v_cndmask_b32_e64 v11, 0, 1, s1
	v_cmp_gt_i32_e64 s1, v2, v14
	v_add_co_ci_u32_e64 v4, null, v4, v7, vcc_lo
	s_wait_dscnt 0x1
	v_cmp_gt_i32_e32 vcc_lo, v2, v18
	s_delay_alu instid0(VALU_DEP_3) | instskip(SKIP_4) | instid1(VALU_DEP_3)
	v_cndmask_b32_e64 v12, 0, 1, s1
	v_cmp_gt_i32_e64 s1, v2, v15
	v_add_co_ci_u32_e64 v4, null, v4, v11, vcc_lo
	s_wait_dscnt 0x0
	v_cmp_gt_i32_e32 vcc_lo, v2, v20
	v_cndmask_b32_e64 v13, 0, 1, s1
	v_cmp_gt_i32_e64 s1, v2, v9
	v_add_co_ci_u32_e64 v4, null, v4, v12, vcc_lo
	s_delay_alu instid0(VALU_DEP_2) | instskip(SKIP_1) | instid1(VALU_DEP_1)
	v_add_co_ci_u32_e64 v1, null, v5, v1, s1
	v_cmp_gt_i32_e64 s1, v2, v17
	v_add_co_ci_u32_e64 v1, null, v1, v8, s1
	v_cmp_gt_i32_e64 s1, v2, v19
	s_delay_alu instid0(VALU_DEP_1) | instskip(SKIP_1) | instid1(VALU_DEP_1)
	v_add_co_ci_u32_e64 v1, null, v1, v10, s1
	v_cmp_gt_i32_e64 s1, v2, v21
	v_add_co_ci_u32_e64 v5, null, v1, v13, s1
	s_cbranch_scc1 .LBB6_81
.LBB6_82:                               ;   in Loop: Header=BB6_78 Depth=1
	s_and_not1_b32 vcc_lo, exec_lo, s8
	s_cbranch_vccnz .LBB6_85
; %bb.83:                               ;   in Loop: Header=BB6_78 Depth=1
	s_lshl_b32 s1, s12, 2
	s_mov_b32 s12, s10
	s_add_co_i32 s1, s1, 0
.LBB6_84:                               ;   Parent Loop BB6_78 Depth=1
                                        ; =>  This Inner Loop Header: Depth=2
	s_delay_alu instid0(SALU_CYCLE_1)
	v_mov_b32_e32 v1, s1
	s_add_co_i32 s12, s12, -8
	s_add_co_i32 s1, s1, 8
	s_cmp_lg_u32 s12, 0
	ds_load_2addr_b32 v[6:7], v1 offset1:1
	s_wait_dscnt 0x0
	v_cmp_gt_i32_e32 vcc_lo, v2, v7
	v_add_co_ci_u32_e64 v5, null, 0, v5, vcc_lo
	v_cmp_gt_i32_e32 vcc_lo, v2, v6
	v_add_co_ci_u32_e64 v4, null, 0, v4, vcc_lo
	s_cbranch_scc1 .LBB6_84
.LBB6_85:                               ;   in Loop: Header=BB6_78 Depth=1
	s_delay_alu instid0(VALU_DEP_1)
	v_add_nc_u32_e32 v1, v4, v5
	s_mov_b32 s1, s5
	s_mov_b32 s12, s9
.LBB6_86:                               ;   in Loop: Header=BB6_78 Depth=1
	s_delay_alu instid0(SALU_CYCLE_1)
	s_and_b32 vcc_lo, exec_lo, s12
	s_cbranch_vccz .LBB6_77
; %bb.87:                               ;   in Loop: Header=BB6_78 Depth=1
	s_lshl_b32 s12, s1, 2
	s_delay_alu instid0(SALU_CYCLE_1)
	s_add_co_i32 s12, s12, 0
.LBB6_88:                               ;   Parent Loop BB6_78 Depth=1
                                        ; =>  This Inner Loop Header: Depth=2
	s_delay_alu instid0(SALU_CYCLE_1)
	v_mov_b32_e32 v4, s12
	s_add_co_i32 s1, s1, 1
	s_add_co_i32 s12, s12, 4
	s_cmp_ge_i32 s1, s4
	ds_load_b32 v4, v4
	s_wait_dscnt 0x0
	v_cmp_gt_i32_e32 vcc_lo, v2, v4
	v_add_co_ci_u32_e64 v1, null, 0, v1, vcc_lo
	s_cbranch_scc0 .LBB6_88
	s_branch .LBB6_77
.LBB6_89:
	s_endpgm
	.section	.rodata,"a",@progbits
	.p2align	6, 0x0
	.amdhsa_kernel _ZN9rocsparseL41csrgemm_numeric_fill_block_per_row_kernelILj512ELj32ELj1024ELj137ELj32EiifEEvT5_PKS1_S3_NS_24const_host_device_scalarIT6_EEPKT4_S3_PKS5_S9_S3_SB_S6_S9_S3_SB_S9_S3_PS5_21rocsparse_index_base_SD_SD_SD_bbb
		.amdhsa_group_segment_fixed_size 0
		.amdhsa_private_segment_fixed_size 0
		.amdhsa_kernarg_size 156
		.amdhsa_user_sgpr_count 2
		.amdhsa_user_sgpr_dispatch_ptr 0
		.amdhsa_user_sgpr_queue_ptr 0
		.amdhsa_user_sgpr_kernarg_segment_ptr 1
		.amdhsa_user_sgpr_dispatch_id 0
		.amdhsa_user_sgpr_kernarg_preload_length 0
		.amdhsa_user_sgpr_kernarg_preload_offset 0
		.amdhsa_user_sgpr_private_segment_size 0
		.amdhsa_wavefront_size32 1
		.amdhsa_uses_dynamic_stack 0
		.amdhsa_enable_private_segment 0
		.amdhsa_system_sgpr_workgroup_id_x 1
		.amdhsa_system_sgpr_workgroup_id_y 0
		.amdhsa_system_sgpr_workgroup_id_z 0
		.amdhsa_system_sgpr_workgroup_info 0
		.amdhsa_system_vgpr_workitem_id 0
		.amdhsa_next_free_vgpr 22
		.amdhsa_next_free_sgpr 40
		.amdhsa_named_barrier_count 0
		.amdhsa_reserve_vcc 1
		.amdhsa_float_round_mode_32 0
		.amdhsa_float_round_mode_16_64 0
		.amdhsa_float_denorm_mode_32 3
		.amdhsa_float_denorm_mode_16_64 3
		.amdhsa_fp16_overflow 0
		.amdhsa_memory_ordered 1
		.amdhsa_forward_progress 1
		.amdhsa_inst_pref_size 27
		.amdhsa_round_robin_scheduling 0
		.amdhsa_exception_fp_ieee_invalid_op 0
		.amdhsa_exception_fp_denorm_src 0
		.amdhsa_exception_fp_ieee_div_zero 0
		.amdhsa_exception_fp_ieee_overflow 0
		.amdhsa_exception_fp_ieee_underflow 0
		.amdhsa_exception_fp_ieee_inexact 0
		.amdhsa_exception_int_div_zero 0
	.end_amdhsa_kernel
	.section	.text._ZN9rocsparseL41csrgemm_numeric_fill_block_per_row_kernelILj512ELj32ELj1024ELj137ELj32EiifEEvT5_PKS1_S3_NS_24const_host_device_scalarIT6_EEPKT4_S3_PKS5_S9_S3_SB_S6_S9_S3_SB_S9_S3_PS5_21rocsparse_index_base_SD_SD_SD_bbb,"axG",@progbits,_ZN9rocsparseL41csrgemm_numeric_fill_block_per_row_kernelILj512ELj32ELj1024ELj137ELj32EiifEEvT5_PKS1_S3_NS_24const_host_device_scalarIT6_EEPKT4_S3_PKS5_S9_S3_SB_S6_S9_S3_SB_S9_S3_PS5_21rocsparse_index_base_SD_SD_SD_bbb,comdat
.Lfunc_end6:
	.size	_ZN9rocsparseL41csrgemm_numeric_fill_block_per_row_kernelILj512ELj32ELj1024ELj137ELj32EiifEEvT5_PKS1_S3_NS_24const_host_device_scalarIT6_EEPKT4_S3_PKS5_S9_S3_SB_S6_S9_S3_SB_S9_S3_PS5_21rocsparse_index_base_SD_SD_SD_bbb, .Lfunc_end6-_ZN9rocsparseL41csrgemm_numeric_fill_block_per_row_kernelILj512ELj32ELj1024ELj137ELj32EiifEEvT5_PKS1_S3_NS_24const_host_device_scalarIT6_EEPKT4_S3_PKS5_S9_S3_SB_S6_S9_S3_SB_S9_S3_PS5_21rocsparse_index_base_SD_SD_SD_bbb
                                        ; -- End function
	.set _ZN9rocsparseL41csrgemm_numeric_fill_block_per_row_kernelILj512ELj32ELj1024ELj137ELj32EiifEEvT5_PKS1_S3_NS_24const_host_device_scalarIT6_EEPKT4_S3_PKS5_S9_S3_SB_S6_S9_S3_SB_S9_S3_PS5_21rocsparse_index_base_SD_SD_SD_bbb.num_vgpr, 22
	.set _ZN9rocsparseL41csrgemm_numeric_fill_block_per_row_kernelILj512ELj32ELj1024ELj137ELj32EiifEEvT5_PKS1_S3_NS_24const_host_device_scalarIT6_EEPKT4_S3_PKS5_S9_S3_SB_S6_S9_S3_SB_S9_S3_PS5_21rocsparse_index_base_SD_SD_SD_bbb.num_agpr, 0
	.set _ZN9rocsparseL41csrgemm_numeric_fill_block_per_row_kernelILj512ELj32ELj1024ELj137ELj32EiifEEvT5_PKS1_S3_NS_24const_host_device_scalarIT6_EEPKT4_S3_PKS5_S9_S3_SB_S6_S9_S3_SB_S9_S3_PS5_21rocsparse_index_base_SD_SD_SD_bbb.numbered_sgpr, 40
	.set _ZN9rocsparseL41csrgemm_numeric_fill_block_per_row_kernelILj512ELj32ELj1024ELj137ELj32EiifEEvT5_PKS1_S3_NS_24const_host_device_scalarIT6_EEPKT4_S3_PKS5_S9_S3_SB_S6_S9_S3_SB_S9_S3_PS5_21rocsparse_index_base_SD_SD_SD_bbb.num_named_barrier, 0
	.set _ZN9rocsparseL41csrgemm_numeric_fill_block_per_row_kernelILj512ELj32ELj1024ELj137ELj32EiifEEvT5_PKS1_S3_NS_24const_host_device_scalarIT6_EEPKT4_S3_PKS5_S9_S3_SB_S6_S9_S3_SB_S9_S3_PS5_21rocsparse_index_base_SD_SD_SD_bbb.private_seg_size, 0
	.set _ZN9rocsparseL41csrgemm_numeric_fill_block_per_row_kernelILj512ELj32ELj1024ELj137ELj32EiifEEvT5_PKS1_S3_NS_24const_host_device_scalarIT6_EEPKT4_S3_PKS5_S9_S3_SB_S6_S9_S3_SB_S9_S3_PS5_21rocsparse_index_base_SD_SD_SD_bbb.uses_vcc, 1
	.set _ZN9rocsparseL41csrgemm_numeric_fill_block_per_row_kernelILj512ELj32ELj1024ELj137ELj32EiifEEvT5_PKS1_S3_NS_24const_host_device_scalarIT6_EEPKT4_S3_PKS5_S9_S3_SB_S6_S9_S3_SB_S9_S3_PS5_21rocsparse_index_base_SD_SD_SD_bbb.uses_flat_scratch, 0
	.set _ZN9rocsparseL41csrgemm_numeric_fill_block_per_row_kernelILj512ELj32ELj1024ELj137ELj32EiifEEvT5_PKS1_S3_NS_24const_host_device_scalarIT6_EEPKT4_S3_PKS5_S9_S3_SB_S6_S9_S3_SB_S9_S3_PS5_21rocsparse_index_base_SD_SD_SD_bbb.has_dyn_sized_stack, 0
	.set _ZN9rocsparseL41csrgemm_numeric_fill_block_per_row_kernelILj512ELj32ELj1024ELj137ELj32EiifEEvT5_PKS1_S3_NS_24const_host_device_scalarIT6_EEPKT4_S3_PKS5_S9_S3_SB_S6_S9_S3_SB_S9_S3_PS5_21rocsparse_index_base_SD_SD_SD_bbb.has_recursion, 0
	.set _ZN9rocsparseL41csrgemm_numeric_fill_block_per_row_kernelILj512ELj32ELj1024ELj137ELj32EiifEEvT5_PKS1_S3_NS_24const_host_device_scalarIT6_EEPKT4_S3_PKS5_S9_S3_SB_S6_S9_S3_SB_S9_S3_PS5_21rocsparse_index_base_SD_SD_SD_bbb.has_indirect_call, 0
	.section	.AMDGPU.csdata,"",@progbits
; Kernel info:
; codeLenInByte = 3364
; TotalNumSgprs: 42
; NumVgprs: 22
; ScratchSize: 0
; MemoryBound: 0
; FloatMode: 240
; IeeeMode: 1
; LDSByteSize: 0 bytes/workgroup (compile time only)
; SGPRBlocks: 0
; VGPRBlocks: 1
; NumSGPRsForWavesPerEU: 42
; NumVGPRsForWavesPerEU: 22
; NamedBarCnt: 0
; Occupancy: 16
; WaveLimiterHint : 1
; COMPUTE_PGM_RSRC2:SCRATCH_EN: 0
; COMPUTE_PGM_RSRC2:USER_SGPR: 2
; COMPUTE_PGM_RSRC2:TRAP_HANDLER: 0
; COMPUTE_PGM_RSRC2:TGID_X_EN: 1
; COMPUTE_PGM_RSRC2:TGID_Y_EN: 0
; COMPUTE_PGM_RSRC2:TGID_Z_EN: 0
; COMPUTE_PGM_RSRC2:TIDIG_COMP_CNT: 0
	.section	.text._ZN9rocsparseL41csrgemm_numeric_fill_block_per_row_kernelILj512ELj32ELj1024ELj137ELj64EiifEEvT5_PKS1_S3_NS_24const_host_device_scalarIT6_EEPKT4_S3_PKS5_S9_S3_SB_S6_S9_S3_SB_S9_S3_PS5_21rocsparse_index_base_SD_SD_SD_bbb,"axG",@progbits,_ZN9rocsparseL41csrgemm_numeric_fill_block_per_row_kernelILj512ELj32ELj1024ELj137ELj64EiifEEvT5_PKS1_S3_NS_24const_host_device_scalarIT6_EEPKT4_S3_PKS5_S9_S3_SB_S6_S9_S3_SB_S9_S3_PS5_21rocsparse_index_base_SD_SD_SD_bbb,comdat
	.globl	_ZN9rocsparseL41csrgemm_numeric_fill_block_per_row_kernelILj512ELj32ELj1024ELj137ELj64EiifEEvT5_PKS1_S3_NS_24const_host_device_scalarIT6_EEPKT4_S3_PKS5_S9_S3_SB_S6_S9_S3_SB_S9_S3_PS5_21rocsparse_index_base_SD_SD_SD_bbb ; -- Begin function _ZN9rocsparseL41csrgemm_numeric_fill_block_per_row_kernelILj512ELj32ELj1024ELj137ELj64EiifEEvT5_PKS1_S3_NS_24const_host_device_scalarIT6_EEPKT4_S3_PKS5_S9_S3_SB_S6_S9_S3_SB_S9_S3_PS5_21rocsparse_index_base_SD_SD_SD_bbb
	.p2align	8
	.type	_ZN9rocsparseL41csrgemm_numeric_fill_block_per_row_kernelILj512ELj32ELj1024ELj137ELj64EiifEEvT5_PKS1_S3_NS_24const_host_device_scalarIT6_EEPKT4_S3_PKS5_S9_S3_SB_S6_S9_S3_SB_S9_S3_PS5_21rocsparse_index_base_SD_SD_SD_bbb,@function
_ZN9rocsparseL41csrgemm_numeric_fill_block_per_row_kernelILj512ELj32ELj1024ELj137ELj64EiifEEvT5_PKS1_S3_NS_24const_host_device_scalarIT6_EEPKT4_S3_PKS5_S9_S3_SB_S6_S9_S3_SB_S9_S3_PS5_21rocsparse_index_base_SD_SD_SD_bbb: ; @_ZN9rocsparseL41csrgemm_numeric_fill_block_per_row_kernelILj512ELj32ELj1024ELj137ELj64EiifEEvT5_PKS1_S3_NS_24const_host_device_scalarIT6_EEPKT4_S3_PKS5_S9_S3_SB_S6_S9_S3_SB_S9_S3_PS5_21rocsparse_index_base_SD_SD_SD_bbb
; %bb.0:
	s_clause 0x3
	s_load_b32 s18, s[0:1], 0x98
	s_load_b64 s[2:3], s[0:1], 0x18
	s_load_b128 s[8:11], s[0:1], 0x88
	s_load_b64 s[16:17], s[0:1], 0x50
	s_wait_kmcnt 0x0
	s_and_b32 s4, 1, s18
	s_bitcmp1_b32 s18, 16
	s_cselect_b32 s19, -1, 0
	s_cmp_eq_u32 s4, 1
	s_cselect_b32 s37, -1, 0
	s_delay_alu instid0(SALU_CYCLE_1) | instskip(SKIP_2) | instid1(SALU_CYCLE_1)
	s_and_b32 s4, s37, exec_lo
	s_cselect_b32 s35, s2, 0
	s_xor_b32 s4, s37, -1
	s_or_b32 s4, s19, s4
	s_delay_alu instid0(SALU_CYCLE_1)
	s_and_b32 vcc_lo, exec_lo, s4
	s_cbranch_vccnz .LBB7_2
; %bb.1:
	s_load_b32 s35, s[2:3], 0x0
.LBB7_2:
	s_clause 0x3
	s_load_b64 s[24:25], s[0:1], 0x80
	s_load_b128 s[4:7], s[0:1], 0x60
	s_load_b128 s[12:15], s[0:1], 0x40
	;; [unrolled: 1-line block ×3, first 2 shown]
	s_wait_xcnt 0x0
	s_load_b64 s[2:3], s[0:1], 0x28
	s_bitcmp1_b32 s18, 8
	s_cselect_b32 s36, -1, 0
	s_delay_alu instid0(SALU_CYCLE_1) | instskip(SKIP_2) | instid1(SALU_CYCLE_1)
	s_and_b32 s18, s36, exec_lo
	s_cselect_b32 s34, s16, 0
	s_xor_b32 s18, s36, -1
	s_or_b32 s18, s19, s18
	s_delay_alu instid0(SALU_CYCLE_1)
	s_and_b32 vcc_lo, exec_lo, s18
	s_cbranch_vccnz .LBB7_4
; %bb.3:
	s_load_b32 s34, s[16:17], 0x0
.LBB7_4:
	s_clause 0x3
	s_load_b32 s33, s[0:1], 0x0
	s_load_b64 s[30:31], s[0:1], 0x20
	s_load_b64 s[26:27], s[0:1], 0x70
	s_load_b64 s[28:29], s[0:1], 0x58
	s_wait_xcnt 0x0
	s_load_b128 s[16:19], s[0:1], 0x30
	v_lshl_add_u32 v1, v0, 2, 0
	v_or_b32_e32 v6, 0xfffffe00, v0
	v_mov_b32_e32 v2, 0
	s_wait_xcnt 0x0
	s_mov_b32 s0, 0
	s_delay_alu instid0(VALU_DEP_2)
	v_dual_mov_b32 v3, v1 :: v_dual_mov_b32 v5, v6
	s_wait_kmcnt 0x0
	v_mov_b32_e32 v4, s33
.LBB7_5:                                ; =>This Inner Loop Header: Depth=1
	s_delay_alu instid0(VALU_DEP_2) | instskip(SKIP_4) | instid1(SALU_CYCLE_1)
	v_add_co_u32 v5, s1, 0x200, v5
	s_xor_b32 s1, s1, -1
	ds_store_2addr_stride64_b32 v3, v4, v2 offset1:16
	v_add_nc_u32_e32 v3, 0x800, v3
	s_and_b32 s1, exec_lo, s1
	s_or_b32 s0, s1, s0
	s_delay_alu instid0(SALU_CYCLE_1)
	s_and_not1_b32 exec_lo, exec_lo, s0
	s_cbranch_execnz .LBB7_5
; %bb.6:
	s_or_b32 exec_lo, exec_lo, s0
	s_wait_dscnt 0x0
	s_barrier_signal -1
	s_barrier_wait -1
	s_load_b32 s0, s[20:21], 0x0
	s_bfe_u32 s1, ttmp6, 0x4000c
	s_wait_xcnt 0x0
	s_and_b32 s20, ttmp6, 15
	s_add_co_i32 s1, s1, 1
	s_getreg_b32 s21, hwreg(HW_REG_IB_STS2, 6, 4)
	s_mul_i32 s1, ttmp9, s1
	s_delay_alu instid0(SALU_CYCLE_1)
	s_add_co_i32 s20, s20, s1
	s_cmp_eq_u32 s21, 0
	s_cselect_b32 s1, ttmp9, s20
	s_and_b32 vcc_lo, exec_lo, s37
	s_wait_kmcnt 0x0
	s_add_co_i32 s0, s0, s1
	s_load_b32 s20, s[22:23], s0 offset:0x0 scale_offset
	s_cbranch_vccz .LBB7_24
; %bb.7:
	s_wait_kmcnt 0x0
	s_ashr_i32 s21, s20, 31
	v_lshrrev_b32_e32 v2, 5, v0
	s_lshl_b64 s[0:1], s[20:21], 2
	s_delay_alu instid0(SALU_CYCLE_1) | instskip(NEXT) | instid1(VALU_DEP_1)
	s_add_nc_u64 s[0:1], s[30:31], s[0:1]
	v_subrev_nc_u32_e32 v2, s8, v2
	s_load_b64 s[22:23], s[0:1], 0x0
	s_wait_xcnt 0x0
	s_mov_b32 s1, exec_lo
	s_wait_kmcnt 0x0
	v_add_nc_u32_e32 v2, s22, v2
	s_sub_co_i32 s0, s23, s8
	s_delay_alu instid0(VALU_DEP_1) | instid1(SALU_CYCLE_1)
	v_cmpx_gt_i32_e64 s0, v2
	s_cbranch_execz .LBB7_23
; %bb.8:
	v_and_b32_e32 v3, 31, v0
	s_mov_b32 s21, 0
	s_delay_alu instid0(VALU_DEP_1)
	v_subrev_nc_u32_e32 v4, s9, v3
	s_branch .LBB7_10
.LBB7_9:                                ;   in Loop: Header=BB7_10 Depth=1
	s_or_b32 exec_lo, exec_lo, s22
	v_add_nc_u32_e32 v2, 16, v2
	s_delay_alu instid0(VALU_DEP_1) | instskip(SKIP_1) | instid1(SALU_CYCLE_1)
	v_cmp_le_i32_e32 vcc_lo, s0, v2
	s_or_b32 s21, vcc_lo, s21
	s_and_not1_b32 exec_lo, exec_lo, s21
	s_cbranch_execz .LBB7_23
.LBB7_10:                               ; =>This Loop Header: Depth=1
                                        ;     Child Loop BB7_14 Depth 2
                                        ;       Child Loop BB7_17 Depth 3
	global_load_b32 v3, v2, s[2:3] scale_offset
	s_mov_b32 s22, exec_lo
	s_wait_loadcnt 0x0
	v_subrev_nc_u32_e32 v8, s8, v3
	s_delay_alu instid0(VALU_DEP_1) | instskip(NEXT) | instid1(VALU_DEP_1)
	v_ashrrev_i32_e32 v9, 31, v8
	v_lshl_add_u64 v[8:9], v[8:9], 2, s[18:19]
	global_load_b64 v[8:9], v[8:9], off
	s_wait_loadcnt 0x0
	v_subrev_nc_u32_e32 v5, s9, v9
	v_add_nc_u32_e32 v7, v8, v4
	s_wait_xcnt 0x0
	s_delay_alu instid0(VALU_DEP_1)
	v_cmpx_lt_i32_e64 v7, v5
	s_cbranch_execz .LBB7_9
; %bb.11:                               ;   in Loop: Header=BB7_10 Depth=1
	v_ashrrev_i32_e32 v3, 31, v2
	s_mov_b32 s23, 0
	s_delay_alu instid0(VALU_DEP_1)
	v_lshl_add_u64 v[8:9], v[2:3], 2, s[16:17]
	global_load_b32 v3, v[8:9], off
	s_wait_loadcnt 0x0
	v_mul_f32_e32 v3, s35, v3
	s_branch .LBB7_14
.LBB7_12:                               ;   in Loop: Header=BB7_14 Depth=2
	s_or_b32 exec_lo, exec_lo, s31
.LBB7_13:                               ;   in Loop: Header=BB7_14 Depth=2
	s_delay_alu instid0(SALU_CYCLE_1) | instskip(SKIP_3) | instid1(VALU_DEP_2)
	s_or_b32 exec_lo, exec_lo, s30
	s_wait_loadcnt 0x0
	v_dual_mul_f32 v8, v3, v8 :: v_dual_add_nc_u32 v7, 32, v7
	v_lshl_add_u32 v9, v9, 2, 0
	v_cmp_ge_i32_e32 vcc_lo, v7, v5
	ds_add_f32 v9, v8 offset:4096
	s_or_b32 s23, vcc_lo, s23
	s_delay_alu instid0(SALU_CYCLE_1)
	s_and_not1_b32 exec_lo, exec_lo, s23
	s_cbranch_execz .LBB7_9
.LBB7_14:                               ;   Parent Loop BB7_10 Depth=1
                                        ; =>  This Loop Header: Depth=2
                                        ;       Child Loop BB7_17 Depth 3
	s_clause 0x1
	global_load_b32 v9, v7, s[12:13] scale_offset
	global_load_b32 v8, v7, s[14:15] scale_offset
	s_mov_b32 s30, exec_lo
	s_wait_loadcnt 0x1
	v_subrev_nc_u32_e32 v10, s9, v9
	s_delay_alu instid0(VALU_DEP_1) | instskip(NEXT) | instid1(VALU_DEP_1)
	v_mul_lo_u32 v9, 0x89, v10
	v_and_b32_e32 v9, 0x3ff, v9
	s_delay_alu instid0(VALU_DEP_1)
	v_lshl_add_u32 v11, v9, 2, 0
	ds_load_b32 v12, v11
	s_wait_dscnt 0x0
	s_wait_xcnt 0x0
	v_cmpx_ne_u32_e64 v12, v10
	s_cbranch_execz .LBB7_13
; %bb.15:                               ;   in Loop: Header=BB7_14 Depth=2
	s_mov_b32 s31, 0
	s_branch .LBB7_17
.LBB7_16:                               ;   in Loop: Header=BB7_17 Depth=3
	s_or_b32 exec_lo, exec_lo, s39
	s_delay_alu instid0(SALU_CYCLE_1) | instskip(NEXT) | instid1(SALU_CYCLE_1)
	s_and_b32 s37, exec_lo, s38
	s_or_b32 s31, s37, s31
	s_delay_alu instid0(SALU_CYCLE_1)
	s_and_not1_b32 exec_lo, exec_lo, s31
	s_cbranch_execz .LBB7_12
.LBB7_17:                               ;   Parent Loop BB7_10 Depth=1
                                        ;     Parent Loop BB7_14 Depth=2
                                        ; =>    This Inner Loop Header: Depth=3
	s_mov_b32 s37, 0
	s_mov_b32 s38, exec_lo
	v_cmpx_ne_u32_e64 s33, v12
	s_xor_b32 s38, exec_lo, s38
	s_cbranch_execz .LBB7_19
; %bb.18:                               ;   in Loop: Header=BB7_17 Depth=3
	v_add_nc_u32_e32 v9, 1, v9
	s_mov_b32 s37, exec_lo
                                        ; implicit-def: $vgpr11
	s_delay_alu instid0(VALU_DEP_1)
	v_and_b32_e32 v9, 0x3ff, v9
	s_and_not1_saveexec_b32 s38, s38
	s_cbranch_execz .LBB7_21
	s_branch .LBB7_20
.LBB7_19:                               ;   in Loop: Header=BB7_17 Depth=3
	s_and_not1_saveexec_b32 s38, s38
	s_cbranch_execz .LBB7_21
.LBB7_20:                               ;   in Loop: Header=BB7_17 Depth=3
	v_mov_b32_e32 v12, s33
	s_and_not1_b32 s37, s37, exec_lo
	ds_cmpstore_rtn_b32 v11, v11, v10, v12
	s_wait_dscnt 0x0
	v_cmp_ne_u32_e32 vcc_lo, s33, v11
	s_and_b32 s39, vcc_lo, exec_lo
	s_delay_alu instid0(SALU_CYCLE_1)
	s_or_b32 s37, s37, s39
.LBB7_21:                               ;   in Loop: Header=BB7_17 Depth=3
	s_or_b32 exec_lo, exec_lo, s38
	s_mov_b32 s38, -1
                                        ; implicit-def: $vgpr11
                                        ; implicit-def: $vgpr12
	s_and_saveexec_b32 s39, s37
	s_cbranch_execz .LBB7_16
; %bb.22:                               ;   in Loop: Header=BB7_17 Depth=3
	v_lshl_add_u32 v11, v9, 2, 0
	ds_load_b32 v12, v11
	s_wait_dscnt 0x0
	v_cmp_eq_u32_e32 vcc_lo, v12, v10
	s_or_not1_b32 s38, vcc_lo, exec_lo
	s_branch .LBB7_16
.LBB7_23:
	s_or_b32 exec_lo, exec_lo, s1
.LBB7_24:
	s_delay_alu instid0(SALU_CYCLE_1)
	s_and_not1_b32 vcc_lo, exec_lo, s36
	s_cbranch_vccnz .LBB7_39
; %bb.25:
	s_wait_kmcnt 0x0
	s_ashr_i32 s21, s20, 31
	v_subrev_nc_u32_e32 v2, s11, v0
	s_lshl_b64 s[0:1], s[20:21], 2
	s_delay_alu instid0(SALU_CYCLE_1)
	s_add_nc_u64 s[0:1], s[28:29], s[0:1]
	s_load_b64 s[2:3], s[0:1], 0x0
	s_wait_xcnt 0x0
	s_mov_b32 s1, exec_lo
	s_wait_kmcnt 0x0
	v_add_nc_u32_e32 v2, s2, v2
	s_sub_co_i32 s0, s3, s11
	s_delay_alu instid0(VALU_DEP_1) | instid1(SALU_CYCLE_1)
	v_cmpx_gt_i32_e64 s0, v2
	s_cbranch_execz .LBB7_38
; %bb.26:
	s_mov_b32 s2, 0
	s_branch .LBB7_29
.LBB7_27:                               ;   in Loop: Header=BB7_29 Depth=1
	s_or_b32 exec_lo, exec_lo, s8
.LBB7_28:                               ;   in Loop: Header=BB7_29 Depth=1
	s_delay_alu instid0(SALU_CYCLE_1) | instskip(SKIP_3) | instid1(VALU_DEP_2)
	s_or_b32 exec_lo, exec_lo, s3
	s_wait_loadcnt 0x0
	v_dual_mul_f32 v3, s34, v3 :: v_dual_add_nc_u32 v2, 0x200, v2
	v_lshl_add_u32 v4, v4, 2, 0
	v_cmp_le_i32_e32 vcc_lo, s0, v2
	ds_add_f32 v4, v3 offset:4096
	s_or_b32 s2, vcc_lo, s2
	s_delay_alu instid0(SALU_CYCLE_1)
	s_and_not1_b32 exec_lo, exec_lo, s2
	s_cbranch_execz .LBB7_38
.LBB7_29:                               ; =>This Loop Header: Depth=1
                                        ;     Child Loop BB7_32 Depth 2
	s_clause 0x1
	global_load_b32 v4, v2, s[4:5] scale_offset
	global_load_b32 v3, v2, s[6:7] scale_offset
	s_mov_b32 s3, exec_lo
	s_wait_loadcnt 0x1
	v_subrev_nc_u32_e32 v5, s11, v4
	s_delay_alu instid0(VALU_DEP_1) | instskip(NEXT) | instid1(VALU_DEP_1)
	v_mul_lo_u32 v4, 0x89, v5
	v_and_b32_e32 v4, 0x3ff, v4
	s_delay_alu instid0(VALU_DEP_1)
	v_lshl_add_u32 v7, v4, 2, 0
	ds_load_b32 v8, v7
	s_wait_dscnt 0x0
	s_wait_xcnt 0x0
	v_cmpx_ne_u32_e64 v8, v5
	s_cbranch_execz .LBB7_28
; %bb.30:                               ;   in Loop: Header=BB7_29 Depth=1
	s_mov_b32 s8, 0
	s_branch .LBB7_32
.LBB7_31:                               ;   in Loop: Header=BB7_32 Depth=2
	s_or_b32 exec_lo, exec_lo, s13
	s_delay_alu instid0(SALU_CYCLE_1) | instskip(NEXT) | instid1(SALU_CYCLE_1)
	s_and_b32 s9, exec_lo, s12
	s_or_b32 s8, s9, s8
	s_delay_alu instid0(SALU_CYCLE_1)
	s_and_not1_b32 exec_lo, exec_lo, s8
	s_cbranch_execz .LBB7_27
.LBB7_32:                               ;   Parent Loop BB7_29 Depth=1
                                        ; =>  This Inner Loop Header: Depth=2
	s_mov_b32 s9, 0
	s_mov_b32 s12, exec_lo
	v_cmpx_ne_u32_e64 s33, v8
	s_xor_b32 s12, exec_lo, s12
	s_cbranch_execz .LBB7_34
; %bb.33:                               ;   in Loop: Header=BB7_32 Depth=2
	v_add_nc_u32_e32 v4, 1, v4
	s_mov_b32 s9, exec_lo
                                        ; implicit-def: $vgpr7
	s_delay_alu instid0(VALU_DEP_1)
	v_and_b32_e32 v4, 0x3ff, v4
	s_and_not1_saveexec_b32 s12, s12
	s_cbranch_execz .LBB7_36
	s_branch .LBB7_35
.LBB7_34:                               ;   in Loop: Header=BB7_32 Depth=2
	s_and_not1_saveexec_b32 s12, s12
	s_cbranch_execz .LBB7_36
.LBB7_35:                               ;   in Loop: Header=BB7_32 Depth=2
	v_mov_b32_e32 v8, s33
	s_and_not1_b32 s9, s9, exec_lo
	ds_cmpstore_rtn_b32 v7, v7, v5, v8
	s_wait_dscnt 0x0
	v_cmp_ne_u32_e32 vcc_lo, s33, v7
	s_and_b32 s13, vcc_lo, exec_lo
	s_delay_alu instid0(SALU_CYCLE_1)
	s_or_b32 s9, s9, s13
.LBB7_36:                               ;   in Loop: Header=BB7_32 Depth=2
	s_or_b32 exec_lo, exec_lo, s12
	s_mov_b32 s12, -1
                                        ; implicit-def: $vgpr7
                                        ; implicit-def: $vgpr8
	s_and_saveexec_b32 s13, s9
	s_cbranch_execz .LBB7_31
; %bb.37:                               ;   in Loop: Header=BB7_32 Depth=2
	v_lshl_add_u32 v7, v4, 2, 0
	ds_load_b32 v8, v7
	s_wait_dscnt 0x0
	v_cmp_eq_u32_e32 vcc_lo, v8, v5
	s_or_not1_b32 s12, vcc_lo, exec_lo
	s_branch .LBB7_31
.LBB7_38:
	s_or_b32 exec_lo, exec_lo, s1
.LBB7_39:
	v_mbcnt_lo_u32_b32 v2, -1, 0
	v_dual_mov_b32 v3, 0 :: v_dual_lshrrev_b32 v4, 4, v0
	s_wait_xcnt 0x0
	v_cmp_lt_u32_e64 s0, 63, v0
	v_cmp_lt_u32_e64 s1, 0x7f, v0
	s_delay_alu instid0(VALU_DEP_3)
	v_dual_mov_b32 v8, 0 :: v_dual_bitop2_b32 v4, 28, v4 bitop3:0x40
	v_xor_b32_e32 v2, 31, v2
	v_cmp_lt_u32_e64 s2, 0xbf, v0
	v_cmp_lt_u32_e64 s3, 0xff, v0
	;; [unrolled: 1-line block ×3, first 2 shown]
	v_add_nc_u32_e32 v7, 0, v4
	v_lshrrev_b32_e64 v2, v2, -1
	v_cmp_lt_u32_e64 s5, 0x17f, v0
	v_cmp_lt_u32_e64 s6, 0x1bf, v0
	s_mov_b32 s8, 0
	s_wait_dscnt 0x0
	v_cmp_eq_u32_e32 vcc_lo, 0x1ff, v0
	s_barrier_signal -1
	s_barrier_wait -1
	s_branch .LBB7_41
.LBB7_40:                               ;   in Loop: Header=BB7_41 Depth=1
	s_or_b32 exec_lo, exec_lo, s7
	s_wait_dscnt 0x0
	s_barrier_signal -1
	s_barrier_wait -1
	ds_load_b32 v4, v3 offset:8220
	v_add_co_u32 v6, s7, 0x200, v6
	s_xor_b32 s7, s7, -1
	v_add_nc_u32_e32 v1, 0x800, v1
	s_and_b32 s7, exec_lo, s7
	s_delay_alu instid0(SALU_CYCLE_1)
	s_or_b32 s8, s7, s8
	s_wait_dscnt 0x0
	v_add_nc_u32_e32 v8, v4, v8
	s_and_not1_b32 exec_lo, exec_lo, s8
	s_cbranch_execz .LBB7_59
.LBB7_41:                               ; =>This Inner Loop Header: Depth=1
	ds_load_2addr_stride64_b32 v[4:5], v1 offset1:16
	s_wait_dscnt 0x0
	s_barrier_signal -1
	s_barrier_wait -1
	v_cmp_gt_i32_e64 s7, s33, v4
	s_bcnt1_i32_b32 s9, s7
	s_delay_alu instid0(SALU_CYCLE_1) | instskip(NEXT) | instid1(VALU_DEP_1)
	v_dual_mov_b32 v10, s9 :: v_dual_bitop2_b32 v9, s7, v2 bitop3:0x40
	v_bcnt_u32_b32 v9, v9, 0
	ds_store_b32 v7, v10 offset:8192
	s_wait_dscnt 0x0
	s_barrier_signal -1
	s_barrier_wait -1
	s_and_saveexec_b32 s9, s0
	s_cbranch_execz .LBB7_50
; %bb.42:                               ;   in Loop: Header=BB7_41 Depth=1
	ds_load_b32 v10, v3 offset:8192
	s_wait_dscnt 0x0
	v_add_nc_u32_e32 v9, v10, v9
	s_or_b32 exec_lo, exec_lo, s9
	s_and_saveexec_b32 s9, s1
	s_cbranch_execnz .LBB7_51
.LBB7_43:                               ;   in Loop: Header=BB7_41 Depth=1
	s_or_b32 exec_lo, exec_lo, s9
	s_and_saveexec_b32 s9, s2
	s_cbranch_execz .LBB7_52
.LBB7_44:                               ;   in Loop: Header=BB7_41 Depth=1
	ds_load_b32 v10, v3 offset:8200
	s_wait_dscnt 0x0
	v_add_nc_u32_e32 v9, v10, v9
	s_or_b32 exec_lo, exec_lo, s9
	s_and_saveexec_b32 s9, s3
	s_cbranch_execnz .LBB7_53
.LBB7_45:                               ;   in Loop: Header=BB7_41 Depth=1
	s_or_b32 exec_lo, exec_lo, s9
	s_and_saveexec_b32 s9, s4
	s_cbranch_execz .LBB7_54
.LBB7_46:                               ;   in Loop: Header=BB7_41 Depth=1
	ds_load_b32 v10, v3 offset:8208
	s_wait_dscnt 0x0
	v_add_nc_u32_e32 v9, v10, v9
	s_or_b32 exec_lo, exec_lo, s9
	s_and_saveexec_b32 s9, s5
	s_cbranch_execnz .LBB7_55
.LBB7_47:                               ;   in Loop: Header=BB7_41 Depth=1
	s_or_b32 exec_lo, exec_lo, s9
	s_and_saveexec_b32 s9, s6
	s_cbranch_execz .LBB7_56
.LBB7_48:                               ;   in Loop: Header=BB7_41 Depth=1
	ds_load_b32 v10, v3 offset:8216
	s_wait_dscnt 0x0
	v_add_nc_u32_e32 v9, v10, v9
	s_or_b32 exec_lo, exec_lo, s9
	s_and_saveexec_b32 s9, s7
	s_cbranch_execnz .LBB7_57
.LBB7_49:                               ;   in Loop: Header=BB7_41 Depth=1
	s_or_b32 exec_lo, exec_lo, s9
	s_and_saveexec_b32 s7, vcc_lo
	s_cbranch_execz .LBB7_40
	s_branch .LBB7_58
.LBB7_50:                               ;   in Loop: Header=BB7_41 Depth=1
	s_or_b32 exec_lo, exec_lo, s9
	s_and_saveexec_b32 s9, s1
	s_cbranch_execz .LBB7_43
.LBB7_51:                               ;   in Loop: Header=BB7_41 Depth=1
	ds_load_b32 v10, v3 offset:8196
	s_wait_dscnt 0x0
	v_add_nc_u32_e32 v9, v10, v9
	s_or_b32 exec_lo, exec_lo, s9
	s_and_saveexec_b32 s9, s2
	s_cbranch_execnz .LBB7_44
.LBB7_52:                               ;   in Loop: Header=BB7_41 Depth=1
	s_or_b32 exec_lo, exec_lo, s9
	s_and_saveexec_b32 s9, s3
	s_cbranch_execz .LBB7_45
.LBB7_53:                               ;   in Loop: Header=BB7_41 Depth=1
	ds_load_b32 v10, v3 offset:8204
	s_wait_dscnt 0x0
	v_add_nc_u32_e32 v9, v10, v9
	s_or_b32 exec_lo, exec_lo, s9
	s_and_saveexec_b32 s9, s4
	s_cbranch_execnz .LBB7_46
.LBB7_54:                               ;   in Loop: Header=BB7_41 Depth=1
	s_or_b32 exec_lo, exec_lo, s9
	s_and_saveexec_b32 s9, s5
	s_cbranch_execz .LBB7_47
.LBB7_55:                               ;   in Loop: Header=BB7_41 Depth=1
	ds_load_b32 v10, v3 offset:8212
	s_wait_dscnt 0x0
	v_add_nc_u32_e32 v9, v10, v9
	s_or_b32 exec_lo, exec_lo, s9
	s_and_saveexec_b32 s9, s6
	s_cbranch_execnz .LBB7_48
.LBB7_56:                               ;   in Loop: Header=BB7_41 Depth=1
	s_or_b32 exec_lo, exec_lo, s9
	s_and_saveexec_b32 s9, s7
	s_cbranch_execz .LBB7_49
.LBB7_57:                               ;   in Loop: Header=BB7_41 Depth=1
	s_delay_alu instid0(VALU_DEP_1) | instskip(SKIP_1) | instid1(VALU_DEP_2)
	v_add3_u32 v10, v8, -1, v9
	v_add_nc_u32_e32 v11, v8, v9
	v_lshl_add_u32 v10, v10, 2, 0
	s_delay_alu instid0(VALU_DEP_2)
	v_lshl_add_u32 v11, v11, 2, 0
	ds_store_b32 v10, v4
	ds_store_b32 v11, v5 offset:4092
	s_or_b32 exec_lo, exec_lo, s9
	s_and_saveexec_b32 s7, vcc_lo
	s_cbranch_execz .LBB7_40
.LBB7_58:                               ;   in Loop: Header=BB7_41 Depth=1
	ds_store_b32 v3, v9 offset:8220
	s_branch .LBB7_40
.LBB7_59:
	s_or_b32 exec_lo, exec_lo, s8
	s_wait_kmcnt 0x0
	s_ashr_i32 s21, s20, 31
	s_delay_alu instid0(SALU_CYCLE_1) | instskip(NEXT) | instid1(SALU_CYCLE_1)
	s_lshl_b64 s[0:1], s[20:21], 2
	s_add_nc_u64 s[2:3], s[26:27], s[0:1]
	s_load_b64 s[0:1], s[2:3], 0x0
	s_wait_kmcnt 0x0
	s_sub_co_i32 s4, s1, s0
	s_mov_b32 s1, exec_lo
	v_cmpx_gt_i32_e64 s4, v0
	s_cbranch_execz .LBB7_73
; %bb.60:
	v_sub_co_u32 v1, s1, s4, 2
	s_sub_co_i32 s2, s0, s10
	s_xor_b32 s6, s1, -1
	s_and_b32 s5, s4, -2
	v_readfirstlane_b32 s3, v1
	s_lshr_b32 s0, s3, 1
	s_mov_b32 s3, 0
	s_add_co_i32 s0, s0, 1
	s_mov_b32 s11, s3
	s_and_b32 s1, s0, 7
	s_and_b32 s7, s0, -8
	s_cmp_lg_u32 s1, 0
	v_cmp_lt_u32_e64 s0, 13, v1
	s_cselect_b32 s8, -1, 0
	s_cmp_lg_u32 s4, s5
	s_cselect_b32 s9, -1, 0
	s_lshl_b32 s10, s1, 3
	s_branch .LBB7_62
.LBB7_61:                               ;   in Loop: Header=BB7_62 Depth=1
	v_add_nc_u32_e32 v0, 0x200, v0
	s_wait_dscnt 0x0
	global_store_b32 v1, v3, s[24:25] scale_offset
	v_cmp_le_i32_e32 vcc_lo, s4, v0
	s_or_b32 s11, vcc_lo, s11
	s_wait_xcnt 0x0
	s_and_not1_b32 exec_lo, exec_lo, s11
	s_cbranch_execz .LBB7_73
.LBB7_62:                               ; =>This Loop Header: Depth=1
                                        ;     Child Loop BB7_65 Depth 2
                                        ;     Child Loop BB7_68 Depth 2
	;; [unrolled: 1-line block ×3, first 2 shown]
	v_lshl_add_u32 v1, v0, 2, 0
	s_and_not1_b32 vcc_lo, exec_lo, s6
	s_mov_b32 s1, 0
	s_mov_b32 s12, -1
	ds_load_2addr_stride64_b32 v[2:3], v1 offset1:16
	v_mov_b32_e32 v1, s2
	s_cbranch_vccnz .LBB7_70
; %bb.63:                               ;   in Loop: Header=BB7_62 Depth=1
	v_mov_b64_e32 v[4:5], s[2:3]
	s_and_not1_b32 vcc_lo, exec_lo, s0
	s_mov_b32 s12, 0
	s_cbranch_vccnz .LBB7_66
; %bb.64:                               ;   in Loop: Header=BB7_62 Depth=1
	v_dual_mov_b32 v4, s2 :: v_dual_mov_b32 v5, 0
	s_mov_b32 s13, 0
	s_mov_b32 s14, s7
.LBB7_65:                               ;   Parent Loop BB7_62 Depth=1
                                        ; =>  This Inner Loop Header: Depth=2
	v_mov_b32_e32 v1, s13
	s_add_co_i32 s14, s14, -8
	s_add_co_i32 s12, s12, 16
	s_add_co_i32 s13, s13, 64
	s_cmp_lg_u32 s14, 0
	ds_load_2addr_b32 v[6:7], v1 offset1:1
	ds_load_2addr_b32 v[8:9], v1 offset0:2 offset1:3
	ds_load_2addr_b32 v[10:11], v1 offset0:4 offset1:5
	;; [unrolled: 1-line block ×7, first 2 shown]
	s_wait_dscnt 0x7
	v_cmp_gt_i32_e32 vcc_lo, v2, v7
	s_wait_dscnt 0x5
	v_cmp_gt_i32_e64 s1, v2, v10
	v_cndmask_b32_e64 v1, 0, 1, vcc_lo
	v_cmp_gt_i32_e32 vcc_lo, v2, v6
	s_delay_alu instid0(VALU_DEP_3) | instskip(SKIP_3) | instid1(VALU_DEP_3)
	v_cndmask_b32_e64 v7, 0, 1, s1
	v_cmp_gt_i32_e64 s1, v2, v11
	v_cndmask_b32_e64 v6, 0, 1, vcc_lo
	v_cmp_gt_i32_e32 vcc_lo, v2, v8
	v_cndmask_b32_e64 v8, 0, 1, s1
	s_wait_dscnt 0x4
	v_cmp_gt_i32_e64 s1, v2, v13
	v_add_co_ci_u32_e64 v4, null, v4, v6, vcc_lo
	s_delay_alu instid0(VALU_DEP_2) | instskip(SKIP_3) | instid1(VALU_DEP_2)
	v_cndmask_b32_e64 v10, 0, 1, s1
	v_cmp_gt_i32_e64 s1, v2, v12
	s_wait_dscnt 0x2
	v_cmp_gt_i32_e32 vcc_lo, v2, v16
	v_cndmask_b32_e64 v11, 0, 1, s1
	v_cmp_gt_i32_e64 s1, v2, v14
	v_add_co_ci_u32_e64 v4, null, v4, v7, vcc_lo
	s_wait_dscnt 0x1
	v_cmp_gt_i32_e32 vcc_lo, v2, v18
	s_delay_alu instid0(VALU_DEP_3) | instskip(SKIP_4) | instid1(VALU_DEP_3)
	v_cndmask_b32_e64 v12, 0, 1, s1
	v_cmp_gt_i32_e64 s1, v2, v15
	v_add_co_ci_u32_e64 v4, null, v4, v11, vcc_lo
	s_wait_dscnt 0x0
	v_cmp_gt_i32_e32 vcc_lo, v2, v20
	v_cndmask_b32_e64 v13, 0, 1, s1
	v_cmp_gt_i32_e64 s1, v2, v9
	v_add_co_ci_u32_e64 v4, null, v4, v12, vcc_lo
	s_delay_alu instid0(VALU_DEP_2) | instskip(SKIP_1) | instid1(VALU_DEP_1)
	v_add_co_ci_u32_e64 v1, null, v5, v1, s1
	v_cmp_gt_i32_e64 s1, v2, v17
	v_add_co_ci_u32_e64 v1, null, v1, v8, s1
	v_cmp_gt_i32_e64 s1, v2, v19
	s_delay_alu instid0(VALU_DEP_1) | instskip(SKIP_1) | instid1(VALU_DEP_1)
	v_add_co_ci_u32_e64 v1, null, v1, v10, s1
	v_cmp_gt_i32_e64 s1, v2, v21
	v_add_co_ci_u32_e64 v5, null, v1, v13, s1
	s_cbranch_scc1 .LBB7_65
.LBB7_66:                               ;   in Loop: Header=BB7_62 Depth=1
	s_and_not1_b32 vcc_lo, exec_lo, s8
	s_cbranch_vccnz .LBB7_69
; %bb.67:                               ;   in Loop: Header=BB7_62 Depth=1
	s_lshl_b32 s1, s12, 2
	s_mov_b32 s12, s10
	s_add_co_i32 s1, s1, 0
.LBB7_68:                               ;   Parent Loop BB7_62 Depth=1
                                        ; =>  This Inner Loop Header: Depth=2
	s_delay_alu instid0(SALU_CYCLE_1)
	v_mov_b32_e32 v1, s1
	s_add_co_i32 s12, s12, -8
	s_add_co_i32 s1, s1, 8
	s_cmp_lg_u32 s12, 0
	ds_load_2addr_b32 v[6:7], v1 offset1:1
	s_wait_dscnt 0x0
	v_cmp_gt_i32_e32 vcc_lo, v2, v7
	v_add_co_ci_u32_e64 v5, null, 0, v5, vcc_lo
	v_cmp_gt_i32_e32 vcc_lo, v2, v6
	v_add_co_ci_u32_e64 v4, null, 0, v4, vcc_lo
	s_cbranch_scc1 .LBB7_68
.LBB7_69:                               ;   in Loop: Header=BB7_62 Depth=1
	s_delay_alu instid0(VALU_DEP_1)
	v_add_nc_u32_e32 v1, v4, v5
	s_mov_b32 s1, s5
	s_mov_b32 s12, s9
.LBB7_70:                               ;   in Loop: Header=BB7_62 Depth=1
	s_delay_alu instid0(SALU_CYCLE_1)
	s_and_b32 vcc_lo, exec_lo, s12
	s_cbranch_vccz .LBB7_61
; %bb.71:                               ;   in Loop: Header=BB7_62 Depth=1
	s_lshl_b32 s12, s1, 2
	s_delay_alu instid0(SALU_CYCLE_1)
	s_add_co_i32 s12, s12, 0
.LBB7_72:                               ;   Parent Loop BB7_62 Depth=1
                                        ; =>  This Inner Loop Header: Depth=2
	s_delay_alu instid0(SALU_CYCLE_1)
	v_mov_b32_e32 v4, s12
	s_add_co_i32 s1, s1, 1
	s_add_co_i32 s12, s12, 4
	s_cmp_ge_i32 s1, s4
	ds_load_b32 v4, v4
	s_wait_dscnt 0x0
	v_cmp_gt_i32_e32 vcc_lo, v2, v4
	v_add_co_ci_u32_e64 v1, null, 0, v1, vcc_lo
	s_cbranch_scc0 .LBB7_72
	s_branch .LBB7_61
.LBB7_73:
	s_endpgm
	.section	.rodata,"a",@progbits
	.p2align	6, 0x0
	.amdhsa_kernel _ZN9rocsparseL41csrgemm_numeric_fill_block_per_row_kernelILj512ELj32ELj1024ELj137ELj64EiifEEvT5_PKS1_S3_NS_24const_host_device_scalarIT6_EEPKT4_S3_PKS5_S9_S3_SB_S6_S9_S3_SB_S9_S3_PS5_21rocsparse_index_base_SD_SD_SD_bbb
		.amdhsa_group_segment_fixed_size 0
		.amdhsa_private_segment_fixed_size 0
		.amdhsa_kernarg_size 156
		.amdhsa_user_sgpr_count 2
		.amdhsa_user_sgpr_dispatch_ptr 0
		.amdhsa_user_sgpr_queue_ptr 0
		.amdhsa_user_sgpr_kernarg_segment_ptr 1
		.amdhsa_user_sgpr_dispatch_id 0
		.amdhsa_user_sgpr_kernarg_preload_length 0
		.amdhsa_user_sgpr_kernarg_preload_offset 0
		.amdhsa_user_sgpr_private_segment_size 0
		.amdhsa_wavefront_size32 1
		.amdhsa_uses_dynamic_stack 0
		.amdhsa_enable_private_segment 0
		.amdhsa_system_sgpr_workgroup_id_x 1
		.amdhsa_system_sgpr_workgroup_id_y 0
		.amdhsa_system_sgpr_workgroup_id_z 0
		.amdhsa_system_sgpr_workgroup_info 0
		.amdhsa_system_vgpr_workitem_id 0
		.amdhsa_next_free_vgpr 22
		.amdhsa_next_free_sgpr 40
		.amdhsa_named_barrier_count 0
		.amdhsa_reserve_vcc 1
		.amdhsa_float_round_mode_32 0
		.amdhsa_float_round_mode_16_64 0
		.amdhsa_float_denorm_mode_32 3
		.amdhsa_float_denorm_mode_16_64 3
		.amdhsa_fp16_overflow 0
		.amdhsa_memory_ordered 1
		.amdhsa_forward_progress 1
		.amdhsa_inst_pref_size 24
		.amdhsa_round_robin_scheduling 0
		.amdhsa_exception_fp_ieee_invalid_op 0
		.amdhsa_exception_fp_denorm_src 0
		.amdhsa_exception_fp_ieee_div_zero 0
		.amdhsa_exception_fp_ieee_overflow 0
		.amdhsa_exception_fp_ieee_underflow 0
		.amdhsa_exception_fp_ieee_inexact 0
		.amdhsa_exception_int_div_zero 0
	.end_amdhsa_kernel
	.section	.text._ZN9rocsparseL41csrgemm_numeric_fill_block_per_row_kernelILj512ELj32ELj1024ELj137ELj64EiifEEvT5_PKS1_S3_NS_24const_host_device_scalarIT6_EEPKT4_S3_PKS5_S9_S3_SB_S6_S9_S3_SB_S9_S3_PS5_21rocsparse_index_base_SD_SD_SD_bbb,"axG",@progbits,_ZN9rocsparseL41csrgemm_numeric_fill_block_per_row_kernelILj512ELj32ELj1024ELj137ELj64EiifEEvT5_PKS1_S3_NS_24const_host_device_scalarIT6_EEPKT4_S3_PKS5_S9_S3_SB_S6_S9_S3_SB_S9_S3_PS5_21rocsparse_index_base_SD_SD_SD_bbb,comdat
.Lfunc_end7:
	.size	_ZN9rocsparseL41csrgemm_numeric_fill_block_per_row_kernelILj512ELj32ELj1024ELj137ELj64EiifEEvT5_PKS1_S3_NS_24const_host_device_scalarIT6_EEPKT4_S3_PKS5_S9_S3_SB_S6_S9_S3_SB_S9_S3_PS5_21rocsparse_index_base_SD_SD_SD_bbb, .Lfunc_end7-_ZN9rocsparseL41csrgemm_numeric_fill_block_per_row_kernelILj512ELj32ELj1024ELj137ELj64EiifEEvT5_PKS1_S3_NS_24const_host_device_scalarIT6_EEPKT4_S3_PKS5_S9_S3_SB_S6_S9_S3_SB_S9_S3_PS5_21rocsparse_index_base_SD_SD_SD_bbb
                                        ; -- End function
	.set _ZN9rocsparseL41csrgemm_numeric_fill_block_per_row_kernelILj512ELj32ELj1024ELj137ELj64EiifEEvT5_PKS1_S3_NS_24const_host_device_scalarIT6_EEPKT4_S3_PKS5_S9_S3_SB_S6_S9_S3_SB_S9_S3_PS5_21rocsparse_index_base_SD_SD_SD_bbb.num_vgpr, 22
	.set _ZN9rocsparseL41csrgemm_numeric_fill_block_per_row_kernelILj512ELj32ELj1024ELj137ELj64EiifEEvT5_PKS1_S3_NS_24const_host_device_scalarIT6_EEPKT4_S3_PKS5_S9_S3_SB_S6_S9_S3_SB_S9_S3_PS5_21rocsparse_index_base_SD_SD_SD_bbb.num_agpr, 0
	.set _ZN9rocsparseL41csrgemm_numeric_fill_block_per_row_kernelILj512ELj32ELj1024ELj137ELj64EiifEEvT5_PKS1_S3_NS_24const_host_device_scalarIT6_EEPKT4_S3_PKS5_S9_S3_SB_S6_S9_S3_SB_S9_S3_PS5_21rocsparse_index_base_SD_SD_SD_bbb.numbered_sgpr, 40
	.set _ZN9rocsparseL41csrgemm_numeric_fill_block_per_row_kernelILj512ELj32ELj1024ELj137ELj64EiifEEvT5_PKS1_S3_NS_24const_host_device_scalarIT6_EEPKT4_S3_PKS5_S9_S3_SB_S6_S9_S3_SB_S9_S3_PS5_21rocsparse_index_base_SD_SD_SD_bbb.num_named_barrier, 0
	.set _ZN9rocsparseL41csrgemm_numeric_fill_block_per_row_kernelILj512ELj32ELj1024ELj137ELj64EiifEEvT5_PKS1_S3_NS_24const_host_device_scalarIT6_EEPKT4_S3_PKS5_S9_S3_SB_S6_S9_S3_SB_S9_S3_PS5_21rocsparse_index_base_SD_SD_SD_bbb.private_seg_size, 0
	.set _ZN9rocsparseL41csrgemm_numeric_fill_block_per_row_kernelILj512ELj32ELj1024ELj137ELj64EiifEEvT5_PKS1_S3_NS_24const_host_device_scalarIT6_EEPKT4_S3_PKS5_S9_S3_SB_S6_S9_S3_SB_S9_S3_PS5_21rocsparse_index_base_SD_SD_SD_bbb.uses_vcc, 1
	.set _ZN9rocsparseL41csrgemm_numeric_fill_block_per_row_kernelILj512ELj32ELj1024ELj137ELj64EiifEEvT5_PKS1_S3_NS_24const_host_device_scalarIT6_EEPKT4_S3_PKS5_S9_S3_SB_S6_S9_S3_SB_S9_S3_PS5_21rocsparse_index_base_SD_SD_SD_bbb.uses_flat_scratch, 0
	.set _ZN9rocsparseL41csrgemm_numeric_fill_block_per_row_kernelILj512ELj32ELj1024ELj137ELj64EiifEEvT5_PKS1_S3_NS_24const_host_device_scalarIT6_EEPKT4_S3_PKS5_S9_S3_SB_S6_S9_S3_SB_S9_S3_PS5_21rocsparse_index_base_SD_SD_SD_bbb.has_dyn_sized_stack, 0
	.set _ZN9rocsparseL41csrgemm_numeric_fill_block_per_row_kernelILj512ELj32ELj1024ELj137ELj64EiifEEvT5_PKS1_S3_NS_24const_host_device_scalarIT6_EEPKT4_S3_PKS5_S9_S3_SB_S6_S9_S3_SB_S9_S3_PS5_21rocsparse_index_base_SD_SD_SD_bbb.has_recursion, 0
	.set _ZN9rocsparseL41csrgemm_numeric_fill_block_per_row_kernelILj512ELj32ELj1024ELj137ELj64EiifEEvT5_PKS1_S3_NS_24const_host_device_scalarIT6_EEPKT4_S3_PKS5_S9_S3_SB_S6_S9_S3_SB_S9_S3_PS5_21rocsparse_index_base_SD_SD_SD_bbb.has_indirect_call, 0
	.section	.AMDGPU.csdata,"",@progbits
; Kernel info:
; codeLenInByte = 2968
; TotalNumSgprs: 42
; NumVgprs: 22
; ScratchSize: 0
; MemoryBound: 0
; FloatMode: 240
; IeeeMode: 1
; LDSByteSize: 0 bytes/workgroup (compile time only)
; SGPRBlocks: 0
; VGPRBlocks: 1
; NumSGPRsForWavesPerEU: 42
; NumVGPRsForWavesPerEU: 22
; NamedBarCnt: 0
; Occupancy: 16
; WaveLimiterHint : 1
; COMPUTE_PGM_RSRC2:SCRATCH_EN: 0
; COMPUTE_PGM_RSRC2:USER_SGPR: 2
; COMPUTE_PGM_RSRC2:TRAP_HANDLER: 0
; COMPUTE_PGM_RSRC2:TGID_X_EN: 1
; COMPUTE_PGM_RSRC2:TGID_Y_EN: 0
; COMPUTE_PGM_RSRC2:TGID_Z_EN: 0
; COMPUTE_PGM_RSRC2:TIDIG_COMP_CNT: 0
	.section	.text._ZN9rocsparseL41csrgemm_numeric_fill_block_per_row_kernelILj1024ELj32ELj2048ELj137ELj32EiifEEvT5_PKS1_S3_NS_24const_host_device_scalarIT6_EEPKT4_S3_PKS5_S9_S3_SB_S6_S9_S3_SB_S9_S3_PS5_21rocsparse_index_base_SD_SD_SD_bbb,"axG",@progbits,_ZN9rocsparseL41csrgemm_numeric_fill_block_per_row_kernelILj1024ELj32ELj2048ELj137ELj32EiifEEvT5_PKS1_S3_NS_24const_host_device_scalarIT6_EEPKT4_S3_PKS5_S9_S3_SB_S6_S9_S3_SB_S9_S3_PS5_21rocsparse_index_base_SD_SD_SD_bbb,comdat
	.globl	_ZN9rocsparseL41csrgemm_numeric_fill_block_per_row_kernelILj1024ELj32ELj2048ELj137ELj32EiifEEvT5_PKS1_S3_NS_24const_host_device_scalarIT6_EEPKT4_S3_PKS5_S9_S3_SB_S6_S9_S3_SB_S9_S3_PS5_21rocsparse_index_base_SD_SD_SD_bbb ; -- Begin function _ZN9rocsparseL41csrgemm_numeric_fill_block_per_row_kernelILj1024ELj32ELj2048ELj137ELj32EiifEEvT5_PKS1_S3_NS_24const_host_device_scalarIT6_EEPKT4_S3_PKS5_S9_S3_SB_S6_S9_S3_SB_S9_S3_PS5_21rocsparse_index_base_SD_SD_SD_bbb
	.p2align	8
	.type	_ZN9rocsparseL41csrgemm_numeric_fill_block_per_row_kernelILj1024ELj32ELj2048ELj137ELj32EiifEEvT5_PKS1_S3_NS_24const_host_device_scalarIT6_EEPKT4_S3_PKS5_S9_S3_SB_S6_S9_S3_SB_S9_S3_PS5_21rocsparse_index_base_SD_SD_SD_bbb,@function
_ZN9rocsparseL41csrgemm_numeric_fill_block_per_row_kernelILj1024ELj32ELj2048ELj137ELj32EiifEEvT5_PKS1_S3_NS_24const_host_device_scalarIT6_EEPKT4_S3_PKS5_S9_S3_SB_S6_S9_S3_SB_S9_S3_PS5_21rocsparse_index_base_SD_SD_SD_bbb: ; @_ZN9rocsparseL41csrgemm_numeric_fill_block_per_row_kernelILj1024ELj32ELj2048ELj137ELj32EiifEEvT5_PKS1_S3_NS_24const_host_device_scalarIT6_EEPKT4_S3_PKS5_S9_S3_SB_S6_S9_S3_SB_S9_S3_PS5_21rocsparse_index_base_SD_SD_SD_bbb
; %bb.0:
	s_clause 0x3
	s_load_b32 s14, s[0:1], 0x98
	s_load_b64 s[2:3], s[0:1], 0x18
	s_load_b128 s[36:39], s[0:1], 0x88
	s_load_b64 s[12:13], s[0:1], 0x50
	s_wait_kmcnt 0x0
	s_and_b32 s4, 1, s14
	s_bitcmp1_b32 s14, 16
	s_cselect_b32 s15, -1, 0
	s_cmp_eq_u32 s4, 1
	s_cselect_b32 s27, -1, 0
	s_delay_alu instid0(SALU_CYCLE_1) | instskip(SKIP_2) | instid1(SALU_CYCLE_1)
	s_and_b32 s4, s27, exec_lo
	s_cselect_b32 s25, s2, 0
	s_xor_b32 s4, s27, -1
	s_or_b32 s4, s15, s4
	s_delay_alu instid0(SALU_CYCLE_1)
	s_and_b32 vcc_lo, exec_lo, s4
	s_cbranch_vccnz .LBB8_2
; %bb.1:
	s_load_b32 s25, s[2:3], 0x0
.LBB8_2:
	s_clause 0x3
	s_load_b64 s[34:35], s[0:1], 0x80
	s_load_b128 s[4:7], s[0:1], 0x60
	s_load_b128 s[8:11], s[0:1], 0x40
	;; [unrolled: 1-line block ×3, first 2 shown]
	s_wait_xcnt 0x0
	s_load_b64 s[2:3], s[0:1], 0x28
	s_bitcmp1_b32 s14, 8
	s_cselect_b32 s26, -1, 0
	s_delay_alu instid0(SALU_CYCLE_1) | instskip(SKIP_2) | instid1(SALU_CYCLE_1)
	s_and_b32 s14, s26, exec_lo
	s_cselect_b32 s24, s12, 0
	s_xor_b32 s14, s26, -1
	s_or_b32 s14, s15, s14
	s_delay_alu instid0(SALU_CYCLE_1)
	s_and_b32 vcc_lo, exec_lo, s14
	s_cbranch_vccnz .LBB8_4
; %bb.3:
	s_load_b32 s24, s[12:13], 0x0
.LBB8_4:
	s_clause 0x3
	s_load_b32 s33, s[0:1], 0x0
	s_load_b64 s[22:23], s[0:1], 0x20
	s_load_b64 s[40:41], s[0:1], 0x70
	;; [unrolled: 1-line block ×3, first 2 shown]
	s_wait_xcnt 0x0
	s_load_b128 s[12:15], s[0:1], 0x30
	v_lshl_add_u32 v1, v0, 2, 0
	v_or_b32_e32 v6, 0xfffffc00, v0
	v_mov_b32_e32 v2, 0
	s_wait_xcnt 0x0
	s_mov_b32 s0, 0
	s_delay_alu instid0(VALU_DEP_2)
	v_dual_mov_b32 v3, v1 :: v_dual_mov_b32 v5, v6
	s_wait_kmcnt 0x0
	v_mov_b32_e32 v4, s33
.LBB8_5:                                ; =>This Inner Loop Header: Depth=1
	s_delay_alu instid0(VALU_DEP_2) | instskip(SKIP_4) | instid1(SALU_CYCLE_1)
	v_add_co_u32 v5, s1, 0x400, v5
	s_xor_b32 s1, s1, -1
	ds_store_2addr_stride64_b32 v3, v4, v2 offset1:32
	v_add_nc_u32_e32 v3, 0x1000, v3
	s_and_b32 s1, exec_lo, s1
	s_or_b32 s0, s1, s0
	s_delay_alu instid0(SALU_CYCLE_1)
	s_and_not1_b32 exec_lo, exec_lo, s0
	s_cbranch_execnz .LBB8_5
; %bb.6:
	s_or_b32 exec_lo, exec_lo, s0
	s_wait_dscnt 0x0
	s_barrier_signal -1
	s_barrier_wait -1
	s_load_b32 s0, s[16:17], 0x0
	s_bfe_u32 s1, ttmp6, 0x4000c
	s_wait_xcnt 0x0
	s_and_b32 s16, ttmp6, 15
	s_add_co_i32 s1, s1, 1
	s_getreg_b32 s17, hwreg(HW_REG_IB_STS2, 6, 4)
	s_mul_i32 s1, ttmp9, s1
	v_lshrrev_b32_e32 v4, 5, v0
	s_add_co_i32 s16, s16, s1
	s_cmp_eq_u32 s17, 0
	s_cselect_b32 s1, ttmp9, s16
	s_and_b32 vcc_lo, exec_lo, s27
	s_wait_kmcnt 0x0
	s_add_co_i32 s0, s0, s1
	s_load_b32 s42, s[18:19], s0 offset:0x0 scale_offset
	s_cbranch_vccz .LBB8_24
; %bb.7:
	s_wait_kmcnt 0x0
	s_ashr_i32 s43, s42, 31
	v_subrev_nc_u32_e32 v2, s36, v4
	s_lshl_b64 s[0:1], s[42:43], 2
	s_delay_alu instid0(SALU_CYCLE_1)
	s_add_nc_u64 s[0:1], s[22:23], s[0:1]
	s_load_b64 s[16:17], s[0:1], 0x0
	s_wait_xcnt 0x0
	s_mov_b32 s1, exec_lo
	s_wait_kmcnt 0x0
	v_add_nc_u32_e32 v2, s16, v2
	s_sub_co_i32 s0, s17, s36
	s_delay_alu instid0(VALU_DEP_1) | instid1(SALU_CYCLE_1)
	v_cmpx_gt_i32_e64 s0, v2
	s_cbranch_execz .LBB8_23
; %bb.8:
	v_and_b32_e32 v3, 31, v0
	s_mov_b32 s16, 0
	s_delay_alu instid0(VALU_DEP_1)
	v_subrev_nc_u32_e32 v5, s37, v3
	s_branch .LBB8_10
.LBB8_9:                                ;   in Loop: Header=BB8_10 Depth=1
	s_or_b32 exec_lo, exec_lo, s17
	v_add_nc_u32_e32 v2, 32, v2
	s_delay_alu instid0(VALU_DEP_1) | instskip(SKIP_1) | instid1(SALU_CYCLE_1)
	v_cmp_le_i32_e32 vcc_lo, s0, v2
	s_or_b32 s16, vcc_lo, s16
	s_and_not1_b32 exec_lo, exec_lo, s16
	s_cbranch_execz .LBB8_23
.LBB8_10:                               ; =>This Loop Header: Depth=1
                                        ;     Child Loop BB8_14 Depth 2
                                        ;       Child Loop BB8_17 Depth 3
	global_load_b32 v3, v2, s[2:3] scale_offset
	s_mov_b32 s17, exec_lo
	s_wait_loadcnt 0x0
	v_subrev_nc_u32_e32 v8, s36, v3
	s_delay_alu instid0(VALU_DEP_1) | instskip(NEXT) | instid1(VALU_DEP_1)
	v_ashrrev_i32_e32 v9, 31, v8
	v_lshl_add_u64 v[8:9], v[8:9], 2, s[14:15]
	global_load_b64 v[8:9], v[8:9], off
	s_wait_loadcnt 0x0
	v_subrev_nc_u32_e32 v7, s37, v9
	s_wait_xcnt 0x0
	v_add_nc_u32_e32 v8, v8, v5
	s_delay_alu instid0(VALU_DEP_1)
	v_cmpx_lt_i32_e64 v8, v7
	s_cbranch_execz .LBB8_9
; %bb.11:                               ;   in Loop: Header=BB8_10 Depth=1
	v_ashrrev_i32_e32 v3, 31, v2
	s_mov_b32 s18, 0
	s_delay_alu instid0(VALU_DEP_1)
	v_lshl_add_u64 v[10:11], v[2:3], 2, s[12:13]
	global_load_b32 v3, v[10:11], off
	s_wait_loadcnt 0x0
	v_mul_f32_e32 v3, s25, v3
	s_branch .LBB8_14
.LBB8_12:                               ;   in Loop: Header=BB8_14 Depth=2
	s_or_b32 exec_lo, exec_lo, s22
.LBB8_13:                               ;   in Loop: Header=BB8_14 Depth=2
	s_delay_alu instid0(SALU_CYCLE_1) | instskip(SKIP_3) | instid1(VALU_DEP_2)
	s_or_b32 exec_lo, exec_lo, s19
	s_wait_loadcnt 0x0
	v_dual_mul_f32 v9, v3, v9 :: v_dual_add_nc_u32 v8, 32, v8
	v_lshl_add_u32 v10, v10, 2, 0
	v_cmp_ge_i32_e32 vcc_lo, v8, v7
	ds_add_f32 v10, v9 offset:8192
	s_or_b32 s18, vcc_lo, s18
	s_delay_alu instid0(SALU_CYCLE_1)
	s_and_not1_b32 exec_lo, exec_lo, s18
	s_cbranch_execz .LBB8_9
.LBB8_14:                               ;   Parent Loop BB8_10 Depth=1
                                        ; =>  This Loop Header: Depth=2
                                        ;       Child Loop BB8_17 Depth 3
	s_clause 0x1
	global_load_b32 v10, v8, s[8:9] scale_offset
	global_load_b32 v9, v8, s[10:11] scale_offset
	s_mov_b32 s19, exec_lo
	s_wait_loadcnt 0x1
	v_subrev_nc_u32_e32 v11, s37, v10
	s_delay_alu instid0(VALU_DEP_1) | instskip(NEXT) | instid1(VALU_DEP_1)
	v_mul_lo_u32 v10, 0x89, v11
	v_and_b32_e32 v10, 0x7ff, v10
	s_delay_alu instid0(VALU_DEP_1)
	v_lshl_add_u32 v12, v10, 2, 0
	ds_load_b32 v13, v12
	s_wait_dscnt 0x0
	s_wait_xcnt 0x0
	v_cmpx_ne_u32_e64 v13, v11
	s_cbranch_execz .LBB8_13
; %bb.15:                               ;   in Loop: Header=BB8_14 Depth=2
	s_mov_b32 s22, 0
	s_branch .LBB8_17
.LBB8_16:                               ;   in Loop: Header=BB8_17 Depth=3
	s_or_b32 exec_lo, exec_lo, s28
	s_delay_alu instid0(SALU_CYCLE_1) | instskip(NEXT) | instid1(SALU_CYCLE_1)
	s_and_b32 s23, exec_lo, s27
	s_or_b32 s22, s23, s22
	s_delay_alu instid0(SALU_CYCLE_1)
	s_and_not1_b32 exec_lo, exec_lo, s22
	s_cbranch_execz .LBB8_12
.LBB8_17:                               ;   Parent Loop BB8_10 Depth=1
                                        ;     Parent Loop BB8_14 Depth=2
                                        ; =>    This Inner Loop Header: Depth=3
	s_mov_b32 s23, 0
	s_mov_b32 s27, exec_lo
	v_cmpx_ne_u32_e64 s33, v13
	s_xor_b32 s27, exec_lo, s27
	s_cbranch_execz .LBB8_19
; %bb.18:                               ;   in Loop: Header=BB8_17 Depth=3
	v_add_nc_u32_e32 v10, 1, v10
	s_mov_b32 s23, exec_lo
                                        ; implicit-def: $vgpr12
	s_delay_alu instid0(VALU_DEP_1)
	v_and_b32_e32 v10, 0x7ff, v10
	s_and_not1_saveexec_b32 s27, s27
	s_cbranch_execz .LBB8_21
	s_branch .LBB8_20
.LBB8_19:                               ;   in Loop: Header=BB8_17 Depth=3
	s_and_not1_saveexec_b32 s27, s27
	s_cbranch_execz .LBB8_21
.LBB8_20:                               ;   in Loop: Header=BB8_17 Depth=3
	v_mov_b32_e32 v13, s33
	s_and_not1_b32 s23, s23, exec_lo
	ds_cmpstore_rtn_b32 v12, v12, v11, v13
	s_wait_dscnt 0x0
	v_cmp_ne_u32_e32 vcc_lo, s33, v12
	s_and_b32 s28, vcc_lo, exec_lo
	s_delay_alu instid0(SALU_CYCLE_1)
	s_or_b32 s23, s23, s28
.LBB8_21:                               ;   in Loop: Header=BB8_17 Depth=3
	s_or_b32 exec_lo, exec_lo, s27
	s_mov_b32 s27, -1
                                        ; implicit-def: $vgpr12
                                        ; implicit-def: $vgpr13
	s_and_saveexec_b32 s28, s23
	s_cbranch_execz .LBB8_16
; %bb.22:                               ;   in Loop: Header=BB8_17 Depth=3
	v_lshl_add_u32 v12, v10, 2, 0
	ds_load_b32 v13, v12
	s_wait_dscnt 0x0
	v_cmp_eq_u32_e32 vcc_lo, v13, v11
	s_or_not1_b32 s27, vcc_lo, exec_lo
	s_branch .LBB8_16
.LBB8_23:
	s_or_b32 exec_lo, exec_lo, s1
.LBB8_24:
	s_delay_alu instid0(SALU_CYCLE_1)
	s_and_not1_b32 vcc_lo, exec_lo, s26
	s_cbranch_vccnz .LBB8_39
; %bb.25:
	s_wait_kmcnt 0x0
	s_ashr_i32 s43, s42, 31
	v_subrev_nc_u32_e32 v2, s39, v0
	s_lshl_b64 s[0:1], s[42:43], 2
	s_delay_alu instid0(SALU_CYCLE_1)
	s_add_nc_u64 s[0:1], s[20:21], s[0:1]
	s_load_b64 s[2:3], s[0:1], 0x0
	s_wait_xcnt 0x0
	s_mov_b32 s1, exec_lo
	s_wait_kmcnt 0x0
	v_add_nc_u32_e32 v2, s2, v2
	s_sub_co_i32 s0, s3, s39
	s_delay_alu instid0(VALU_DEP_1) | instid1(SALU_CYCLE_1)
	v_cmpx_gt_i32_e64 s0, v2
	s_cbranch_execz .LBB8_38
; %bb.26:
	s_mov_b32 s2, 0
	s_branch .LBB8_29
.LBB8_27:                               ;   in Loop: Header=BB8_29 Depth=1
	s_or_b32 exec_lo, exec_lo, s8
.LBB8_28:                               ;   in Loop: Header=BB8_29 Depth=1
	s_delay_alu instid0(SALU_CYCLE_1) | instskip(SKIP_3) | instid1(VALU_DEP_2)
	s_or_b32 exec_lo, exec_lo, s3
	s_wait_loadcnt 0x0
	v_dual_mul_f32 v3, s24, v3 :: v_dual_add_nc_u32 v2, 0x400, v2
	v_lshl_add_u32 v5, v5, 2, 0
	v_cmp_le_i32_e32 vcc_lo, s0, v2
	ds_add_f32 v5, v3 offset:8192
	s_or_b32 s2, vcc_lo, s2
	s_delay_alu instid0(SALU_CYCLE_1)
	s_and_not1_b32 exec_lo, exec_lo, s2
	s_cbranch_execz .LBB8_38
.LBB8_29:                               ; =>This Loop Header: Depth=1
                                        ;     Child Loop BB8_32 Depth 2
	s_clause 0x1
	global_load_b32 v5, v2, s[4:5] scale_offset
	global_load_b32 v3, v2, s[6:7] scale_offset
	s_mov_b32 s3, exec_lo
	s_wait_loadcnt 0x1
	v_subrev_nc_u32_e32 v7, s39, v5
	s_delay_alu instid0(VALU_DEP_1) | instskip(NEXT) | instid1(VALU_DEP_1)
	v_mul_lo_u32 v5, 0x89, v7
	v_and_b32_e32 v5, 0x7ff, v5
	s_delay_alu instid0(VALU_DEP_1)
	v_lshl_add_u32 v8, v5, 2, 0
	ds_load_b32 v9, v8
	s_wait_dscnt 0x0
	s_wait_xcnt 0x0
	v_cmpx_ne_u32_e64 v9, v7
	s_cbranch_execz .LBB8_28
; %bb.30:                               ;   in Loop: Header=BB8_29 Depth=1
	s_mov_b32 s8, 0
	s_branch .LBB8_32
.LBB8_31:                               ;   in Loop: Header=BB8_32 Depth=2
	s_or_b32 exec_lo, exec_lo, s11
	s_delay_alu instid0(SALU_CYCLE_1) | instskip(NEXT) | instid1(SALU_CYCLE_1)
	s_and_b32 s9, exec_lo, s10
	s_or_b32 s8, s9, s8
	s_delay_alu instid0(SALU_CYCLE_1)
	s_and_not1_b32 exec_lo, exec_lo, s8
	s_cbranch_execz .LBB8_27
.LBB8_32:                               ;   Parent Loop BB8_29 Depth=1
                                        ; =>  This Inner Loop Header: Depth=2
	s_mov_b32 s9, 0
	s_mov_b32 s10, exec_lo
	v_cmpx_ne_u32_e64 s33, v9
	s_xor_b32 s10, exec_lo, s10
	s_cbranch_execz .LBB8_34
; %bb.33:                               ;   in Loop: Header=BB8_32 Depth=2
	v_add_nc_u32_e32 v5, 1, v5
	s_mov_b32 s9, exec_lo
                                        ; implicit-def: $vgpr8
	s_delay_alu instid0(VALU_DEP_1)
	v_and_b32_e32 v5, 0x7ff, v5
	s_and_not1_saveexec_b32 s10, s10
	s_cbranch_execz .LBB8_36
	s_branch .LBB8_35
.LBB8_34:                               ;   in Loop: Header=BB8_32 Depth=2
	s_and_not1_saveexec_b32 s10, s10
	s_cbranch_execz .LBB8_36
.LBB8_35:                               ;   in Loop: Header=BB8_32 Depth=2
	v_mov_b32_e32 v9, s33
	s_and_not1_b32 s9, s9, exec_lo
	ds_cmpstore_rtn_b32 v8, v8, v7, v9
	s_wait_dscnt 0x0
	v_cmp_ne_u32_e32 vcc_lo, s33, v8
	s_and_b32 s11, vcc_lo, exec_lo
	s_delay_alu instid0(SALU_CYCLE_1)
	s_or_b32 s9, s9, s11
.LBB8_36:                               ;   in Loop: Header=BB8_32 Depth=2
	s_or_b32 exec_lo, exec_lo, s10
	s_mov_b32 s10, -1
                                        ; implicit-def: $vgpr8
                                        ; implicit-def: $vgpr9
	s_and_saveexec_b32 s11, s9
	s_cbranch_execz .LBB8_31
; %bb.37:                               ;   in Loop: Header=BB8_32 Depth=2
	v_lshl_add_u32 v8, v5, 2, 0
	ds_load_b32 v9, v8
	s_wait_dscnt 0x0
	v_cmp_eq_u32_e32 vcc_lo, v9, v7
	s_or_not1_b32 s10, vcc_lo, exec_lo
	s_branch .LBB8_31
.LBB8_38:
	s_or_b32 exec_lo, exec_lo, s1
.LBB8_39:
	v_mbcnt_lo_u32_b32 v2, -1, 0
	v_mov_b32_e32 v3, 0
	v_lshl_add_u32 v7, v4, 2, 0
	s_wait_xcnt 0x0
	v_cmp_lt_u32_e64 s0, 31, v0
	v_cmp_lt_u32_e64 s1, 63, v0
	v_xor_b32_e32 v2, 31, v2
	v_cmp_lt_u32_e64 s2, 0x5f, v0
	v_cmp_lt_u32_e64 s3, 0x7f, v0
	;; [unrolled: 1-line block ×4, first 2 shown]
	v_lshrrev_b32_e64 v2, v2, -1
	v_cmp_lt_u32_e64 s6, 0xdf, v0
	v_cmp_lt_u32_e64 s7, 0xff, v0
	;; [unrolled: 1-line block ×25, first 2 shown]
	v_mov_b32_e32 v8, 0
	s_mov_b32 s36, 0
	s_wait_dscnt 0x0
	v_cmp_eq_u32_e32 vcc_lo, 0x3ff, v0
	s_barrier_signal -1
	s_barrier_wait -1
	s_branch .LBB8_41
.LBB8_40:                               ;   in Loop: Header=BB8_41 Depth=1
	s_or_b32 exec_lo, exec_lo, s31
	s_wait_dscnt 0x0
	s_barrier_signal -1
	s_barrier_wait -1
	ds_load_b32 v4, v3 offset:16508
	v_add_co_u32 v6, s31, 0x400, v6
	s_xor_b32 s31, s31, -1
	v_add_nc_u32_e32 v1, 0x1000, v1
	s_and_b32 s31, exec_lo, s31
	s_delay_alu instid0(SALU_CYCLE_1)
	s_or_b32 s36, s31, s36
	s_wait_dscnt 0x0
	v_add_nc_u32_e32 v8, v4, v8
	s_and_not1_b32 exec_lo, exec_lo, s36
	s_cbranch_execz .LBB8_107
.LBB8_41:                               ; =>This Inner Loop Header: Depth=1
	ds_load_2addr_stride64_b32 v[4:5], v1 offset1:32
	s_wait_dscnt 0x0
	s_barrier_signal -1
	s_barrier_wait -1
	v_cmp_gt_i32_e64 s31, s33, v4
	s_bcnt1_i32_b32 s37, s31
	s_delay_alu instid0(SALU_CYCLE_1) | instskip(NEXT) | instid1(VALU_DEP_1)
	v_dual_mov_b32 v10, s37 :: v_dual_bitop2_b32 v9, s31, v2 bitop3:0x40
	v_bcnt_u32_b32 v9, v9, 0
	ds_store_b32 v7, v10 offset:16384
	s_wait_dscnt 0x0
	s_barrier_signal -1
	s_barrier_wait -1
	s_and_saveexec_b32 s37, s0
	s_cbranch_execz .LBB8_74
; %bb.42:                               ;   in Loop: Header=BB8_41 Depth=1
	ds_load_b32 v10, v3 offset:16384
	s_wait_dscnt 0x0
	v_add_nc_u32_e32 v9, v10, v9
	s_or_b32 exec_lo, exec_lo, s37
	s_and_saveexec_b32 s37, s1
	s_cbranch_execnz .LBB8_75
.LBB8_43:                               ;   in Loop: Header=BB8_41 Depth=1
	s_or_b32 exec_lo, exec_lo, s37
	s_and_saveexec_b32 s37, s2
	s_cbranch_execz .LBB8_76
.LBB8_44:                               ;   in Loop: Header=BB8_41 Depth=1
	ds_load_b32 v10, v3 offset:16392
	s_wait_dscnt 0x0
	v_add_nc_u32_e32 v9, v10, v9
	s_or_b32 exec_lo, exec_lo, s37
	s_and_saveexec_b32 s37, s3
	s_cbranch_execnz .LBB8_77
.LBB8_45:                               ;   in Loop: Header=BB8_41 Depth=1
	s_or_b32 exec_lo, exec_lo, s37
	s_and_saveexec_b32 s37, s4
	s_cbranch_execz .LBB8_78
.LBB8_46:                               ;   in Loop: Header=BB8_41 Depth=1
	ds_load_b32 v10, v3 offset:16400
	s_wait_dscnt 0x0
	v_add_nc_u32_e32 v9, v10, v9
	s_or_b32 exec_lo, exec_lo, s37
	s_and_saveexec_b32 s37, s5
	s_cbranch_execnz .LBB8_79
.LBB8_47:                               ;   in Loop: Header=BB8_41 Depth=1
	s_or_b32 exec_lo, exec_lo, s37
	s_and_saveexec_b32 s37, s6
	s_cbranch_execz .LBB8_80
.LBB8_48:                               ;   in Loop: Header=BB8_41 Depth=1
	ds_load_b32 v10, v3 offset:16408
	s_wait_dscnt 0x0
	v_add_nc_u32_e32 v9, v10, v9
	s_or_b32 exec_lo, exec_lo, s37
	s_and_saveexec_b32 s37, s7
	s_cbranch_execnz .LBB8_81
.LBB8_49:                               ;   in Loop: Header=BB8_41 Depth=1
	s_or_b32 exec_lo, exec_lo, s37
	s_and_saveexec_b32 s37, s8
	s_cbranch_execz .LBB8_82
.LBB8_50:                               ;   in Loop: Header=BB8_41 Depth=1
	ds_load_b32 v10, v3 offset:16416
	s_wait_dscnt 0x0
	v_add_nc_u32_e32 v9, v10, v9
	s_or_b32 exec_lo, exec_lo, s37
	s_and_saveexec_b32 s37, s9
	s_cbranch_execnz .LBB8_83
.LBB8_51:                               ;   in Loop: Header=BB8_41 Depth=1
	s_or_b32 exec_lo, exec_lo, s37
	s_and_saveexec_b32 s37, s10
	s_cbranch_execz .LBB8_84
.LBB8_52:                               ;   in Loop: Header=BB8_41 Depth=1
	ds_load_b32 v10, v3 offset:16424
	s_wait_dscnt 0x0
	v_add_nc_u32_e32 v9, v10, v9
	s_or_b32 exec_lo, exec_lo, s37
	s_and_saveexec_b32 s37, s11
	s_cbranch_execnz .LBB8_85
.LBB8_53:                               ;   in Loop: Header=BB8_41 Depth=1
	s_or_b32 exec_lo, exec_lo, s37
	s_and_saveexec_b32 s37, s12
	s_cbranch_execz .LBB8_86
.LBB8_54:                               ;   in Loop: Header=BB8_41 Depth=1
	ds_load_b32 v10, v3 offset:16432
	s_wait_dscnt 0x0
	v_add_nc_u32_e32 v9, v10, v9
	s_or_b32 exec_lo, exec_lo, s37
	s_and_saveexec_b32 s37, s13
	s_cbranch_execnz .LBB8_87
.LBB8_55:                               ;   in Loop: Header=BB8_41 Depth=1
	s_or_b32 exec_lo, exec_lo, s37
	s_and_saveexec_b32 s37, s14
	s_cbranch_execz .LBB8_88
.LBB8_56:                               ;   in Loop: Header=BB8_41 Depth=1
	ds_load_b32 v10, v3 offset:16440
	s_wait_dscnt 0x0
	v_add_nc_u32_e32 v9, v10, v9
	s_or_b32 exec_lo, exec_lo, s37
	s_and_saveexec_b32 s37, s15
	s_cbranch_execnz .LBB8_89
.LBB8_57:                               ;   in Loop: Header=BB8_41 Depth=1
	s_or_b32 exec_lo, exec_lo, s37
	s_and_saveexec_b32 s37, s16
	s_cbranch_execz .LBB8_90
.LBB8_58:                               ;   in Loop: Header=BB8_41 Depth=1
	ds_load_b32 v10, v3 offset:16448
	s_wait_dscnt 0x0
	v_add_nc_u32_e32 v9, v10, v9
	s_or_b32 exec_lo, exec_lo, s37
	s_and_saveexec_b32 s37, s17
	s_cbranch_execnz .LBB8_91
.LBB8_59:                               ;   in Loop: Header=BB8_41 Depth=1
	s_or_b32 exec_lo, exec_lo, s37
	s_and_saveexec_b32 s37, s18
	s_cbranch_execz .LBB8_92
.LBB8_60:                               ;   in Loop: Header=BB8_41 Depth=1
	ds_load_b32 v10, v3 offset:16456
	s_wait_dscnt 0x0
	v_add_nc_u32_e32 v9, v10, v9
	s_or_b32 exec_lo, exec_lo, s37
	s_and_saveexec_b32 s37, s19
	s_cbranch_execnz .LBB8_93
.LBB8_61:                               ;   in Loop: Header=BB8_41 Depth=1
	s_or_b32 exec_lo, exec_lo, s37
	s_and_saveexec_b32 s37, s20
	s_cbranch_execz .LBB8_94
.LBB8_62:                               ;   in Loop: Header=BB8_41 Depth=1
	ds_load_b32 v10, v3 offset:16464
	s_wait_dscnt 0x0
	v_add_nc_u32_e32 v9, v10, v9
	s_or_b32 exec_lo, exec_lo, s37
	s_and_saveexec_b32 s37, s21
	s_cbranch_execnz .LBB8_95
.LBB8_63:                               ;   in Loop: Header=BB8_41 Depth=1
	s_or_b32 exec_lo, exec_lo, s37
	s_and_saveexec_b32 s37, s22
	s_cbranch_execz .LBB8_96
.LBB8_64:                               ;   in Loop: Header=BB8_41 Depth=1
	ds_load_b32 v10, v3 offset:16472
	s_wait_dscnt 0x0
	v_add_nc_u32_e32 v9, v10, v9
	s_or_b32 exec_lo, exec_lo, s37
	s_and_saveexec_b32 s37, s23
	s_cbranch_execnz .LBB8_97
.LBB8_65:                               ;   in Loop: Header=BB8_41 Depth=1
	s_or_b32 exec_lo, exec_lo, s37
	s_and_saveexec_b32 s37, s24
	s_cbranch_execz .LBB8_98
.LBB8_66:                               ;   in Loop: Header=BB8_41 Depth=1
	ds_load_b32 v10, v3 offset:16480
	s_wait_dscnt 0x0
	v_add_nc_u32_e32 v9, v10, v9
	s_or_b32 exec_lo, exec_lo, s37
	s_and_saveexec_b32 s37, s25
	s_cbranch_execnz .LBB8_99
.LBB8_67:                               ;   in Loop: Header=BB8_41 Depth=1
	s_or_b32 exec_lo, exec_lo, s37
	s_and_saveexec_b32 s37, s26
	s_cbranch_execz .LBB8_100
.LBB8_68:                               ;   in Loop: Header=BB8_41 Depth=1
	ds_load_b32 v10, v3 offset:16488
	s_wait_dscnt 0x0
	v_add_nc_u32_e32 v9, v10, v9
	s_or_b32 exec_lo, exec_lo, s37
	s_and_saveexec_b32 s37, s27
	s_cbranch_execnz .LBB8_101
.LBB8_69:                               ;   in Loop: Header=BB8_41 Depth=1
	s_or_b32 exec_lo, exec_lo, s37
	s_and_saveexec_b32 s37, s28
	s_cbranch_execz .LBB8_102
.LBB8_70:                               ;   in Loop: Header=BB8_41 Depth=1
	ds_load_b32 v10, v3 offset:16496
	s_wait_dscnt 0x0
	v_add_nc_u32_e32 v9, v10, v9
	s_or_b32 exec_lo, exec_lo, s37
	s_and_saveexec_b32 s37, s29
	s_cbranch_execnz .LBB8_103
.LBB8_71:                               ;   in Loop: Header=BB8_41 Depth=1
	s_or_b32 exec_lo, exec_lo, s37
	s_and_saveexec_b32 s37, s30
	s_cbranch_execz .LBB8_104
.LBB8_72:                               ;   in Loop: Header=BB8_41 Depth=1
	ds_load_b32 v10, v3 offset:16504
	s_wait_dscnt 0x0
	v_add_nc_u32_e32 v9, v10, v9
	s_or_b32 exec_lo, exec_lo, s37
	s_and_saveexec_b32 s37, s31
	s_cbranch_execnz .LBB8_105
.LBB8_73:                               ;   in Loop: Header=BB8_41 Depth=1
	s_or_b32 exec_lo, exec_lo, s37
	s_and_saveexec_b32 s31, vcc_lo
	s_cbranch_execz .LBB8_40
	s_branch .LBB8_106
.LBB8_74:                               ;   in Loop: Header=BB8_41 Depth=1
	s_or_b32 exec_lo, exec_lo, s37
	s_and_saveexec_b32 s37, s1
	s_cbranch_execz .LBB8_43
.LBB8_75:                               ;   in Loop: Header=BB8_41 Depth=1
	ds_load_b32 v10, v3 offset:16388
	s_wait_dscnt 0x0
	v_add_nc_u32_e32 v9, v10, v9
	s_or_b32 exec_lo, exec_lo, s37
	s_and_saveexec_b32 s37, s2
	s_cbranch_execnz .LBB8_44
.LBB8_76:                               ;   in Loop: Header=BB8_41 Depth=1
	s_or_b32 exec_lo, exec_lo, s37
	s_and_saveexec_b32 s37, s3
	s_cbranch_execz .LBB8_45
.LBB8_77:                               ;   in Loop: Header=BB8_41 Depth=1
	ds_load_b32 v10, v3 offset:16396
	s_wait_dscnt 0x0
	v_add_nc_u32_e32 v9, v10, v9
	s_or_b32 exec_lo, exec_lo, s37
	s_and_saveexec_b32 s37, s4
	s_cbranch_execnz .LBB8_46
.LBB8_78:                               ;   in Loop: Header=BB8_41 Depth=1
	s_or_b32 exec_lo, exec_lo, s37
	s_and_saveexec_b32 s37, s5
	s_cbranch_execz .LBB8_47
.LBB8_79:                               ;   in Loop: Header=BB8_41 Depth=1
	ds_load_b32 v10, v3 offset:16404
	s_wait_dscnt 0x0
	v_add_nc_u32_e32 v9, v10, v9
	s_or_b32 exec_lo, exec_lo, s37
	s_and_saveexec_b32 s37, s6
	s_cbranch_execnz .LBB8_48
.LBB8_80:                               ;   in Loop: Header=BB8_41 Depth=1
	s_or_b32 exec_lo, exec_lo, s37
	s_and_saveexec_b32 s37, s7
	s_cbranch_execz .LBB8_49
.LBB8_81:                               ;   in Loop: Header=BB8_41 Depth=1
	ds_load_b32 v10, v3 offset:16412
	s_wait_dscnt 0x0
	v_add_nc_u32_e32 v9, v10, v9
	s_or_b32 exec_lo, exec_lo, s37
	s_and_saveexec_b32 s37, s8
	s_cbranch_execnz .LBB8_50
.LBB8_82:                               ;   in Loop: Header=BB8_41 Depth=1
	s_or_b32 exec_lo, exec_lo, s37
	s_and_saveexec_b32 s37, s9
	s_cbranch_execz .LBB8_51
.LBB8_83:                               ;   in Loop: Header=BB8_41 Depth=1
	ds_load_b32 v10, v3 offset:16420
	s_wait_dscnt 0x0
	v_add_nc_u32_e32 v9, v10, v9
	s_or_b32 exec_lo, exec_lo, s37
	s_and_saveexec_b32 s37, s10
	s_cbranch_execnz .LBB8_52
.LBB8_84:                               ;   in Loop: Header=BB8_41 Depth=1
	s_or_b32 exec_lo, exec_lo, s37
	s_and_saveexec_b32 s37, s11
	s_cbranch_execz .LBB8_53
.LBB8_85:                               ;   in Loop: Header=BB8_41 Depth=1
	ds_load_b32 v10, v3 offset:16428
	s_wait_dscnt 0x0
	v_add_nc_u32_e32 v9, v10, v9
	s_or_b32 exec_lo, exec_lo, s37
	s_and_saveexec_b32 s37, s12
	s_cbranch_execnz .LBB8_54
.LBB8_86:                               ;   in Loop: Header=BB8_41 Depth=1
	s_or_b32 exec_lo, exec_lo, s37
	s_and_saveexec_b32 s37, s13
	s_cbranch_execz .LBB8_55
.LBB8_87:                               ;   in Loop: Header=BB8_41 Depth=1
	ds_load_b32 v10, v3 offset:16436
	s_wait_dscnt 0x0
	v_add_nc_u32_e32 v9, v10, v9
	s_or_b32 exec_lo, exec_lo, s37
	s_and_saveexec_b32 s37, s14
	s_cbranch_execnz .LBB8_56
.LBB8_88:                               ;   in Loop: Header=BB8_41 Depth=1
	s_or_b32 exec_lo, exec_lo, s37
	s_and_saveexec_b32 s37, s15
	s_cbranch_execz .LBB8_57
.LBB8_89:                               ;   in Loop: Header=BB8_41 Depth=1
	ds_load_b32 v10, v3 offset:16444
	s_wait_dscnt 0x0
	v_add_nc_u32_e32 v9, v10, v9
	s_or_b32 exec_lo, exec_lo, s37
	s_and_saveexec_b32 s37, s16
	s_cbranch_execnz .LBB8_58
.LBB8_90:                               ;   in Loop: Header=BB8_41 Depth=1
	s_or_b32 exec_lo, exec_lo, s37
	s_and_saveexec_b32 s37, s17
	s_cbranch_execz .LBB8_59
.LBB8_91:                               ;   in Loop: Header=BB8_41 Depth=1
	ds_load_b32 v10, v3 offset:16452
	s_wait_dscnt 0x0
	v_add_nc_u32_e32 v9, v10, v9
	s_or_b32 exec_lo, exec_lo, s37
	s_and_saveexec_b32 s37, s18
	s_cbranch_execnz .LBB8_60
.LBB8_92:                               ;   in Loop: Header=BB8_41 Depth=1
	s_or_b32 exec_lo, exec_lo, s37
	s_and_saveexec_b32 s37, s19
	s_cbranch_execz .LBB8_61
.LBB8_93:                               ;   in Loop: Header=BB8_41 Depth=1
	ds_load_b32 v10, v3 offset:16460
	s_wait_dscnt 0x0
	v_add_nc_u32_e32 v9, v10, v9
	s_or_b32 exec_lo, exec_lo, s37
	s_and_saveexec_b32 s37, s20
	s_cbranch_execnz .LBB8_62
.LBB8_94:                               ;   in Loop: Header=BB8_41 Depth=1
	s_or_b32 exec_lo, exec_lo, s37
	s_and_saveexec_b32 s37, s21
	s_cbranch_execz .LBB8_63
.LBB8_95:                               ;   in Loop: Header=BB8_41 Depth=1
	ds_load_b32 v10, v3 offset:16468
	s_wait_dscnt 0x0
	v_add_nc_u32_e32 v9, v10, v9
	s_or_b32 exec_lo, exec_lo, s37
	s_and_saveexec_b32 s37, s22
	s_cbranch_execnz .LBB8_64
.LBB8_96:                               ;   in Loop: Header=BB8_41 Depth=1
	s_or_b32 exec_lo, exec_lo, s37
	s_and_saveexec_b32 s37, s23
	s_cbranch_execz .LBB8_65
.LBB8_97:                               ;   in Loop: Header=BB8_41 Depth=1
	ds_load_b32 v10, v3 offset:16476
	s_wait_dscnt 0x0
	v_add_nc_u32_e32 v9, v10, v9
	s_or_b32 exec_lo, exec_lo, s37
	s_and_saveexec_b32 s37, s24
	s_cbranch_execnz .LBB8_66
.LBB8_98:                               ;   in Loop: Header=BB8_41 Depth=1
	s_or_b32 exec_lo, exec_lo, s37
	s_and_saveexec_b32 s37, s25
	s_cbranch_execz .LBB8_67
.LBB8_99:                               ;   in Loop: Header=BB8_41 Depth=1
	ds_load_b32 v10, v3 offset:16484
	s_wait_dscnt 0x0
	v_add_nc_u32_e32 v9, v10, v9
	s_or_b32 exec_lo, exec_lo, s37
	s_and_saveexec_b32 s37, s26
	s_cbranch_execnz .LBB8_68
.LBB8_100:                              ;   in Loop: Header=BB8_41 Depth=1
	s_or_b32 exec_lo, exec_lo, s37
	s_and_saveexec_b32 s37, s27
	s_cbranch_execz .LBB8_69
.LBB8_101:                              ;   in Loop: Header=BB8_41 Depth=1
	ds_load_b32 v10, v3 offset:16492
	s_wait_dscnt 0x0
	v_add_nc_u32_e32 v9, v10, v9
	s_or_b32 exec_lo, exec_lo, s37
	s_and_saveexec_b32 s37, s28
	s_cbranch_execnz .LBB8_70
.LBB8_102:                              ;   in Loop: Header=BB8_41 Depth=1
	s_or_b32 exec_lo, exec_lo, s37
	s_and_saveexec_b32 s37, s29
	s_cbranch_execz .LBB8_71
.LBB8_103:                              ;   in Loop: Header=BB8_41 Depth=1
	ds_load_b32 v10, v3 offset:16500
	s_wait_dscnt 0x0
	v_add_nc_u32_e32 v9, v10, v9
	s_or_b32 exec_lo, exec_lo, s37
	s_and_saveexec_b32 s37, s30
	s_cbranch_execnz .LBB8_72
.LBB8_104:                              ;   in Loop: Header=BB8_41 Depth=1
	s_or_b32 exec_lo, exec_lo, s37
	s_and_saveexec_b32 s37, s31
	s_cbranch_execz .LBB8_73
.LBB8_105:                              ;   in Loop: Header=BB8_41 Depth=1
	s_delay_alu instid0(VALU_DEP_1) | instskip(SKIP_1) | instid1(VALU_DEP_2)
	v_add3_u32 v10, v8, -1, v9
	v_add_nc_u32_e32 v11, v8, v9
	v_lshl_add_u32 v10, v10, 2, 0
	s_delay_alu instid0(VALU_DEP_2)
	v_lshl_add_u32 v11, v11, 2, 0
	ds_store_b32 v10, v4
	ds_store_b32 v11, v5 offset:8188
	s_or_b32 exec_lo, exec_lo, s37
	s_and_saveexec_b32 s31, vcc_lo
	s_cbranch_execz .LBB8_40
.LBB8_106:                              ;   in Loop: Header=BB8_41 Depth=1
	ds_store_b32 v3, v9 offset:16508
	s_branch .LBB8_40
.LBB8_107:
	s_or_b32 exec_lo, exec_lo, s36
	s_wait_kmcnt 0x0
	s_ashr_i32 s43, s42, 31
	s_delay_alu instid0(SALU_CYCLE_1) | instskip(NEXT) | instid1(SALU_CYCLE_1)
	s_lshl_b64 s[0:1], s[42:43], 2
	s_add_nc_u64 s[2:3], s[40:41], s[0:1]
	s_load_b64 s[0:1], s[2:3], 0x0
	s_wait_kmcnt 0x0
	s_sub_co_i32 s4, s1, s0
	s_mov_b32 s1, exec_lo
	v_cmpx_gt_i32_e64 s4, v0
	s_cbranch_execz .LBB8_121
; %bb.108:
	v_sub_co_u32 v1, s1, s4, 2
	s_sub_co_i32 s2, s0, s38
	s_xor_b32 s6, s1, -1
	s_and_b32 s5, s4, -2
	v_readfirstlane_b32 s3, v1
	s_lshr_b32 s0, s3, 1
	s_mov_b32 s3, 0
	s_add_co_i32 s0, s0, 1
	s_mov_b32 s11, s3
	s_and_b32 s1, s0, 7
	s_and_b32 s7, s0, -8
	s_cmp_lg_u32 s1, 0
	v_cmp_lt_u32_e64 s0, 13, v1
	s_cselect_b32 s8, -1, 0
	s_cmp_lg_u32 s4, s5
	s_cselect_b32 s9, -1, 0
	s_lshl_b32 s10, s1, 3
	s_branch .LBB8_110
.LBB8_109:                              ;   in Loop: Header=BB8_110 Depth=1
	v_add_nc_u32_e32 v0, 0x400, v0
	s_wait_dscnt 0x0
	global_store_b32 v1, v3, s[34:35] scale_offset
	v_cmp_le_i32_e32 vcc_lo, s4, v0
	s_or_b32 s11, vcc_lo, s11
	s_wait_xcnt 0x0
	s_and_not1_b32 exec_lo, exec_lo, s11
	s_cbranch_execz .LBB8_121
.LBB8_110:                              ; =>This Loop Header: Depth=1
                                        ;     Child Loop BB8_113 Depth 2
                                        ;     Child Loop BB8_116 Depth 2
	;; [unrolled: 1-line block ×3, first 2 shown]
	v_lshl_add_u32 v1, v0, 2, 0
	s_and_not1_b32 vcc_lo, exec_lo, s6
	s_mov_b32 s1, 0
	s_mov_b32 s12, -1
	ds_load_2addr_stride64_b32 v[2:3], v1 offset1:32
	v_mov_b32_e32 v1, s2
	s_cbranch_vccnz .LBB8_118
; %bb.111:                              ;   in Loop: Header=BB8_110 Depth=1
	v_mov_b64_e32 v[4:5], s[2:3]
	s_and_not1_b32 vcc_lo, exec_lo, s0
	s_mov_b32 s12, 0
	s_cbranch_vccnz .LBB8_114
; %bb.112:                              ;   in Loop: Header=BB8_110 Depth=1
	v_dual_mov_b32 v4, s2 :: v_dual_mov_b32 v5, 0
	s_mov_b32 s13, 0
	s_mov_b32 s14, s7
.LBB8_113:                              ;   Parent Loop BB8_110 Depth=1
                                        ; =>  This Inner Loop Header: Depth=2
	v_mov_b32_e32 v1, s13
	s_add_co_i32 s14, s14, -8
	s_add_co_i32 s12, s12, 16
	s_add_co_i32 s13, s13, 64
	s_cmp_lg_u32 s14, 0
	ds_load_2addr_b32 v[6:7], v1 offset1:1
	ds_load_2addr_b32 v[8:9], v1 offset0:2 offset1:3
	ds_load_2addr_b32 v[10:11], v1 offset0:4 offset1:5
	;; [unrolled: 1-line block ×7, first 2 shown]
	s_wait_dscnt 0x7
	v_cmp_gt_i32_e32 vcc_lo, v2, v7
	s_wait_dscnt 0x5
	v_cmp_gt_i32_e64 s1, v2, v10
	v_cndmask_b32_e64 v1, 0, 1, vcc_lo
	v_cmp_gt_i32_e32 vcc_lo, v2, v6
	s_delay_alu instid0(VALU_DEP_3) | instskip(SKIP_3) | instid1(VALU_DEP_3)
	v_cndmask_b32_e64 v7, 0, 1, s1
	v_cmp_gt_i32_e64 s1, v2, v11
	v_cndmask_b32_e64 v6, 0, 1, vcc_lo
	v_cmp_gt_i32_e32 vcc_lo, v2, v8
	v_cndmask_b32_e64 v8, 0, 1, s1
	s_wait_dscnt 0x4
	v_cmp_gt_i32_e64 s1, v2, v13
	v_add_co_ci_u32_e64 v4, null, v4, v6, vcc_lo
	s_delay_alu instid0(VALU_DEP_2) | instskip(SKIP_3) | instid1(VALU_DEP_2)
	v_cndmask_b32_e64 v10, 0, 1, s1
	v_cmp_gt_i32_e64 s1, v2, v12
	s_wait_dscnt 0x2
	v_cmp_gt_i32_e32 vcc_lo, v2, v16
	v_cndmask_b32_e64 v11, 0, 1, s1
	v_cmp_gt_i32_e64 s1, v2, v14
	v_add_co_ci_u32_e64 v4, null, v4, v7, vcc_lo
	s_wait_dscnt 0x1
	v_cmp_gt_i32_e32 vcc_lo, v2, v18
	s_delay_alu instid0(VALU_DEP_3) | instskip(SKIP_4) | instid1(VALU_DEP_3)
	v_cndmask_b32_e64 v12, 0, 1, s1
	v_cmp_gt_i32_e64 s1, v2, v15
	v_add_co_ci_u32_e64 v4, null, v4, v11, vcc_lo
	s_wait_dscnt 0x0
	v_cmp_gt_i32_e32 vcc_lo, v2, v20
	v_cndmask_b32_e64 v13, 0, 1, s1
	v_cmp_gt_i32_e64 s1, v2, v9
	v_add_co_ci_u32_e64 v4, null, v4, v12, vcc_lo
	s_delay_alu instid0(VALU_DEP_2) | instskip(SKIP_1) | instid1(VALU_DEP_1)
	v_add_co_ci_u32_e64 v1, null, v5, v1, s1
	v_cmp_gt_i32_e64 s1, v2, v17
	v_add_co_ci_u32_e64 v1, null, v1, v8, s1
	v_cmp_gt_i32_e64 s1, v2, v19
	s_delay_alu instid0(VALU_DEP_1) | instskip(SKIP_1) | instid1(VALU_DEP_1)
	v_add_co_ci_u32_e64 v1, null, v1, v10, s1
	v_cmp_gt_i32_e64 s1, v2, v21
	v_add_co_ci_u32_e64 v5, null, v1, v13, s1
	s_cbranch_scc1 .LBB8_113
.LBB8_114:                              ;   in Loop: Header=BB8_110 Depth=1
	s_and_not1_b32 vcc_lo, exec_lo, s8
	s_cbranch_vccnz .LBB8_117
; %bb.115:                              ;   in Loop: Header=BB8_110 Depth=1
	s_lshl_b32 s1, s12, 2
	s_mov_b32 s12, s10
	s_add_co_i32 s1, s1, 0
.LBB8_116:                              ;   Parent Loop BB8_110 Depth=1
                                        ; =>  This Inner Loop Header: Depth=2
	s_delay_alu instid0(SALU_CYCLE_1)
	v_mov_b32_e32 v1, s1
	s_add_co_i32 s12, s12, -8
	s_add_co_i32 s1, s1, 8
	s_cmp_lg_u32 s12, 0
	ds_load_2addr_b32 v[6:7], v1 offset1:1
	s_wait_dscnt 0x0
	v_cmp_gt_i32_e32 vcc_lo, v2, v7
	v_add_co_ci_u32_e64 v5, null, 0, v5, vcc_lo
	v_cmp_gt_i32_e32 vcc_lo, v2, v6
	v_add_co_ci_u32_e64 v4, null, 0, v4, vcc_lo
	s_cbranch_scc1 .LBB8_116
.LBB8_117:                              ;   in Loop: Header=BB8_110 Depth=1
	s_delay_alu instid0(VALU_DEP_1)
	v_add_nc_u32_e32 v1, v4, v5
	s_mov_b32 s1, s5
	s_mov_b32 s12, s9
.LBB8_118:                              ;   in Loop: Header=BB8_110 Depth=1
	s_delay_alu instid0(SALU_CYCLE_1)
	s_and_b32 vcc_lo, exec_lo, s12
	s_cbranch_vccz .LBB8_109
; %bb.119:                              ;   in Loop: Header=BB8_110 Depth=1
	s_lshl_b32 s12, s1, 2
	s_delay_alu instid0(SALU_CYCLE_1)
	s_add_co_i32 s12, s12, 0
.LBB8_120:                              ;   Parent Loop BB8_110 Depth=1
                                        ; =>  This Inner Loop Header: Depth=2
	s_delay_alu instid0(SALU_CYCLE_1)
	v_mov_b32_e32 v4, s12
	s_add_co_i32 s1, s1, 1
	s_add_co_i32 s12, s12, 4
	s_cmp_ge_i32 s1, s4
	ds_load_b32 v4, v4
	s_wait_dscnt 0x0
	v_cmp_gt_i32_e32 vcc_lo, v2, v4
	v_add_co_ci_u32_e64 v1, null, 0, v1, vcc_lo
	s_cbranch_scc0 .LBB8_120
	s_branch .LBB8_109
.LBB8_121:
	s_endpgm
	.section	.rodata,"a",@progbits
	.p2align	6, 0x0
	.amdhsa_kernel _ZN9rocsparseL41csrgemm_numeric_fill_block_per_row_kernelILj1024ELj32ELj2048ELj137ELj32EiifEEvT5_PKS1_S3_NS_24const_host_device_scalarIT6_EEPKT4_S3_PKS5_S9_S3_SB_S6_S9_S3_SB_S9_S3_PS5_21rocsparse_index_base_SD_SD_SD_bbb
		.amdhsa_group_segment_fixed_size 0
		.amdhsa_private_segment_fixed_size 0
		.amdhsa_kernarg_size 156
		.amdhsa_user_sgpr_count 2
		.amdhsa_user_sgpr_dispatch_ptr 0
		.amdhsa_user_sgpr_queue_ptr 0
		.amdhsa_user_sgpr_kernarg_segment_ptr 1
		.amdhsa_user_sgpr_dispatch_id 0
		.amdhsa_user_sgpr_kernarg_preload_length 0
		.amdhsa_user_sgpr_kernarg_preload_offset 0
		.amdhsa_user_sgpr_private_segment_size 0
		.amdhsa_wavefront_size32 1
		.amdhsa_uses_dynamic_stack 0
		.amdhsa_enable_private_segment 0
		.amdhsa_system_sgpr_workgroup_id_x 1
		.amdhsa_system_sgpr_workgroup_id_y 0
		.amdhsa_system_sgpr_workgroup_id_z 0
		.amdhsa_system_sgpr_workgroup_info 0
		.amdhsa_system_vgpr_workitem_id 0
		.amdhsa_next_free_vgpr 22
		.amdhsa_next_free_sgpr 44
		.amdhsa_named_barrier_count 0
		.amdhsa_reserve_vcc 1
		.amdhsa_float_round_mode_32 0
		.amdhsa_float_round_mode_16_64 0
		.amdhsa_float_denorm_mode_32 3
		.amdhsa_float_denorm_mode_16_64 3
		.amdhsa_fp16_overflow 0
		.amdhsa_memory_ordered 1
		.amdhsa_forward_progress 1
		.amdhsa_inst_pref_size 33
		.amdhsa_round_robin_scheduling 0
		.amdhsa_exception_fp_ieee_invalid_op 0
		.amdhsa_exception_fp_denorm_src 0
		.amdhsa_exception_fp_ieee_div_zero 0
		.amdhsa_exception_fp_ieee_overflow 0
		.amdhsa_exception_fp_ieee_underflow 0
		.amdhsa_exception_fp_ieee_inexact 0
		.amdhsa_exception_int_div_zero 0
	.end_amdhsa_kernel
	.section	.text._ZN9rocsparseL41csrgemm_numeric_fill_block_per_row_kernelILj1024ELj32ELj2048ELj137ELj32EiifEEvT5_PKS1_S3_NS_24const_host_device_scalarIT6_EEPKT4_S3_PKS5_S9_S3_SB_S6_S9_S3_SB_S9_S3_PS5_21rocsparse_index_base_SD_SD_SD_bbb,"axG",@progbits,_ZN9rocsparseL41csrgemm_numeric_fill_block_per_row_kernelILj1024ELj32ELj2048ELj137ELj32EiifEEvT5_PKS1_S3_NS_24const_host_device_scalarIT6_EEPKT4_S3_PKS5_S9_S3_SB_S6_S9_S3_SB_S9_S3_PS5_21rocsparse_index_base_SD_SD_SD_bbb,comdat
.Lfunc_end8:
	.size	_ZN9rocsparseL41csrgemm_numeric_fill_block_per_row_kernelILj1024ELj32ELj2048ELj137ELj32EiifEEvT5_PKS1_S3_NS_24const_host_device_scalarIT6_EEPKT4_S3_PKS5_S9_S3_SB_S6_S9_S3_SB_S9_S3_PS5_21rocsparse_index_base_SD_SD_SD_bbb, .Lfunc_end8-_ZN9rocsparseL41csrgemm_numeric_fill_block_per_row_kernelILj1024ELj32ELj2048ELj137ELj32EiifEEvT5_PKS1_S3_NS_24const_host_device_scalarIT6_EEPKT4_S3_PKS5_S9_S3_SB_S6_S9_S3_SB_S9_S3_PS5_21rocsparse_index_base_SD_SD_SD_bbb
                                        ; -- End function
	.set _ZN9rocsparseL41csrgemm_numeric_fill_block_per_row_kernelILj1024ELj32ELj2048ELj137ELj32EiifEEvT5_PKS1_S3_NS_24const_host_device_scalarIT6_EEPKT4_S3_PKS5_S9_S3_SB_S6_S9_S3_SB_S9_S3_PS5_21rocsparse_index_base_SD_SD_SD_bbb.num_vgpr, 22
	.set _ZN9rocsparseL41csrgemm_numeric_fill_block_per_row_kernelILj1024ELj32ELj2048ELj137ELj32EiifEEvT5_PKS1_S3_NS_24const_host_device_scalarIT6_EEPKT4_S3_PKS5_S9_S3_SB_S6_S9_S3_SB_S9_S3_PS5_21rocsparse_index_base_SD_SD_SD_bbb.num_agpr, 0
	.set _ZN9rocsparseL41csrgemm_numeric_fill_block_per_row_kernelILj1024ELj32ELj2048ELj137ELj32EiifEEvT5_PKS1_S3_NS_24const_host_device_scalarIT6_EEPKT4_S3_PKS5_S9_S3_SB_S6_S9_S3_SB_S9_S3_PS5_21rocsparse_index_base_SD_SD_SD_bbb.numbered_sgpr, 44
	.set _ZN9rocsparseL41csrgemm_numeric_fill_block_per_row_kernelILj1024ELj32ELj2048ELj137ELj32EiifEEvT5_PKS1_S3_NS_24const_host_device_scalarIT6_EEPKT4_S3_PKS5_S9_S3_SB_S6_S9_S3_SB_S9_S3_PS5_21rocsparse_index_base_SD_SD_SD_bbb.num_named_barrier, 0
	.set _ZN9rocsparseL41csrgemm_numeric_fill_block_per_row_kernelILj1024ELj32ELj2048ELj137ELj32EiifEEvT5_PKS1_S3_NS_24const_host_device_scalarIT6_EEPKT4_S3_PKS5_S9_S3_SB_S6_S9_S3_SB_S9_S3_PS5_21rocsparse_index_base_SD_SD_SD_bbb.private_seg_size, 0
	.set _ZN9rocsparseL41csrgemm_numeric_fill_block_per_row_kernelILj1024ELj32ELj2048ELj137ELj32EiifEEvT5_PKS1_S3_NS_24const_host_device_scalarIT6_EEPKT4_S3_PKS5_S9_S3_SB_S6_S9_S3_SB_S9_S3_PS5_21rocsparse_index_base_SD_SD_SD_bbb.uses_vcc, 1
	.set _ZN9rocsparseL41csrgemm_numeric_fill_block_per_row_kernelILj1024ELj32ELj2048ELj137ELj32EiifEEvT5_PKS1_S3_NS_24const_host_device_scalarIT6_EEPKT4_S3_PKS5_S9_S3_SB_S6_S9_S3_SB_S9_S3_PS5_21rocsparse_index_base_SD_SD_SD_bbb.uses_flat_scratch, 0
	.set _ZN9rocsparseL41csrgemm_numeric_fill_block_per_row_kernelILj1024ELj32ELj2048ELj137ELj32EiifEEvT5_PKS1_S3_NS_24const_host_device_scalarIT6_EEPKT4_S3_PKS5_S9_S3_SB_S6_S9_S3_SB_S9_S3_PS5_21rocsparse_index_base_SD_SD_SD_bbb.has_dyn_sized_stack, 0
	.set _ZN9rocsparseL41csrgemm_numeric_fill_block_per_row_kernelILj1024ELj32ELj2048ELj137ELj32EiifEEvT5_PKS1_S3_NS_24const_host_device_scalarIT6_EEPKT4_S3_PKS5_S9_S3_SB_S6_S9_S3_SB_S9_S3_PS5_21rocsparse_index_base_SD_SD_SD_bbb.has_recursion, 0
	.set _ZN9rocsparseL41csrgemm_numeric_fill_block_per_row_kernelILj1024ELj32ELj2048ELj137ELj32EiifEEvT5_PKS1_S3_NS_24const_host_device_scalarIT6_EEPKT4_S3_PKS5_S9_S3_SB_S6_S9_S3_SB_S9_S3_PS5_21rocsparse_index_base_SD_SD_SD_bbb.has_indirect_call, 0
	.section	.AMDGPU.csdata,"",@progbits
; Kernel info:
; codeLenInByte = 4196
; TotalNumSgprs: 46
; NumVgprs: 22
; ScratchSize: 0
; MemoryBound: 0
; FloatMode: 240
; IeeeMode: 1
; LDSByteSize: 0 bytes/workgroup (compile time only)
; SGPRBlocks: 0
; VGPRBlocks: 1
; NumSGPRsForWavesPerEU: 46
; NumVGPRsForWavesPerEU: 22
; NamedBarCnt: 0
; Occupancy: 16
; WaveLimiterHint : 1
; COMPUTE_PGM_RSRC2:SCRATCH_EN: 0
; COMPUTE_PGM_RSRC2:USER_SGPR: 2
; COMPUTE_PGM_RSRC2:TRAP_HANDLER: 0
; COMPUTE_PGM_RSRC2:TGID_X_EN: 1
; COMPUTE_PGM_RSRC2:TGID_Y_EN: 0
; COMPUTE_PGM_RSRC2:TGID_Z_EN: 0
; COMPUTE_PGM_RSRC2:TIDIG_COMP_CNT: 0
	.section	.text._ZN9rocsparseL41csrgemm_numeric_fill_block_per_row_kernelILj1024ELj32ELj2048ELj137ELj64EiifEEvT5_PKS1_S3_NS_24const_host_device_scalarIT6_EEPKT4_S3_PKS5_S9_S3_SB_S6_S9_S3_SB_S9_S3_PS5_21rocsparse_index_base_SD_SD_SD_bbb,"axG",@progbits,_ZN9rocsparseL41csrgemm_numeric_fill_block_per_row_kernelILj1024ELj32ELj2048ELj137ELj64EiifEEvT5_PKS1_S3_NS_24const_host_device_scalarIT6_EEPKT4_S3_PKS5_S9_S3_SB_S6_S9_S3_SB_S9_S3_PS5_21rocsparse_index_base_SD_SD_SD_bbb,comdat
	.globl	_ZN9rocsparseL41csrgemm_numeric_fill_block_per_row_kernelILj1024ELj32ELj2048ELj137ELj64EiifEEvT5_PKS1_S3_NS_24const_host_device_scalarIT6_EEPKT4_S3_PKS5_S9_S3_SB_S6_S9_S3_SB_S9_S3_PS5_21rocsparse_index_base_SD_SD_SD_bbb ; -- Begin function _ZN9rocsparseL41csrgemm_numeric_fill_block_per_row_kernelILj1024ELj32ELj2048ELj137ELj64EiifEEvT5_PKS1_S3_NS_24const_host_device_scalarIT6_EEPKT4_S3_PKS5_S9_S3_SB_S6_S9_S3_SB_S9_S3_PS5_21rocsparse_index_base_SD_SD_SD_bbb
	.p2align	8
	.type	_ZN9rocsparseL41csrgemm_numeric_fill_block_per_row_kernelILj1024ELj32ELj2048ELj137ELj64EiifEEvT5_PKS1_S3_NS_24const_host_device_scalarIT6_EEPKT4_S3_PKS5_S9_S3_SB_S6_S9_S3_SB_S9_S3_PS5_21rocsparse_index_base_SD_SD_SD_bbb,@function
_ZN9rocsparseL41csrgemm_numeric_fill_block_per_row_kernelILj1024ELj32ELj2048ELj137ELj64EiifEEvT5_PKS1_S3_NS_24const_host_device_scalarIT6_EEPKT4_S3_PKS5_S9_S3_SB_S6_S9_S3_SB_S9_S3_PS5_21rocsparse_index_base_SD_SD_SD_bbb: ; @_ZN9rocsparseL41csrgemm_numeric_fill_block_per_row_kernelILj1024ELj32ELj2048ELj137ELj64EiifEEvT5_PKS1_S3_NS_24const_host_device_scalarIT6_EEPKT4_S3_PKS5_S9_S3_SB_S6_S9_S3_SB_S9_S3_PS5_21rocsparse_index_base_SD_SD_SD_bbb
; %bb.0:
	s_clause 0x3
	s_load_b32 s14, s[0:1], 0x98
	s_load_b64 s[2:3], s[0:1], 0x18
	s_load_b128 s[16:19], s[0:1], 0x88
	s_load_b64 s[12:13], s[0:1], 0x50
	s_wait_kmcnt 0x0
	s_and_b32 s4, 1, s14
	s_bitcmp1_b32 s14, 16
	s_cselect_b32 s15, -1, 0
	s_cmp_eq_u32 s4, 1
	s_cselect_b32 s37, -1, 0
	s_delay_alu instid0(SALU_CYCLE_1) | instskip(SKIP_2) | instid1(SALU_CYCLE_1)
	s_and_b32 s4, s37, exec_lo
	s_cselect_b32 s35, s2, 0
	s_xor_b32 s4, s37, -1
	s_or_b32 s4, s15, s4
	s_delay_alu instid0(SALU_CYCLE_1)
	s_and_b32 vcc_lo, exec_lo, s4
	s_cbranch_vccnz .LBB9_2
; %bb.1:
	s_load_b32 s35, s[2:3], 0x0
.LBB9_2:
	s_clause 0x3
	s_load_b64 s[24:25], s[0:1], 0x80
	s_load_b128 s[4:7], s[0:1], 0x60
	s_load_b128 s[8:11], s[0:1], 0x40
	s_load_b128 s[20:23], s[0:1], 0x8
	s_wait_xcnt 0x0
	s_load_b64 s[2:3], s[0:1], 0x28
	s_bitcmp1_b32 s14, 8
	s_cselect_b32 s36, -1, 0
	s_delay_alu instid0(SALU_CYCLE_1) | instskip(SKIP_2) | instid1(SALU_CYCLE_1)
	s_and_b32 s14, s36, exec_lo
	s_cselect_b32 s34, s12, 0
	s_xor_b32 s14, s36, -1
	s_or_b32 s14, s15, s14
	s_delay_alu instid0(SALU_CYCLE_1)
	s_and_b32 vcc_lo, exec_lo, s14
	s_cbranch_vccnz .LBB9_4
; %bb.3:
	s_load_b32 s34, s[12:13], 0x0
.LBB9_4:
	s_clause 0x3
	s_load_b32 s33, s[0:1], 0x0
	s_load_b64 s[30:31], s[0:1], 0x20
	s_load_b64 s[26:27], s[0:1], 0x70
	;; [unrolled: 1-line block ×3, first 2 shown]
	s_wait_xcnt 0x0
	s_load_b128 s[12:15], s[0:1], 0x30
	v_lshl_add_u32 v1, v0, 2, 0
	v_or_b32_e32 v6, 0xfffffc00, v0
	v_mov_b32_e32 v2, 0
	s_wait_xcnt 0x0
	s_mov_b32 s0, 0
	s_delay_alu instid0(VALU_DEP_2)
	v_dual_mov_b32 v3, v1 :: v_dual_mov_b32 v5, v6
	s_wait_kmcnt 0x0
	v_mov_b32_e32 v4, s33
.LBB9_5:                                ; =>This Inner Loop Header: Depth=1
	s_delay_alu instid0(VALU_DEP_2) | instskip(SKIP_4) | instid1(SALU_CYCLE_1)
	v_add_co_u32 v5, s1, 0x400, v5
	s_xor_b32 s1, s1, -1
	ds_store_2addr_stride64_b32 v3, v4, v2 offset1:32
	v_add_nc_u32_e32 v3, 0x1000, v3
	s_and_b32 s1, exec_lo, s1
	s_or_b32 s0, s1, s0
	s_delay_alu instid0(SALU_CYCLE_1)
	s_and_not1_b32 exec_lo, exec_lo, s0
	s_cbranch_execnz .LBB9_5
; %bb.6:
	s_or_b32 exec_lo, exec_lo, s0
	s_wait_dscnt 0x0
	s_barrier_signal -1
	s_barrier_wait -1
	s_load_b32 s0, s[20:21], 0x0
	s_bfe_u32 s1, ttmp6, 0x4000c
	s_wait_xcnt 0x0
	s_and_b32 s20, ttmp6, 15
	s_add_co_i32 s1, s1, 1
	s_getreg_b32 s21, hwreg(HW_REG_IB_STS2, 6, 4)
	s_mul_i32 s1, ttmp9, s1
	s_delay_alu instid0(SALU_CYCLE_1)
	s_add_co_i32 s20, s20, s1
	s_cmp_eq_u32 s21, 0
	s_cselect_b32 s1, ttmp9, s20
	s_and_b32 vcc_lo, exec_lo, s37
	s_wait_kmcnt 0x0
	s_add_co_i32 s0, s0, s1
	s_load_b32 s20, s[22:23], s0 offset:0x0 scale_offset
	s_cbranch_vccz .LBB9_24
; %bb.7:
	s_wait_kmcnt 0x0
	s_ashr_i32 s21, s20, 31
	v_lshrrev_b32_e32 v2, 5, v0
	s_lshl_b64 s[0:1], s[20:21], 2
	s_delay_alu instid0(SALU_CYCLE_1) | instskip(NEXT) | instid1(VALU_DEP_1)
	s_add_nc_u64 s[0:1], s[30:31], s[0:1]
	v_subrev_nc_u32_e32 v2, s16, v2
	s_load_b64 s[22:23], s[0:1], 0x0
	s_wait_xcnt 0x0
	s_mov_b32 s1, exec_lo
	s_wait_kmcnt 0x0
	v_add_nc_u32_e32 v2, s22, v2
	s_sub_co_i32 s0, s23, s16
	s_delay_alu instid0(VALU_DEP_1) | instid1(SALU_CYCLE_1)
	v_cmpx_gt_i32_e64 s0, v2
	s_cbranch_execz .LBB9_23
; %bb.8:
	v_and_b32_e32 v3, 31, v0
	s_mov_b32 s21, 0
	s_delay_alu instid0(VALU_DEP_1)
	v_subrev_nc_u32_e32 v4, s17, v3
	s_branch .LBB9_10
.LBB9_9:                                ;   in Loop: Header=BB9_10 Depth=1
	s_or_b32 exec_lo, exec_lo, s22
	v_add_nc_u32_e32 v2, 32, v2
	s_delay_alu instid0(VALU_DEP_1) | instskip(SKIP_1) | instid1(SALU_CYCLE_1)
	v_cmp_le_i32_e32 vcc_lo, s0, v2
	s_or_b32 s21, vcc_lo, s21
	s_and_not1_b32 exec_lo, exec_lo, s21
	s_cbranch_execz .LBB9_23
.LBB9_10:                               ; =>This Loop Header: Depth=1
                                        ;     Child Loop BB9_14 Depth 2
                                        ;       Child Loop BB9_17 Depth 3
	global_load_b32 v3, v2, s[2:3] scale_offset
	s_mov_b32 s22, exec_lo
	s_wait_loadcnt 0x0
	v_subrev_nc_u32_e32 v8, s16, v3
	s_delay_alu instid0(VALU_DEP_1) | instskip(NEXT) | instid1(VALU_DEP_1)
	v_ashrrev_i32_e32 v9, 31, v8
	v_lshl_add_u64 v[8:9], v[8:9], 2, s[14:15]
	global_load_b64 v[8:9], v[8:9], off
	s_wait_loadcnt 0x0
	v_subrev_nc_u32_e32 v5, s17, v9
	v_add_nc_u32_e32 v7, v8, v4
	s_wait_xcnt 0x0
	s_delay_alu instid0(VALU_DEP_1)
	v_cmpx_lt_i32_e64 v7, v5
	s_cbranch_execz .LBB9_9
; %bb.11:                               ;   in Loop: Header=BB9_10 Depth=1
	v_ashrrev_i32_e32 v3, 31, v2
	s_mov_b32 s23, 0
	s_delay_alu instid0(VALU_DEP_1)
	v_lshl_add_u64 v[8:9], v[2:3], 2, s[12:13]
	global_load_b32 v3, v[8:9], off
	s_wait_loadcnt 0x0
	v_mul_f32_e32 v3, s35, v3
	s_branch .LBB9_14
.LBB9_12:                               ;   in Loop: Header=BB9_14 Depth=2
	s_or_b32 exec_lo, exec_lo, s31
.LBB9_13:                               ;   in Loop: Header=BB9_14 Depth=2
	s_delay_alu instid0(SALU_CYCLE_1) | instskip(SKIP_3) | instid1(VALU_DEP_2)
	s_or_b32 exec_lo, exec_lo, s30
	s_wait_loadcnt 0x0
	v_dual_mul_f32 v8, v3, v8 :: v_dual_add_nc_u32 v7, 32, v7
	v_lshl_add_u32 v9, v9, 2, 0
	v_cmp_ge_i32_e32 vcc_lo, v7, v5
	ds_add_f32 v9, v8 offset:8192
	s_or_b32 s23, vcc_lo, s23
	s_delay_alu instid0(SALU_CYCLE_1)
	s_and_not1_b32 exec_lo, exec_lo, s23
	s_cbranch_execz .LBB9_9
.LBB9_14:                               ;   Parent Loop BB9_10 Depth=1
                                        ; =>  This Loop Header: Depth=2
                                        ;       Child Loop BB9_17 Depth 3
	s_clause 0x1
	global_load_b32 v9, v7, s[8:9] scale_offset
	global_load_b32 v8, v7, s[10:11] scale_offset
	s_mov_b32 s30, exec_lo
	s_wait_loadcnt 0x1
	v_subrev_nc_u32_e32 v10, s17, v9
	s_delay_alu instid0(VALU_DEP_1) | instskip(NEXT) | instid1(VALU_DEP_1)
	v_mul_lo_u32 v9, 0x89, v10
	v_and_b32_e32 v9, 0x7ff, v9
	s_delay_alu instid0(VALU_DEP_1)
	v_lshl_add_u32 v11, v9, 2, 0
	ds_load_b32 v12, v11
	s_wait_dscnt 0x0
	s_wait_xcnt 0x0
	v_cmpx_ne_u32_e64 v12, v10
	s_cbranch_execz .LBB9_13
; %bb.15:                               ;   in Loop: Header=BB9_14 Depth=2
	s_mov_b32 s31, 0
	s_branch .LBB9_17
.LBB9_16:                               ;   in Loop: Header=BB9_17 Depth=3
	s_or_b32 exec_lo, exec_lo, s39
	s_delay_alu instid0(SALU_CYCLE_1) | instskip(NEXT) | instid1(SALU_CYCLE_1)
	s_and_b32 s37, exec_lo, s38
	s_or_b32 s31, s37, s31
	s_delay_alu instid0(SALU_CYCLE_1)
	s_and_not1_b32 exec_lo, exec_lo, s31
	s_cbranch_execz .LBB9_12
.LBB9_17:                               ;   Parent Loop BB9_10 Depth=1
                                        ;     Parent Loop BB9_14 Depth=2
                                        ; =>    This Inner Loop Header: Depth=3
	s_mov_b32 s37, 0
	s_mov_b32 s38, exec_lo
	v_cmpx_ne_u32_e64 s33, v12
	s_xor_b32 s38, exec_lo, s38
	s_cbranch_execz .LBB9_19
; %bb.18:                               ;   in Loop: Header=BB9_17 Depth=3
	v_add_nc_u32_e32 v9, 1, v9
	s_mov_b32 s37, exec_lo
                                        ; implicit-def: $vgpr11
	s_delay_alu instid0(VALU_DEP_1)
	v_and_b32_e32 v9, 0x7ff, v9
	s_and_not1_saveexec_b32 s38, s38
	s_cbranch_execz .LBB9_21
	s_branch .LBB9_20
.LBB9_19:                               ;   in Loop: Header=BB9_17 Depth=3
	s_and_not1_saveexec_b32 s38, s38
	s_cbranch_execz .LBB9_21
.LBB9_20:                               ;   in Loop: Header=BB9_17 Depth=3
	v_mov_b32_e32 v12, s33
	s_and_not1_b32 s37, s37, exec_lo
	ds_cmpstore_rtn_b32 v11, v11, v10, v12
	s_wait_dscnt 0x0
	v_cmp_ne_u32_e32 vcc_lo, s33, v11
	s_and_b32 s39, vcc_lo, exec_lo
	s_delay_alu instid0(SALU_CYCLE_1)
	s_or_b32 s37, s37, s39
.LBB9_21:                               ;   in Loop: Header=BB9_17 Depth=3
	s_or_b32 exec_lo, exec_lo, s38
	s_mov_b32 s38, -1
                                        ; implicit-def: $vgpr11
                                        ; implicit-def: $vgpr12
	s_and_saveexec_b32 s39, s37
	s_cbranch_execz .LBB9_16
; %bb.22:                               ;   in Loop: Header=BB9_17 Depth=3
	v_lshl_add_u32 v11, v9, 2, 0
	ds_load_b32 v12, v11
	s_wait_dscnt 0x0
	v_cmp_eq_u32_e32 vcc_lo, v12, v10
	s_or_not1_b32 s38, vcc_lo, exec_lo
	s_branch .LBB9_16
.LBB9_23:
	s_or_b32 exec_lo, exec_lo, s1
.LBB9_24:
	s_delay_alu instid0(SALU_CYCLE_1)
	s_and_not1_b32 vcc_lo, exec_lo, s36
	s_cbranch_vccnz .LBB9_39
; %bb.25:
	s_wait_kmcnt 0x0
	s_ashr_i32 s21, s20, 31
	v_subrev_nc_u32_e32 v2, s19, v0
	s_lshl_b64 s[0:1], s[20:21], 2
	s_delay_alu instid0(SALU_CYCLE_1)
	s_add_nc_u64 s[0:1], s[28:29], s[0:1]
	s_load_b64 s[2:3], s[0:1], 0x0
	s_wait_xcnt 0x0
	s_mov_b32 s1, exec_lo
	s_wait_kmcnt 0x0
	v_add_nc_u32_e32 v2, s2, v2
	s_sub_co_i32 s0, s3, s19
	s_delay_alu instid0(VALU_DEP_1) | instid1(SALU_CYCLE_1)
	v_cmpx_gt_i32_e64 s0, v2
	s_cbranch_execz .LBB9_38
; %bb.26:
	s_mov_b32 s2, 0
	s_branch .LBB9_29
.LBB9_27:                               ;   in Loop: Header=BB9_29 Depth=1
	s_or_b32 exec_lo, exec_lo, s8
.LBB9_28:                               ;   in Loop: Header=BB9_29 Depth=1
	s_delay_alu instid0(SALU_CYCLE_1) | instskip(SKIP_3) | instid1(VALU_DEP_2)
	s_or_b32 exec_lo, exec_lo, s3
	s_wait_loadcnt 0x0
	v_dual_mul_f32 v3, s34, v3 :: v_dual_add_nc_u32 v2, 0x400, v2
	v_lshl_add_u32 v4, v4, 2, 0
	v_cmp_le_i32_e32 vcc_lo, s0, v2
	ds_add_f32 v4, v3 offset:8192
	s_or_b32 s2, vcc_lo, s2
	s_delay_alu instid0(SALU_CYCLE_1)
	s_and_not1_b32 exec_lo, exec_lo, s2
	s_cbranch_execz .LBB9_38
.LBB9_29:                               ; =>This Loop Header: Depth=1
                                        ;     Child Loop BB9_32 Depth 2
	s_clause 0x1
	global_load_b32 v4, v2, s[4:5] scale_offset
	global_load_b32 v3, v2, s[6:7] scale_offset
	s_mov_b32 s3, exec_lo
	s_wait_loadcnt 0x1
	v_subrev_nc_u32_e32 v5, s19, v4
	s_delay_alu instid0(VALU_DEP_1) | instskip(NEXT) | instid1(VALU_DEP_1)
	v_mul_lo_u32 v4, 0x89, v5
	v_and_b32_e32 v4, 0x7ff, v4
	s_delay_alu instid0(VALU_DEP_1)
	v_lshl_add_u32 v7, v4, 2, 0
	ds_load_b32 v8, v7
	s_wait_dscnt 0x0
	s_wait_xcnt 0x0
	v_cmpx_ne_u32_e64 v8, v5
	s_cbranch_execz .LBB9_28
; %bb.30:                               ;   in Loop: Header=BB9_29 Depth=1
	s_mov_b32 s8, 0
	s_branch .LBB9_32
.LBB9_31:                               ;   in Loop: Header=BB9_32 Depth=2
	s_or_b32 exec_lo, exec_lo, s11
	s_delay_alu instid0(SALU_CYCLE_1) | instskip(NEXT) | instid1(SALU_CYCLE_1)
	s_and_b32 s9, exec_lo, s10
	s_or_b32 s8, s9, s8
	s_delay_alu instid0(SALU_CYCLE_1)
	s_and_not1_b32 exec_lo, exec_lo, s8
	s_cbranch_execz .LBB9_27
.LBB9_32:                               ;   Parent Loop BB9_29 Depth=1
                                        ; =>  This Inner Loop Header: Depth=2
	s_mov_b32 s9, 0
	s_mov_b32 s10, exec_lo
	v_cmpx_ne_u32_e64 s33, v8
	s_xor_b32 s10, exec_lo, s10
	s_cbranch_execz .LBB9_34
; %bb.33:                               ;   in Loop: Header=BB9_32 Depth=2
	v_add_nc_u32_e32 v4, 1, v4
	s_mov_b32 s9, exec_lo
                                        ; implicit-def: $vgpr7
	s_delay_alu instid0(VALU_DEP_1)
	v_and_b32_e32 v4, 0x7ff, v4
	s_and_not1_saveexec_b32 s10, s10
	s_cbranch_execz .LBB9_36
	s_branch .LBB9_35
.LBB9_34:                               ;   in Loop: Header=BB9_32 Depth=2
	s_and_not1_saveexec_b32 s10, s10
	s_cbranch_execz .LBB9_36
.LBB9_35:                               ;   in Loop: Header=BB9_32 Depth=2
	v_mov_b32_e32 v8, s33
	s_and_not1_b32 s9, s9, exec_lo
	ds_cmpstore_rtn_b32 v7, v7, v5, v8
	s_wait_dscnt 0x0
	v_cmp_ne_u32_e32 vcc_lo, s33, v7
	s_and_b32 s11, vcc_lo, exec_lo
	s_delay_alu instid0(SALU_CYCLE_1)
	s_or_b32 s9, s9, s11
.LBB9_36:                               ;   in Loop: Header=BB9_32 Depth=2
	s_or_b32 exec_lo, exec_lo, s10
	s_mov_b32 s10, -1
                                        ; implicit-def: $vgpr7
                                        ; implicit-def: $vgpr8
	s_and_saveexec_b32 s11, s9
	s_cbranch_execz .LBB9_31
; %bb.37:                               ;   in Loop: Header=BB9_32 Depth=2
	v_lshl_add_u32 v7, v4, 2, 0
	ds_load_b32 v8, v7
	s_wait_dscnt 0x0
	v_cmp_eq_u32_e32 vcc_lo, v8, v5
	s_or_not1_b32 s10, vcc_lo, exec_lo
	s_branch .LBB9_31
.LBB9_38:
	s_or_b32 exec_lo, exec_lo, s1
.LBB9_39:
	v_mbcnt_lo_u32_b32 v2, -1, 0
	v_dual_mov_b32 v3, 0 :: v_dual_lshrrev_b32 v4, 4, v0
	s_wait_xcnt 0x0
	v_cmp_lt_u32_e64 s0, 63, v0
	v_cmp_lt_u32_e64 s1, 0x7f, v0
	s_delay_alu instid0(VALU_DEP_3)
	v_dual_mov_b32 v8, 0 :: v_dual_bitop2_b32 v4, 60, v4 bitop3:0x40
	v_xor_b32_e32 v2, 31, v2
	v_cmp_lt_u32_e64 s2, 0xbf, v0
	v_cmp_lt_u32_e64 s3, 0xff, v0
	;; [unrolled: 1-line block ×3, first 2 shown]
	v_add_nc_u32_e32 v7, 0, v4
	v_lshrrev_b32_e64 v2, v2, -1
	v_cmp_lt_u32_e64 s5, 0x17f, v0
	v_cmp_lt_u32_e64 s6, 0x1bf, v0
	;; [unrolled: 1-line block ×10, first 2 shown]
	s_mov_b32 s16, 0
	s_wait_dscnt 0x0
	v_cmp_eq_u32_e32 vcc_lo, 0x3ff, v0
	s_barrier_signal -1
	s_barrier_wait -1
	s_branch .LBB9_41
.LBB9_40:                               ;   in Loop: Header=BB9_41 Depth=1
	s_or_b32 exec_lo, exec_lo, s15
	s_wait_dscnt 0x0
	s_barrier_signal -1
	s_barrier_wait -1
	ds_load_b32 v4, v3 offset:16444
	v_add_co_u32 v6, s15, 0x400, v6
	s_xor_b32 s15, s15, -1
	v_add_nc_u32_e32 v1, 0x1000, v1
	s_and_b32 s15, exec_lo, s15
	s_delay_alu instid0(SALU_CYCLE_1)
	s_or_b32 s16, s15, s16
	s_wait_dscnt 0x0
	v_add_nc_u32_e32 v8, v4, v8
	s_and_not1_b32 exec_lo, exec_lo, s16
	s_cbranch_execz .LBB9_75
.LBB9_41:                               ; =>This Inner Loop Header: Depth=1
	ds_load_2addr_stride64_b32 v[4:5], v1 offset1:32
	s_wait_dscnt 0x0
	s_barrier_signal -1
	s_barrier_wait -1
	v_cmp_gt_i32_e64 s15, s33, v4
	s_bcnt1_i32_b32 s17, s15
	s_delay_alu instid0(SALU_CYCLE_1) | instskip(NEXT) | instid1(VALU_DEP_1)
	v_dual_mov_b32 v10, s17 :: v_dual_bitop2_b32 v9, s15, v2 bitop3:0x40
	v_bcnt_u32_b32 v9, v9, 0
	ds_store_b32 v7, v10 offset:16384
	s_wait_dscnt 0x0
	s_barrier_signal -1
	s_barrier_wait -1
	s_and_saveexec_b32 s17, s0
	s_cbranch_execz .LBB9_58
; %bb.42:                               ;   in Loop: Header=BB9_41 Depth=1
	ds_load_b32 v10, v3 offset:16384
	s_wait_dscnt 0x0
	v_add_nc_u32_e32 v9, v10, v9
	s_or_b32 exec_lo, exec_lo, s17
	s_and_saveexec_b32 s17, s1
	s_cbranch_execnz .LBB9_59
.LBB9_43:                               ;   in Loop: Header=BB9_41 Depth=1
	s_or_b32 exec_lo, exec_lo, s17
	s_and_saveexec_b32 s17, s2
	s_cbranch_execz .LBB9_60
.LBB9_44:                               ;   in Loop: Header=BB9_41 Depth=1
	ds_load_b32 v10, v3 offset:16392
	s_wait_dscnt 0x0
	v_add_nc_u32_e32 v9, v10, v9
	s_or_b32 exec_lo, exec_lo, s17
	s_and_saveexec_b32 s17, s3
	s_cbranch_execnz .LBB9_61
.LBB9_45:                               ;   in Loop: Header=BB9_41 Depth=1
	s_or_b32 exec_lo, exec_lo, s17
	s_and_saveexec_b32 s17, s4
	s_cbranch_execz .LBB9_62
.LBB9_46:                               ;   in Loop: Header=BB9_41 Depth=1
	ds_load_b32 v10, v3 offset:16400
	s_wait_dscnt 0x0
	v_add_nc_u32_e32 v9, v10, v9
	s_or_b32 exec_lo, exec_lo, s17
	s_and_saveexec_b32 s17, s5
	s_cbranch_execnz .LBB9_63
.LBB9_47:                               ;   in Loop: Header=BB9_41 Depth=1
	s_or_b32 exec_lo, exec_lo, s17
	s_and_saveexec_b32 s17, s6
	s_cbranch_execz .LBB9_64
.LBB9_48:                               ;   in Loop: Header=BB9_41 Depth=1
	ds_load_b32 v10, v3 offset:16408
	s_wait_dscnt 0x0
	v_add_nc_u32_e32 v9, v10, v9
	s_or_b32 exec_lo, exec_lo, s17
	s_and_saveexec_b32 s17, s7
	s_cbranch_execnz .LBB9_65
.LBB9_49:                               ;   in Loop: Header=BB9_41 Depth=1
	s_or_b32 exec_lo, exec_lo, s17
	s_and_saveexec_b32 s17, s8
	s_cbranch_execz .LBB9_66
.LBB9_50:                               ;   in Loop: Header=BB9_41 Depth=1
	ds_load_b32 v10, v3 offset:16416
	s_wait_dscnt 0x0
	v_add_nc_u32_e32 v9, v10, v9
	s_or_b32 exec_lo, exec_lo, s17
	s_and_saveexec_b32 s17, s9
	s_cbranch_execnz .LBB9_67
.LBB9_51:                               ;   in Loop: Header=BB9_41 Depth=1
	s_or_b32 exec_lo, exec_lo, s17
	s_and_saveexec_b32 s17, s10
	s_cbranch_execz .LBB9_68
.LBB9_52:                               ;   in Loop: Header=BB9_41 Depth=1
	ds_load_b32 v10, v3 offset:16424
	s_wait_dscnt 0x0
	v_add_nc_u32_e32 v9, v10, v9
	s_or_b32 exec_lo, exec_lo, s17
	s_and_saveexec_b32 s17, s11
	s_cbranch_execnz .LBB9_69
.LBB9_53:                               ;   in Loop: Header=BB9_41 Depth=1
	s_or_b32 exec_lo, exec_lo, s17
	s_and_saveexec_b32 s17, s12
	s_cbranch_execz .LBB9_70
.LBB9_54:                               ;   in Loop: Header=BB9_41 Depth=1
	ds_load_b32 v10, v3 offset:16432
	s_wait_dscnt 0x0
	v_add_nc_u32_e32 v9, v10, v9
	s_or_b32 exec_lo, exec_lo, s17
	s_and_saveexec_b32 s17, s13
	s_cbranch_execnz .LBB9_71
.LBB9_55:                               ;   in Loop: Header=BB9_41 Depth=1
	s_or_b32 exec_lo, exec_lo, s17
	s_and_saveexec_b32 s17, s14
	s_cbranch_execz .LBB9_72
.LBB9_56:                               ;   in Loop: Header=BB9_41 Depth=1
	ds_load_b32 v10, v3 offset:16440
	s_wait_dscnt 0x0
	v_add_nc_u32_e32 v9, v10, v9
	s_or_b32 exec_lo, exec_lo, s17
	s_and_saveexec_b32 s17, s15
	s_cbranch_execnz .LBB9_73
.LBB9_57:                               ;   in Loop: Header=BB9_41 Depth=1
	s_or_b32 exec_lo, exec_lo, s17
	s_and_saveexec_b32 s15, vcc_lo
	s_cbranch_execz .LBB9_40
	s_branch .LBB9_74
.LBB9_58:                               ;   in Loop: Header=BB9_41 Depth=1
	s_or_b32 exec_lo, exec_lo, s17
	s_and_saveexec_b32 s17, s1
	s_cbranch_execz .LBB9_43
.LBB9_59:                               ;   in Loop: Header=BB9_41 Depth=1
	ds_load_b32 v10, v3 offset:16388
	s_wait_dscnt 0x0
	v_add_nc_u32_e32 v9, v10, v9
	s_or_b32 exec_lo, exec_lo, s17
	s_and_saveexec_b32 s17, s2
	s_cbranch_execnz .LBB9_44
.LBB9_60:                               ;   in Loop: Header=BB9_41 Depth=1
	s_or_b32 exec_lo, exec_lo, s17
	s_and_saveexec_b32 s17, s3
	s_cbranch_execz .LBB9_45
.LBB9_61:                               ;   in Loop: Header=BB9_41 Depth=1
	ds_load_b32 v10, v3 offset:16396
	s_wait_dscnt 0x0
	v_add_nc_u32_e32 v9, v10, v9
	s_or_b32 exec_lo, exec_lo, s17
	s_and_saveexec_b32 s17, s4
	s_cbranch_execnz .LBB9_46
.LBB9_62:                               ;   in Loop: Header=BB9_41 Depth=1
	s_or_b32 exec_lo, exec_lo, s17
	s_and_saveexec_b32 s17, s5
	s_cbranch_execz .LBB9_47
.LBB9_63:                               ;   in Loop: Header=BB9_41 Depth=1
	ds_load_b32 v10, v3 offset:16404
	s_wait_dscnt 0x0
	v_add_nc_u32_e32 v9, v10, v9
	s_or_b32 exec_lo, exec_lo, s17
	s_and_saveexec_b32 s17, s6
	s_cbranch_execnz .LBB9_48
.LBB9_64:                               ;   in Loop: Header=BB9_41 Depth=1
	s_or_b32 exec_lo, exec_lo, s17
	s_and_saveexec_b32 s17, s7
	s_cbranch_execz .LBB9_49
.LBB9_65:                               ;   in Loop: Header=BB9_41 Depth=1
	ds_load_b32 v10, v3 offset:16412
	s_wait_dscnt 0x0
	v_add_nc_u32_e32 v9, v10, v9
	s_or_b32 exec_lo, exec_lo, s17
	s_and_saveexec_b32 s17, s8
	s_cbranch_execnz .LBB9_50
.LBB9_66:                               ;   in Loop: Header=BB9_41 Depth=1
	s_or_b32 exec_lo, exec_lo, s17
	s_and_saveexec_b32 s17, s9
	s_cbranch_execz .LBB9_51
.LBB9_67:                               ;   in Loop: Header=BB9_41 Depth=1
	ds_load_b32 v10, v3 offset:16420
	s_wait_dscnt 0x0
	v_add_nc_u32_e32 v9, v10, v9
	s_or_b32 exec_lo, exec_lo, s17
	s_and_saveexec_b32 s17, s10
	s_cbranch_execnz .LBB9_52
.LBB9_68:                               ;   in Loop: Header=BB9_41 Depth=1
	s_or_b32 exec_lo, exec_lo, s17
	s_and_saveexec_b32 s17, s11
	s_cbranch_execz .LBB9_53
.LBB9_69:                               ;   in Loop: Header=BB9_41 Depth=1
	ds_load_b32 v10, v3 offset:16428
	s_wait_dscnt 0x0
	v_add_nc_u32_e32 v9, v10, v9
	s_or_b32 exec_lo, exec_lo, s17
	s_and_saveexec_b32 s17, s12
	s_cbranch_execnz .LBB9_54
.LBB9_70:                               ;   in Loop: Header=BB9_41 Depth=1
	s_or_b32 exec_lo, exec_lo, s17
	s_and_saveexec_b32 s17, s13
	s_cbranch_execz .LBB9_55
.LBB9_71:                               ;   in Loop: Header=BB9_41 Depth=1
	ds_load_b32 v10, v3 offset:16436
	s_wait_dscnt 0x0
	v_add_nc_u32_e32 v9, v10, v9
	s_or_b32 exec_lo, exec_lo, s17
	s_and_saveexec_b32 s17, s14
	s_cbranch_execnz .LBB9_56
.LBB9_72:                               ;   in Loop: Header=BB9_41 Depth=1
	s_or_b32 exec_lo, exec_lo, s17
	s_and_saveexec_b32 s17, s15
	s_cbranch_execz .LBB9_57
.LBB9_73:                               ;   in Loop: Header=BB9_41 Depth=1
	s_delay_alu instid0(VALU_DEP_1) | instskip(SKIP_1) | instid1(VALU_DEP_2)
	v_add3_u32 v10, v8, -1, v9
	v_add_nc_u32_e32 v11, v8, v9
	v_lshl_add_u32 v10, v10, 2, 0
	s_delay_alu instid0(VALU_DEP_2)
	v_lshl_add_u32 v11, v11, 2, 0
	ds_store_b32 v10, v4
	ds_store_b32 v11, v5 offset:8188
	s_or_b32 exec_lo, exec_lo, s17
	s_and_saveexec_b32 s15, vcc_lo
	s_cbranch_execz .LBB9_40
.LBB9_74:                               ;   in Loop: Header=BB9_41 Depth=1
	ds_store_b32 v3, v9 offset:16444
	s_branch .LBB9_40
.LBB9_75:
	s_or_b32 exec_lo, exec_lo, s16
	s_wait_kmcnt 0x0
	s_ashr_i32 s21, s20, 31
	s_delay_alu instid0(SALU_CYCLE_1) | instskip(NEXT) | instid1(SALU_CYCLE_1)
	s_lshl_b64 s[0:1], s[20:21], 2
	s_add_nc_u64 s[2:3], s[26:27], s[0:1]
	s_load_b64 s[0:1], s[2:3], 0x0
	s_wait_kmcnt 0x0
	s_sub_co_i32 s4, s1, s0
	s_mov_b32 s1, exec_lo
	v_cmpx_gt_i32_e64 s4, v0
	s_cbranch_execz .LBB9_89
; %bb.76:
	v_sub_co_u32 v1, s1, s4, 2
	s_sub_co_i32 s2, s0, s18
	s_xor_b32 s6, s1, -1
	s_and_b32 s5, s4, -2
	v_readfirstlane_b32 s3, v1
	s_lshr_b32 s0, s3, 1
	s_mov_b32 s3, 0
	s_add_co_i32 s0, s0, 1
	s_mov_b32 s11, s3
	s_and_b32 s1, s0, 7
	s_and_b32 s7, s0, -8
	s_cmp_lg_u32 s1, 0
	v_cmp_lt_u32_e64 s0, 13, v1
	s_cselect_b32 s8, -1, 0
	s_cmp_lg_u32 s4, s5
	s_cselect_b32 s9, -1, 0
	s_lshl_b32 s10, s1, 3
	s_branch .LBB9_78
.LBB9_77:                               ;   in Loop: Header=BB9_78 Depth=1
	v_add_nc_u32_e32 v0, 0x400, v0
	s_wait_dscnt 0x0
	global_store_b32 v1, v3, s[24:25] scale_offset
	v_cmp_le_i32_e32 vcc_lo, s4, v0
	s_or_b32 s11, vcc_lo, s11
	s_wait_xcnt 0x0
	s_and_not1_b32 exec_lo, exec_lo, s11
	s_cbranch_execz .LBB9_89
.LBB9_78:                               ; =>This Loop Header: Depth=1
                                        ;     Child Loop BB9_81 Depth 2
                                        ;     Child Loop BB9_84 Depth 2
	;; [unrolled: 1-line block ×3, first 2 shown]
	v_lshl_add_u32 v1, v0, 2, 0
	s_and_not1_b32 vcc_lo, exec_lo, s6
	s_mov_b32 s1, 0
	s_mov_b32 s12, -1
	ds_load_2addr_stride64_b32 v[2:3], v1 offset1:32
	v_mov_b32_e32 v1, s2
	s_cbranch_vccnz .LBB9_86
; %bb.79:                               ;   in Loop: Header=BB9_78 Depth=1
	v_mov_b64_e32 v[4:5], s[2:3]
	s_and_not1_b32 vcc_lo, exec_lo, s0
	s_mov_b32 s12, 0
	s_cbranch_vccnz .LBB9_82
; %bb.80:                               ;   in Loop: Header=BB9_78 Depth=1
	v_dual_mov_b32 v4, s2 :: v_dual_mov_b32 v5, 0
	s_mov_b32 s13, 0
	s_mov_b32 s14, s7
.LBB9_81:                               ;   Parent Loop BB9_78 Depth=1
                                        ; =>  This Inner Loop Header: Depth=2
	v_mov_b32_e32 v1, s13
	s_add_co_i32 s14, s14, -8
	s_add_co_i32 s12, s12, 16
	s_add_co_i32 s13, s13, 64
	s_cmp_lg_u32 s14, 0
	ds_load_2addr_b32 v[6:7], v1 offset1:1
	ds_load_2addr_b32 v[8:9], v1 offset0:2 offset1:3
	ds_load_2addr_b32 v[10:11], v1 offset0:4 offset1:5
	;; [unrolled: 1-line block ×7, first 2 shown]
	s_wait_dscnt 0x7
	v_cmp_gt_i32_e32 vcc_lo, v2, v7
	s_wait_dscnt 0x5
	v_cmp_gt_i32_e64 s1, v2, v10
	v_cndmask_b32_e64 v1, 0, 1, vcc_lo
	v_cmp_gt_i32_e32 vcc_lo, v2, v6
	s_delay_alu instid0(VALU_DEP_3) | instskip(SKIP_3) | instid1(VALU_DEP_3)
	v_cndmask_b32_e64 v7, 0, 1, s1
	v_cmp_gt_i32_e64 s1, v2, v11
	v_cndmask_b32_e64 v6, 0, 1, vcc_lo
	v_cmp_gt_i32_e32 vcc_lo, v2, v8
	v_cndmask_b32_e64 v8, 0, 1, s1
	s_wait_dscnt 0x4
	v_cmp_gt_i32_e64 s1, v2, v13
	v_add_co_ci_u32_e64 v4, null, v4, v6, vcc_lo
	s_delay_alu instid0(VALU_DEP_2) | instskip(SKIP_3) | instid1(VALU_DEP_2)
	v_cndmask_b32_e64 v10, 0, 1, s1
	v_cmp_gt_i32_e64 s1, v2, v12
	s_wait_dscnt 0x2
	v_cmp_gt_i32_e32 vcc_lo, v2, v16
	v_cndmask_b32_e64 v11, 0, 1, s1
	v_cmp_gt_i32_e64 s1, v2, v14
	v_add_co_ci_u32_e64 v4, null, v4, v7, vcc_lo
	s_wait_dscnt 0x1
	v_cmp_gt_i32_e32 vcc_lo, v2, v18
	s_delay_alu instid0(VALU_DEP_3) | instskip(SKIP_4) | instid1(VALU_DEP_3)
	v_cndmask_b32_e64 v12, 0, 1, s1
	v_cmp_gt_i32_e64 s1, v2, v15
	v_add_co_ci_u32_e64 v4, null, v4, v11, vcc_lo
	s_wait_dscnt 0x0
	v_cmp_gt_i32_e32 vcc_lo, v2, v20
	v_cndmask_b32_e64 v13, 0, 1, s1
	v_cmp_gt_i32_e64 s1, v2, v9
	v_add_co_ci_u32_e64 v4, null, v4, v12, vcc_lo
	s_delay_alu instid0(VALU_DEP_2) | instskip(SKIP_1) | instid1(VALU_DEP_1)
	v_add_co_ci_u32_e64 v1, null, v5, v1, s1
	v_cmp_gt_i32_e64 s1, v2, v17
	v_add_co_ci_u32_e64 v1, null, v1, v8, s1
	v_cmp_gt_i32_e64 s1, v2, v19
	s_delay_alu instid0(VALU_DEP_1) | instskip(SKIP_1) | instid1(VALU_DEP_1)
	v_add_co_ci_u32_e64 v1, null, v1, v10, s1
	v_cmp_gt_i32_e64 s1, v2, v21
	v_add_co_ci_u32_e64 v5, null, v1, v13, s1
	s_cbranch_scc1 .LBB9_81
.LBB9_82:                               ;   in Loop: Header=BB9_78 Depth=1
	s_and_not1_b32 vcc_lo, exec_lo, s8
	s_cbranch_vccnz .LBB9_85
; %bb.83:                               ;   in Loop: Header=BB9_78 Depth=1
	s_lshl_b32 s1, s12, 2
	s_mov_b32 s12, s10
	s_add_co_i32 s1, s1, 0
.LBB9_84:                               ;   Parent Loop BB9_78 Depth=1
                                        ; =>  This Inner Loop Header: Depth=2
	s_delay_alu instid0(SALU_CYCLE_1)
	v_mov_b32_e32 v1, s1
	s_add_co_i32 s12, s12, -8
	s_add_co_i32 s1, s1, 8
	s_cmp_lg_u32 s12, 0
	ds_load_2addr_b32 v[6:7], v1 offset1:1
	s_wait_dscnt 0x0
	v_cmp_gt_i32_e32 vcc_lo, v2, v7
	v_add_co_ci_u32_e64 v5, null, 0, v5, vcc_lo
	v_cmp_gt_i32_e32 vcc_lo, v2, v6
	v_add_co_ci_u32_e64 v4, null, 0, v4, vcc_lo
	s_cbranch_scc1 .LBB9_84
.LBB9_85:                               ;   in Loop: Header=BB9_78 Depth=1
	s_delay_alu instid0(VALU_DEP_1)
	v_add_nc_u32_e32 v1, v4, v5
	s_mov_b32 s1, s5
	s_mov_b32 s12, s9
.LBB9_86:                               ;   in Loop: Header=BB9_78 Depth=1
	s_delay_alu instid0(SALU_CYCLE_1)
	s_and_b32 vcc_lo, exec_lo, s12
	s_cbranch_vccz .LBB9_77
; %bb.87:                               ;   in Loop: Header=BB9_78 Depth=1
	s_lshl_b32 s12, s1, 2
	s_delay_alu instid0(SALU_CYCLE_1)
	s_add_co_i32 s12, s12, 0
.LBB9_88:                               ;   Parent Loop BB9_78 Depth=1
                                        ; =>  This Inner Loop Header: Depth=2
	s_delay_alu instid0(SALU_CYCLE_1)
	v_mov_b32_e32 v4, s12
	s_add_co_i32 s1, s1, 1
	s_add_co_i32 s12, s12, 4
	s_cmp_ge_i32 s1, s4
	ds_load_b32 v4, v4
	s_wait_dscnt 0x0
	v_cmp_gt_i32_e32 vcc_lo, v2, v4
	v_add_co_ci_u32_e64 v1, null, 0, v1, vcc_lo
	s_cbranch_scc0 .LBB9_88
	s_branch .LBB9_77
.LBB9_89:
	s_endpgm
	.section	.rodata,"a",@progbits
	.p2align	6, 0x0
	.amdhsa_kernel _ZN9rocsparseL41csrgemm_numeric_fill_block_per_row_kernelILj1024ELj32ELj2048ELj137ELj64EiifEEvT5_PKS1_S3_NS_24const_host_device_scalarIT6_EEPKT4_S3_PKS5_S9_S3_SB_S6_S9_S3_SB_S9_S3_PS5_21rocsparse_index_base_SD_SD_SD_bbb
		.amdhsa_group_segment_fixed_size 0
		.amdhsa_private_segment_fixed_size 0
		.amdhsa_kernarg_size 156
		.amdhsa_user_sgpr_count 2
		.amdhsa_user_sgpr_dispatch_ptr 0
		.amdhsa_user_sgpr_queue_ptr 0
		.amdhsa_user_sgpr_kernarg_segment_ptr 1
		.amdhsa_user_sgpr_dispatch_id 0
		.amdhsa_user_sgpr_kernarg_preload_length 0
		.amdhsa_user_sgpr_kernarg_preload_offset 0
		.amdhsa_user_sgpr_private_segment_size 0
		.amdhsa_wavefront_size32 1
		.amdhsa_uses_dynamic_stack 0
		.amdhsa_enable_private_segment 0
		.amdhsa_system_sgpr_workgroup_id_x 1
		.amdhsa_system_sgpr_workgroup_id_y 0
		.amdhsa_system_sgpr_workgroup_id_z 0
		.amdhsa_system_sgpr_workgroup_info 0
		.amdhsa_system_vgpr_workitem_id 0
		.amdhsa_next_free_vgpr 22
		.amdhsa_next_free_sgpr 40
		.amdhsa_named_barrier_count 0
		.amdhsa_reserve_vcc 1
		.amdhsa_float_round_mode_32 0
		.amdhsa_float_round_mode_16_64 0
		.amdhsa_float_denorm_mode_32 3
		.amdhsa_float_denorm_mode_16_64 3
		.amdhsa_fp16_overflow 0
		.amdhsa_memory_ordered 1
		.amdhsa_forward_progress 1
		.amdhsa_inst_pref_size 27
		.amdhsa_round_robin_scheduling 0
		.amdhsa_exception_fp_ieee_invalid_op 0
		.amdhsa_exception_fp_denorm_src 0
		.amdhsa_exception_fp_ieee_div_zero 0
		.amdhsa_exception_fp_ieee_overflow 0
		.amdhsa_exception_fp_ieee_underflow 0
		.amdhsa_exception_fp_ieee_inexact 0
		.amdhsa_exception_int_div_zero 0
	.end_amdhsa_kernel
	.section	.text._ZN9rocsparseL41csrgemm_numeric_fill_block_per_row_kernelILj1024ELj32ELj2048ELj137ELj64EiifEEvT5_PKS1_S3_NS_24const_host_device_scalarIT6_EEPKT4_S3_PKS5_S9_S3_SB_S6_S9_S3_SB_S9_S3_PS5_21rocsparse_index_base_SD_SD_SD_bbb,"axG",@progbits,_ZN9rocsparseL41csrgemm_numeric_fill_block_per_row_kernelILj1024ELj32ELj2048ELj137ELj64EiifEEvT5_PKS1_S3_NS_24const_host_device_scalarIT6_EEPKT4_S3_PKS5_S9_S3_SB_S6_S9_S3_SB_S9_S3_PS5_21rocsparse_index_base_SD_SD_SD_bbb,comdat
.Lfunc_end9:
	.size	_ZN9rocsparseL41csrgemm_numeric_fill_block_per_row_kernelILj1024ELj32ELj2048ELj137ELj64EiifEEvT5_PKS1_S3_NS_24const_host_device_scalarIT6_EEPKT4_S3_PKS5_S9_S3_SB_S6_S9_S3_SB_S9_S3_PS5_21rocsparse_index_base_SD_SD_SD_bbb, .Lfunc_end9-_ZN9rocsparseL41csrgemm_numeric_fill_block_per_row_kernelILj1024ELj32ELj2048ELj137ELj64EiifEEvT5_PKS1_S3_NS_24const_host_device_scalarIT6_EEPKT4_S3_PKS5_S9_S3_SB_S6_S9_S3_SB_S9_S3_PS5_21rocsparse_index_base_SD_SD_SD_bbb
                                        ; -- End function
	.set _ZN9rocsparseL41csrgemm_numeric_fill_block_per_row_kernelILj1024ELj32ELj2048ELj137ELj64EiifEEvT5_PKS1_S3_NS_24const_host_device_scalarIT6_EEPKT4_S3_PKS5_S9_S3_SB_S6_S9_S3_SB_S9_S3_PS5_21rocsparse_index_base_SD_SD_SD_bbb.num_vgpr, 22
	.set _ZN9rocsparseL41csrgemm_numeric_fill_block_per_row_kernelILj1024ELj32ELj2048ELj137ELj64EiifEEvT5_PKS1_S3_NS_24const_host_device_scalarIT6_EEPKT4_S3_PKS5_S9_S3_SB_S6_S9_S3_SB_S9_S3_PS5_21rocsparse_index_base_SD_SD_SD_bbb.num_agpr, 0
	.set _ZN9rocsparseL41csrgemm_numeric_fill_block_per_row_kernelILj1024ELj32ELj2048ELj137ELj64EiifEEvT5_PKS1_S3_NS_24const_host_device_scalarIT6_EEPKT4_S3_PKS5_S9_S3_SB_S6_S9_S3_SB_S9_S3_PS5_21rocsparse_index_base_SD_SD_SD_bbb.numbered_sgpr, 40
	.set _ZN9rocsparseL41csrgemm_numeric_fill_block_per_row_kernelILj1024ELj32ELj2048ELj137ELj64EiifEEvT5_PKS1_S3_NS_24const_host_device_scalarIT6_EEPKT4_S3_PKS5_S9_S3_SB_S6_S9_S3_SB_S9_S3_PS5_21rocsparse_index_base_SD_SD_SD_bbb.num_named_barrier, 0
	.set _ZN9rocsparseL41csrgemm_numeric_fill_block_per_row_kernelILj1024ELj32ELj2048ELj137ELj64EiifEEvT5_PKS1_S3_NS_24const_host_device_scalarIT6_EEPKT4_S3_PKS5_S9_S3_SB_S6_S9_S3_SB_S9_S3_PS5_21rocsparse_index_base_SD_SD_SD_bbb.private_seg_size, 0
	.set _ZN9rocsparseL41csrgemm_numeric_fill_block_per_row_kernelILj1024ELj32ELj2048ELj137ELj64EiifEEvT5_PKS1_S3_NS_24const_host_device_scalarIT6_EEPKT4_S3_PKS5_S9_S3_SB_S6_S9_S3_SB_S9_S3_PS5_21rocsparse_index_base_SD_SD_SD_bbb.uses_vcc, 1
	.set _ZN9rocsparseL41csrgemm_numeric_fill_block_per_row_kernelILj1024ELj32ELj2048ELj137ELj64EiifEEvT5_PKS1_S3_NS_24const_host_device_scalarIT6_EEPKT4_S3_PKS5_S9_S3_SB_S6_S9_S3_SB_S9_S3_PS5_21rocsparse_index_base_SD_SD_SD_bbb.uses_flat_scratch, 0
	.set _ZN9rocsparseL41csrgemm_numeric_fill_block_per_row_kernelILj1024ELj32ELj2048ELj137ELj64EiifEEvT5_PKS1_S3_NS_24const_host_device_scalarIT6_EEPKT4_S3_PKS5_S9_S3_SB_S6_S9_S3_SB_S9_S3_PS5_21rocsparse_index_base_SD_SD_SD_bbb.has_dyn_sized_stack, 0
	.set _ZN9rocsparseL41csrgemm_numeric_fill_block_per_row_kernelILj1024ELj32ELj2048ELj137ELj64EiifEEvT5_PKS1_S3_NS_24const_host_device_scalarIT6_EEPKT4_S3_PKS5_S9_S3_SB_S6_S9_S3_SB_S9_S3_PS5_21rocsparse_index_base_SD_SD_SD_bbb.has_recursion, 0
	.set _ZN9rocsparseL41csrgemm_numeric_fill_block_per_row_kernelILj1024ELj32ELj2048ELj137ELj64EiifEEvT5_PKS1_S3_NS_24const_host_device_scalarIT6_EEPKT4_S3_PKS5_S9_S3_SB_S6_S9_S3_SB_S9_S3_PS5_21rocsparse_index_base_SD_SD_SD_bbb.has_indirect_call, 0
	.section	.AMDGPU.csdata,"",@progbits
; Kernel info:
; codeLenInByte = 3384
; TotalNumSgprs: 42
; NumVgprs: 22
; ScratchSize: 0
; MemoryBound: 0
; FloatMode: 240
; IeeeMode: 1
; LDSByteSize: 0 bytes/workgroup (compile time only)
; SGPRBlocks: 0
; VGPRBlocks: 1
; NumSGPRsForWavesPerEU: 42
; NumVGPRsForWavesPerEU: 22
; NamedBarCnt: 0
; Occupancy: 16
; WaveLimiterHint : 1
; COMPUTE_PGM_RSRC2:SCRATCH_EN: 0
; COMPUTE_PGM_RSRC2:USER_SGPR: 2
; COMPUTE_PGM_RSRC2:TRAP_HANDLER: 0
; COMPUTE_PGM_RSRC2:TGID_X_EN: 1
; COMPUTE_PGM_RSRC2:TGID_Y_EN: 0
; COMPUTE_PGM_RSRC2:TGID_Z_EN: 0
; COMPUTE_PGM_RSRC2:TIDIG_COMP_CNT: 0
	.section	.text._ZN9rocsparseL41csrgemm_numeric_fill_block_per_row_kernelILj1024ELj64ELj4096ELj137ELj32EiifEEvT5_PKS1_S3_NS_24const_host_device_scalarIT6_EEPKT4_S3_PKS5_S9_S3_SB_S6_S9_S3_SB_S9_S3_PS5_21rocsparse_index_base_SD_SD_SD_bbb,"axG",@progbits,_ZN9rocsparseL41csrgemm_numeric_fill_block_per_row_kernelILj1024ELj64ELj4096ELj137ELj32EiifEEvT5_PKS1_S3_NS_24const_host_device_scalarIT6_EEPKT4_S3_PKS5_S9_S3_SB_S6_S9_S3_SB_S9_S3_PS5_21rocsparse_index_base_SD_SD_SD_bbb,comdat
	.globl	_ZN9rocsparseL41csrgemm_numeric_fill_block_per_row_kernelILj1024ELj64ELj4096ELj137ELj32EiifEEvT5_PKS1_S3_NS_24const_host_device_scalarIT6_EEPKT4_S3_PKS5_S9_S3_SB_S6_S9_S3_SB_S9_S3_PS5_21rocsparse_index_base_SD_SD_SD_bbb ; -- Begin function _ZN9rocsparseL41csrgemm_numeric_fill_block_per_row_kernelILj1024ELj64ELj4096ELj137ELj32EiifEEvT5_PKS1_S3_NS_24const_host_device_scalarIT6_EEPKT4_S3_PKS5_S9_S3_SB_S6_S9_S3_SB_S9_S3_PS5_21rocsparse_index_base_SD_SD_SD_bbb
	.p2align	8
	.type	_ZN9rocsparseL41csrgemm_numeric_fill_block_per_row_kernelILj1024ELj64ELj4096ELj137ELj32EiifEEvT5_PKS1_S3_NS_24const_host_device_scalarIT6_EEPKT4_S3_PKS5_S9_S3_SB_S6_S9_S3_SB_S9_S3_PS5_21rocsparse_index_base_SD_SD_SD_bbb,@function
_ZN9rocsparseL41csrgemm_numeric_fill_block_per_row_kernelILj1024ELj64ELj4096ELj137ELj32EiifEEvT5_PKS1_S3_NS_24const_host_device_scalarIT6_EEPKT4_S3_PKS5_S9_S3_SB_S6_S9_S3_SB_S9_S3_PS5_21rocsparse_index_base_SD_SD_SD_bbb: ; @_ZN9rocsparseL41csrgemm_numeric_fill_block_per_row_kernelILj1024ELj64ELj4096ELj137ELj32EiifEEvT5_PKS1_S3_NS_24const_host_device_scalarIT6_EEPKT4_S3_PKS5_S9_S3_SB_S6_S9_S3_SB_S9_S3_PS5_21rocsparse_index_base_SD_SD_SD_bbb
; %bb.0:
	s_clause 0x3
	s_load_b32 s14, s[0:1], 0x98
	s_load_b64 s[2:3], s[0:1], 0x18
	s_load_b128 s[36:39], s[0:1], 0x88
	s_load_b64 s[12:13], s[0:1], 0x50
	s_wait_kmcnt 0x0
	s_and_b32 s4, 1, s14
	s_bitcmp1_b32 s14, 16
	s_cselect_b32 s15, -1, 0
	s_cmp_eq_u32 s4, 1
	s_cselect_b32 s27, -1, 0
	s_delay_alu instid0(SALU_CYCLE_1) | instskip(SKIP_2) | instid1(SALU_CYCLE_1)
	s_and_b32 s4, s27, exec_lo
	s_cselect_b32 s25, s2, 0
	s_xor_b32 s4, s27, -1
	s_or_b32 s4, s15, s4
	s_delay_alu instid0(SALU_CYCLE_1)
	s_and_b32 vcc_lo, exec_lo, s4
	s_cbranch_vccnz .LBB10_2
; %bb.1:
	s_load_b32 s25, s[2:3], 0x0
.LBB10_2:
	s_clause 0x3
	s_load_b64 s[34:35], s[0:1], 0x80
	s_load_b128 s[4:7], s[0:1], 0x60
	s_load_b128 s[8:11], s[0:1], 0x40
	;; [unrolled: 1-line block ×3, first 2 shown]
	s_wait_xcnt 0x0
	s_load_b64 s[2:3], s[0:1], 0x28
	s_bitcmp1_b32 s14, 8
	s_cselect_b32 s26, -1, 0
	s_delay_alu instid0(SALU_CYCLE_1) | instskip(SKIP_2) | instid1(SALU_CYCLE_1)
	s_and_b32 s14, s26, exec_lo
	s_cselect_b32 s24, s12, 0
	s_xor_b32 s14, s26, -1
	s_or_b32 s14, s15, s14
	s_delay_alu instid0(SALU_CYCLE_1)
	s_and_b32 vcc_lo, exec_lo, s14
	s_cbranch_vccnz .LBB10_4
; %bb.3:
	s_load_b32 s24, s[12:13], 0x0
.LBB10_4:
	s_clause 0x3
	s_load_b32 s33, s[0:1], 0x0
	s_load_b64 s[22:23], s[0:1], 0x20
	s_load_b64 s[40:41], s[0:1], 0x70
	;; [unrolled: 1-line block ×3, first 2 shown]
	s_wait_xcnt 0x0
	s_load_b128 s[12:15], s[0:1], 0x30
	v_lshl_add_u32 v1, v0, 2, 0
	v_or_b32_e32 v6, 0xfffffc00, v0
	v_mov_b32_e32 v2, 0
	s_wait_xcnt 0x0
	s_mov_b32 s0, 0
	s_delay_alu instid0(VALU_DEP_2)
	v_dual_mov_b32 v3, v1 :: v_dual_mov_b32 v5, v6
	s_wait_kmcnt 0x0
	v_mov_b32_e32 v4, s33
.LBB10_5:                               ; =>This Inner Loop Header: Depth=1
	s_delay_alu instid0(VALU_DEP_2) | instskip(SKIP_4) | instid1(SALU_CYCLE_1)
	v_add_nc_u32_e32 v5, 0x400, v5
	ds_store_2addr_stride64_b32 v3, v4, v2 offset1:64
	v_add_nc_u32_e32 v3, 0x1000, v3
	v_cmp_lt_u32_e32 vcc_lo, 0xbff, v5
	s_or_b32 s0, vcc_lo, s0
	s_and_not1_b32 exec_lo, exec_lo, s0
	s_cbranch_execnz .LBB10_5
; %bb.6:
	s_or_b32 exec_lo, exec_lo, s0
	s_wait_dscnt 0x0
	s_barrier_signal -1
	s_barrier_wait -1
	s_load_b32 s0, s[16:17], 0x0
	s_bfe_u32 s1, ttmp6, 0x4000c
	s_wait_xcnt 0x0
	s_and_b32 s16, ttmp6, 15
	s_add_co_i32 s1, s1, 1
	s_getreg_b32 s17, hwreg(HW_REG_IB_STS2, 6, 4)
	s_mul_i32 s1, ttmp9, s1
	s_delay_alu instid0(SALU_CYCLE_1)
	s_add_co_i32 s16, s16, s1
	s_cmp_eq_u32 s17, 0
	s_cselect_b32 s1, ttmp9, s16
	s_and_b32 vcc_lo, exec_lo, s27
	s_wait_kmcnt 0x0
	s_add_co_i32 s0, s0, s1
	s_load_b32 s42, s[18:19], s0 offset:0x0 scale_offset
	s_cbranch_vccz .LBB10_24
; %bb.7:
	s_wait_kmcnt 0x0
	s_ashr_i32 s43, s42, 31
	v_lshrrev_b32_e32 v2, 6, v0
	s_lshl_b64 s[0:1], s[42:43], 2
	s_delay_alu instid0(SALU_CYCLE_1) | instskip(NEXT) | instid1(VALU_DEP_1)
	s_add_nc_u64 s[0:1], s[22:23], s[0:1]
	v_subrev_nc_u32_e32 v2, s36, v2
	s_load_b64 s[16:17], s[0:1], 0x0
	s_wait_xcnt 0x0
	s_mov_b32 s1, exec_lo
	s_wait_kmcnt 0x0
	v_add_nc_u32_e32 v2, s16, v2
	s_sub_co_i32 s0, s17, s36
	s_delay_alu instid0(VALU_DEP_1) | instid1(SALU_CYCLE_1)
	v_cmpx_gt_i32_e64 s0, v2
	s_cbranch_execz .LBB10_23
; %bb.8:
	v_and_b32_e32 v3, 63, v0
	s_mov_b32 s16, 0
	s_delay_alu instid0(VALU_DEP_1)
	v_subrev_nc_u32_e32 v4, s37, v3
	s_branch .LBB10_10
.LBB10_9:                               ;   in Loop: Header=BB10_10 Depth=1
	s_or_b32 exec_lo, exec_lo, s17
	v_add_nc_u32_e32 v2, 16, v2
	s_delay_alu instid0(VALU_DEP_1) | instskip(SKIP_1) | instid1(SALU_CYCLE_1)
	v_cmp_le_i32_e32 vcc_lo, s0, v2
	s_or_b32 s16, vcc_lo, s16
	s_and_not1_b32 exec_lo, exec_lo, s16
	s_cbranch_execz .LBB10_23
.LBB10_10:                              ; =>This Loop Header: Depth=1
                                        ;     Child Loop BB10_14 Depth 2
                                        ;       Child Loop BB10_17 Depth 3
	global_load_b32 v3, v2, s[2:3] scale_offset
	s_mov_b32 s17, exec_lo
	s_wait_loadcnt 0x0
	v_subrev_nc_u32_e32 v8, s36, v3
	s_delay_alu instid0(VALU_DEP_1) | instskip(NEXT) | instid1(VALU_DEP_1)
	v_ashrrev_i32_e32 v9, 31, v8
	v_lshl_add_u64 v[8:9], v[8:9], 2, s[14:15]
	global_load_b64 v[8:9], v[8:9], off
	s_wait_loadcnt 0x0
	v_subrev_nc_u32_e32 v5, s37, v9
	v_add_nc_u32_e32 v7, v8, v4
	s_wait_xcnt 0x0
	s_delay_alu instid0(VALU_DEP_1)
	v_cmpx_lt_i32_e64 v7, v5
	s_cbranch_execz .LBB10_9
; %bb.11:                               ;   in Loop: Header=BB10_10 Depth=1
	v_ashrrev_i32_e32 v3, 31, v2
	s_mov_b32 s18, 0
	s_delay_alu instid0(VALU_DEP_1)
	v_lshl_add_u64 v[8:9], v[2:3], 2, s[12:13]
	global_load_b32 v3, v[8:9], off
	s_wait_loadcnt 0x0
	v_mul_f32_e32 v3, s25, v3
	s_branch .LBB10_14
.LBB10_12:                              ;   in Loop: Header=BB10_14 Depth=2
	s_or_b32 exec_lo, exec_lo, s22
.LBB10_13:                              ;   in Loop: Header=BB10_14 Depth=2
	s_delay_alu instid0(SALU_CYCLE_1) | instskip(SKIP_3) | instid1(VALU_DEP_2)
	s_or_b32 exec_lo, exec_lo, s19
	s_wait_loadcnt 0x0
	v_dual_mul_f32 v8, v3, v8 :: v_dual_add_nc_u32 v7, 64, v7
	v_lshl_add_u32 v9, v9, 2, 0
	v_cmp_ge_i32_e32 vcc_lo, v7, v5
	ds_add_f32 v9, v8 offset:16384
	s_or_b32 s18, vcc_lo, s18
	s_delay_alu instid0(SALU_CYCLE_1)
	s_and_not1_b32 exec_lo, exec_lo, s18
	s_cbranch_execz .LBB10_9
.LBB10_14:                              ;   Parent Loop BB10_10 Depth=1
                                        ; =>  This Loop Header: Depth=2
                                        ;       Child Loop BB10_17 Depth 3
	s_clause 0x1
	global_load_b32 v9, v7, s[8:9] scale_offset
	global_load_b32 v8, v7, s[10:11] scale_offset
	s_mov_b32 s19, exec_lo
	s_wait_loadcnt 0x1
	v_subrev_nc_u32_e32 v10, s37, v9
	s_delay_alu instid0(VALU_DEP_1) | instskip(NEXT) | instid1(VALU_DEP_1)
	v_mul_lo_u32 v9, 0x89, v10
	v_and_b32_e32 v9, 0xfff, v9
	s_delay_alu instid0(VALU_DEP_1)
	v_lshl_add_u32 v11, v9, 2, 0
	ds_load_b32 v12, v11
	s_wait_dscnt 0x0
	s_wait_xcnt 0x0
	v_cmpx_ne_u32_e64 v12, v10
	s_cbranch_execz .LBB10_13
; %bb.15:                               ;   in Loop: Header=BB10_14 Depth=2
	s_mov_b32 s22, 0
	s_branch .LBB10_17
.LBB10_16:                              ;   in Loop: Header=BB10_17 Depth=3
	s_or_b32 exec_lo, exec_lo, s28
	s_delay_alu instid0(SALU_CYCLE_1) | instskip(NEXT) | instid1(SALU_CYCLE_1)
	s_and_b32 s23, exec_lo, s27
	s_or_b32 s22, s23, s22
	s_delay_alu instid0(SALU_CYCLE_1)
	s_and_not1_b32 exec_lo, exec_lo, s22
	s_cbranch_execz .LBB10_12
.LBB10_17:                              ;   Parent Loop BB10_10 Depth=1
                                        ;     Parent Loop BB10_14 Depth=2
                                        ; =>    This Inner Loop Header: Depth=3
	s_mov_b32 s23, 0
	s_mov_b32 s27, exec_lo
	v_cmpx_ne_u32_e64 s33, v12
	s_xor_b32 s27, exec_lo, s27
	s_cbranch_execz .LBB10_19
; %bb.18:                               ;   in Loop: Header=BB10_17 Depth=3
	v_add_nc_u32_e32 v9, 1, v9
	s_mov_b32 s23, exec_lo
                                        ; implicit-def: $vgpr11
	s_delay_alu instid0(VALU_DEP_1)
	v_and_b32_e32 v9, 0xfff, v9
	s_and_not1_saveexec_b32 s27, s27
	s_cbranch_execz .LBB10_21
	s_branch .LBB10_20
.LBB10_19:                              ;   in Loop: Header=BB10_17 Depth=3
	s_and_not1_saveexec_b32 s27, s27
	s_cbranch_execz .LBB10_21
.LBB10_20:                              ;   in Loop: Header=BB10_17 Depth=3
	v_mov_b32_e32 v12, s33
	s_and_not1_b32 s23, s23, exec_lo
	ds_cmpstore_rtn_b32 v11, v11, v10, v12
	s_wait_dscnt 0x0
	v_cmp_ne_u32_e32 vcc_lo, s33, v11
	s_and_b32 s28, vcc_lo, exec_lo
	s_delay_alu instid0(SALU_CYCLE_1)
	s_or_b32 s23, s23, s28
.LBB10_21:                              ;   in Loop: Header=BB10_17 Depth=3
	s_or_b32 exec_lo, exec_lo, s27
	s_mov_b32 s27, -1
                                        ; implicit-def: $vgpr11
                                        ; implicit-def: $vgpr12
	s_and_saveexec_b32 s28, s23
	s_cbranch_execz .LBB10_16
; %bb.22:                               ;   in Loop: Header=BB10_17 Depth=3
	v_lshl_add_u32 v11, v9, 2, 0
	ds_load_b32 v12, v11
	s_wait_dscnt 0x0
	v_cmp_eq_u32_e32 vcc_lo, v12, v10
	s_or_not1_b32 s27, vcc_lo, exec_lo
	s_branch .LBB10_16
.LBB10_23:
	s_or_b32 exec_lo, exec_lo, s1
.LBB10_24:
	s_delay_alu instid0(SALU_CYCLE_1)
	s_and_not1_b32 vcc_lo, exec_lo, s26
	s_cbranch_vccnz .LBB10_39
; %bb.25:
	s_wait_kmcnt 0x0
	s_ashr_i32 s43, s42, 31
	v_subrev_nc_u32_e32 v2, s39, v0
	s_lshl_b64 s[0:1], s[42:43], 2
	s_delay_alu instid0(SALU_CYCLE_1)
	s_add_nc_u64 s[0:1], s[20:21], s[0:1]
	s_load_b64 s[2:3], s[0:1], 0x0
	s_wait_xcnt 0x0
	s_mov_b32 s1, exec_lo
	s_wait_kmcnt 0x0
	v_add_nc_u32_e32 v2, s2, v2
	s_sub_co_i32 s0, s3, s39
	s_delay_alu instid0(VALU_DEP_1) | instid1(SALU_CYCLE_1)
	v_cmpx_gt_i32_e64 s0, v2
	s_cbranch_execz .LBB10_38
; %bb.26:
	s_mov_b32 s2, 0
	s_branch .LBB10_29
.LBB10_27:                              ;   in Loop: Header=BB10_29 Depth=1
	s_or_b32 exec_lo, exec_lo, s8
.LBB10_28:                              ;   in Loop: Header=BB10_29 Depth=1
	s_delay_alu instid0(SALU_CYCLE_1) | instskip(SKIP_3) | instid1(VALU_DEP_2)
	s_or_b32 exec_lo, exec_lo, s3
	s_wait_loadcnt 0x0
	v_dual_mul_f32 v3, s24, v3 :: v_dual_add_nc_u32 v2, 0x400, v2
	v_lshl_add_u32 v4, v4, 2, 0
	v_cmp_le_i32_e32 vcc_lo, s0, v2
	ds_add_f32 v4, v3 offset:16384
	s_or_b32 s2, vcc_lo, s2
	s_delay_alu instid0(SALU_CYCLE_1)
	s_and_not1_b32 exec_lo, exec_lo, s2
	s_cbranch_execz .LBB10_38
.LBB10_29:                              ; =>This Loop Header: Depth=1
                                        ;     Child Loop BB10_32 Depth 2
	s_clause 0x1
	global_load_b32 v4, v2, s[4:5] scale_offset
	global_load_b32 v3, v2, s[6:7] scale_offset
	s_mov_b32 s3, exec_lo
	s_wait_loadcnt 0x1
	v_subrev_nc_u32_e32 v5, s39, v4
	s_delay_alu instid0(VALU_DEP_1) | instskip(NEXT) | instid1(VALU_DEP_1)
	v_mul_lo_u32 v4, 0x89, v5
	v_and_b32_e32 v4, 0xfff, v4
	s_delay_alu instid0(VALU_DEP_1)
	v_lshl_add_u32 v7, v4, 2, 0
	ds_load_b32 v8, v7
	s_wait_dscnt 0x0
	s_wait_xcnt 0x0
	v_cmpx_ne_u32_e64 v8, v5
	s_cbranch_execz .LBB10_28
; %bb.30:                               ;   in Loop: Header=BB10_29 Depth=1
	s_mov_b32 s8, 0
	s_branch .LBB10_32
.LBB10_31:                              ;   in Loop: Header=BB10_32 Depth=2
	s_or_b32 exec_lo, exec_lo, s11
	s_delay_alu instid0(SALU_CYCLE_1) | instskip(NEXT) | instid1(SALU_CYCLE_1)
	s_and_b32 s9, exec_lo, s10
	s_or_b32 s8, s9, s8
	s_delay_alu instid0(SALU_CYCLE_1)
	s_and_not1_b32 exec_lo, exec_lo, s8
	s_cbranch_execz .LBB10_27
.LBB10_32:                              ;   Parent Loop BB10_29 Depth=1
                                        ; =>  This Inner Loop Header: Depth=2
	s_mov_b32 s9, 0
	s_mov_b32 s10, exec_lo
	v_cmpx_ne_u32_e64 s33, v8
	s_xor_b32 s10, exec_lo, s10
	s_cbranch_execz .LBB10_34
; %bb.33:                               ;   in Loop: Header=BB10_32 Depth=2
	v_add_nc_u32_e32 v4, 1, v4
	s_mov_b32 s9, exec_lo
                                        ; implicit-def: $vgpr7
	s_delay_alu instid0(VALU_DEP_1)
	v_and_b32_e32 v4, 0xfff, v4
	s_and_not1_saveexec_b32 s10, s10
	s_cbranch_execz .LBB10_36
	s_branch .LBB10_35
.LBB10_34:                              ;   in Loop: Header=BB10_32 Depth=2
	s_and_not1_saveexec_b32 s10, s10
	s_cbranch_execz .LBB10_36
.LBB10_35:                              ;   in Loop: Header=BB10_32 Depth=2
	v_mov_b32_e32 v8, s33
	s_and_not1_b32 s9, s9, exec_lo
	ds_cmpstore_rtn_b32 v7, v7, v5, v8
	s_wait_dscnt 0x0
	v_cmp_ne_u32_e32 vcc_lo, s33, v7
	s_and_b32 s11, vcc_lo, exec_lo
	s_delay_alu instid0(SALU_CYCLE_1)
	s_or_b32 s9, s9, s11
.LBB10_36:                              ;   in Loop: Header=BB10_32 Depth=2
	s_or_b32 exec_lo, exec_lo, s10
	s_mov_b32 s10, -1
                                        ; implicit-def: $vgpr7
                                        ; implicit-def: $vgpr8
	s_and_saveexec_b32 s11, s9
	s_cbranch_execz .LBB10_31
; %bb.37:                               ;   in Loop: Header=BB10_32 Depth=2
	v_lshl_add_u32 v7, v4, 2, 0
	ds_load_b32 v8, v7
	s_wait_dscnt 0x0
	v_cmp_eq_u32_e32 vcc_lo, v8, v5
	s_or_not1_b32 s10, vcc_lo, exec_lo
	s_branch .LBB10_31
.LBB10_38:
	s_or_b32 exec_lo, exec_lo, s1
.LBB10_39:
	v_mbcnt_lo_u32_b32 v2, -1, 0
	v_dual_mov_b32 v3, 0 :: v_dual_lshrrev_b32 v4, 3, v0
	s_wait_xcnt 0x0
	v_cmp_lt_u32_e64 s0, 31, v0
	v_cmp_lt_u32_e64 s1, 63, v0
	;; [unrolled: 1-line block ×3, first 2 shown]
	v_and_b32_e32 v4, 0x7c, v4
	v_xor_b32_e32 v2, 31, v2
	v_cmp_lt_u32_e64 s3, 0x7f, v0
	v_cmp_lt_u32_e64 s4, 0x9f, v0
	;; [unrolled: 1-line block ×3, first 2 shown]
	v_add_nc_u32_e32 v7, 0, v4
	v_lshrrev_b32_e64 v2, v2, -1
	v_cmp_lt_u32_e64 s6, 0xdf, v0
	v_cmp_lt_u32_e64 s7, 0xff, v0
	;; [unrolled: 1-line block ×25, first 2 shown]
	v_mov_b32_e32 v8, 0
	s_mov_b32 s36, 0
	s_wait_dscnt 0x0
	v_cmp_eq_u32_e32 vcc_lo, 0x3ff, v0
	s_barrier_signal -1
	s_barrier_wait -1
	s_branch .LBB10_41
.LBB10_40:                              ;   in Loop: Header=BB10_41 Depth=1
	s_or_b32 exec_lo, exec_lo, s31
	s_wait_dscnt 0x0
	s_barrier_signal -1
	s_barrier_wait -1
	ds_load_b32 v4, v3 offset:32892
	v_add_nc_u32_e32 v6, 0x400, v6
	v_add_nc_u32_e32 v1, 0x1000, v1
	s_delay_alu instid0(VALU_DEP_2)
	v_cmp_lt_u32_e64 s31, 0xbff, v6
	s_or_b32 s36, s31, s36
	s_wait_dscnt 0x0
	v_add_nc_u32_e32 v8, v4, v8
	s_and_not1_b32 exec_lo, exec_lo, s36
	s_cbranch_execz .LBB10_107
.LBB10_41:                              ; =>This Inner Loop Header: Depth=1
	ds_load_2addr_stride64_b32 v[4:5], v1 offset1:64
	s_wait_dscnt 0x0
	s_barrier_signal -1
	s_barrier_wait -1
	v_cmp_gt_i32_e64 s31, s33, v4
	s_bcnt1_i32_b32 s37, s31
	s_delay_alu instid0(SALU_CYCLE_1) | instskip(NEXT) | instid1(VALU_DEP_1)
	v_dual_mov_b32 v10, s37 :: v_dual_bitop2_b32 v9, s31, v2 bitop3:0x40
	v_bcnt_u32_b32 v9, v9, 0
	ds_store_b32 v7, v10 offset:32768
	s_wait_dscnt 0x0
	s_barrier_signal -1
	s_barrier_wait -1
	s_and_saveexec_b32 s37, s0
	s_cbranch_execz .LBB10_74
; %bb.42:                               ;   in Loop: Header=BB10_41 Depth=1
	ds_load_b32 v10, v3 offset:32768
	s_wait_dscnt 0x0
	v_add_nc_u32_e32 v9, v10, v9
	s_or_b32 exec_lo, exec_lo, s37
	s_and_saveexec_b32 s37, s1
	s_cbranch_execnz .LBB10_75
.LBB10_43:                              ;   in Loop: Header=BB10_41 Depth=1
	s_or_b32 exec_lo, exec_lo, s37
	s_and_saveexec_b32 s37, s2
	s_cbranch_execz .LBB10_76
.LBB10_44:                              ;   in Loop: Header=BB10_41 Depth=1
	ds_load_b32 v10, v3 offset:32776
	s_wait_dscnt 0x0
	v_add_nc_u32_e32 v9, v10, v9
	s_or_b32 exec_lo, exec_lo, s37
	s_and_saveexec_b32 s37, s3
	s_cbranch_execnz .LBB10_77
.LBB10_45:                              ;   in Loop: Header=BB10_41 Depth=1
	s_or_b32 exec_lo, exec_lo, s37
	s_and_saveexec_b32 s37, s4
	s_cbranch_execz .LBB10_78
.LBB10_46:                              ;   in Loop: Header=BB10_41 Depth=1
	ds_load_b32 v10, v3 offset:32784
	s_wait_dscnt 0x0
	v_add_nc_u32_e32 v9, v10, v9
	s_or_b32 exec_lo, exec_lo, s37
	s_and_saveexec_b32 s37, s5
	s_cbranch_execnz .LBB10_79
.LBB10_47:                              ;   in Loop: Header=BB10_41 Depth=1
	s_or_b32 exec_lo, exec_lo, s37
	s_and_saveexec_b32 s37, s6
	s_cbranch_execz .LBB10_80
.LBB10_48:                              ;   in Loop: Header=BB10_41 Depth=1
	ds_load_b32 v10, v3 offset:32792
	s_wait_dscnt 0x0
	v_add_nc_u32_e32 v9, v10, v9
	s_or_b32 exec_lo, exec_lo, s37
	s_and_saveexec_b32 s37, s7
	s_cbranch_execnz .LBB10_81
.LBB10_49:                              ;   in Loop: Header=BB10_41 Depth=1
	s_or_b32 exec_lo, exec_lo, s37
	s_and_saveexec_b32 s37, s8
	s_cbranch_execz .LBB10_82
.LBB10_50:                              ;   in Loop: Header=BB10_41 Depth=1
	ds_load_b32 v10, v3 offset:32800
	s_wait_dscnt 0x0
	v_add_nc_u32_e32 v9, v10, v9
	s_or_b32 exec_lo, exec_lo, s37
	s_and_saveexec_b32 s37, s9
	s_cbranch_execnz .LBB10_83
.LBB10_51:                              ;   in Loop: Header=BB10_41 Depth=1
	s_or_b32 exec_lo, exec_lo, s37
	s_and_saveexec_b32 s37, s10
	s_cbranch_execz .LBB10_84
.LBB10_52:                              ;   in Loop: Header=BB10_41 Depth=1
	ds_load_b32 v10, v3 offset:32808
	s_wait_dscnt 0x0
	v_add_nc_u32_e32 v9, v10, v9
	s_or_b32 exec_lo, exec_lo, s37
	s_and_saveexec_b32 s37, s11
	s_cbranch_execnz .LBB10_85
.LBB10_53:                              ;   in Loop: Header=BB10_41 Depth=1
	s_or_b32 exec_lo, exec_lo, s37
	s_and_saveexec_b32 s37, s12
	s_cbranch_execz .LBB10_86
.LBB10_54:                              ;   in Loop: Header=BB10_41 Depth=1
	ds_load_b32 v10, v3 offset:32816
	s_wait_dscnt 0x0
	v_add_nc_u32_e32 v9, v10, v9
	s_or_b32 exec_lo, exec_lo, s37
	s_and_saveexec_b32 s37, s13
	s_cbranch_execnz .LBB10_87
.LBB10_55:                              ;   in Loop: Header=BB10_41 Depth=1
	s_or_b32 exec_lo, exec_lo, s37
	s_and_saveexec_b32 s37, s14
	s_cbranch_execz .LBB10_88
.LBB10_56:                              ;   in Loop: Header=BB10_41 Depth=1
	ds_load_b32 v10, v3 offset:32824
	s_wait_dscnt 0x0
	v_add_nc_u32_e32 v9, v10, v9
	s_or_b32 exec_lo, exec_lo, s37
	s_and_saveexec_b32 s37, s15
	s_cbranch_execnz .LBB10_89
.LBB10_57:                              ;   in Loop: Header=BB10_41 Depth=1
	s_or_b32 exec_lo, exec_lo, s37
	s_and_saveexec_b32 s37, s16
	s_cbranch_execz .LBB10_90
.LBB10_58:                              ;   in Loop: Header=BB10_41 Depth=1
	ds_load_b32 v10, v3 offset:32832
	s_wait_dscnt 0x0
	v_add_nc_u32_e32 v9, v10, v9
	s_or_b32 exec_lo, exec_lo, s37
	s_and_saveexec_b32 s37, s17
	s_cbranch_execnz .LBB10_91
.LBB10_59:                              ;   in Loop: Header=BB10_41 Depth=1
	s_or_b32 exec_lo, exec_lo, s37
	s_and_saveexec_b32 s37, s18
	s_cbranch_execz .LBB10_92
.LBB10_60:                              ;   in Loop: Header=BB10_41 Depth=1
	ds_load_b32 v10, v3 offset:32840
	s_wait_dscnt 0x0
	v_add_nc_u32_e32 v9, v10, v9
	s_or_b32 exec_lo, exec_lo, s37
	s_and_saveexec_b32 s37, s19
	s_cbranch_execnz .LBB10_93
.LBB10_61:                              ;   in Loop: Header=BB10_41 Depth=1
	s_or_b32 exec_lo, exec_lo, s37
	s_and_saveexec_b32 s37, s20
	s_cbranch_execz .LBB10_94
.LBB10_62:                              ;   in Loop: Header=BB10_41 Depth=1
	ds_load_b32 v10, v3 offset:32848
	s_wait_dscnt 0x0
	v_add_nc_u32_e32 v9, v10, v9
	s_or_b32 exec_lo, exec_lo, s37
	s_and_saveexec_b32 s37, s21
	s_cbranch_execnz .LBB10_95
.LBB10_63:                              ;   in Loop: Header=BB10_41 Depth=1
	s_or_b32 exec_lo, exec_lo, s37
	s_and_saveexec_b32 s37, s22
	s_cbranch_execz .LBB10_96
.LBB10_64:                              ;   in Loop: Header=BB10_41 Depth=1
	ds_load_b32 v10, v3 offset:32856
	s_wait_dscnt 0x0
	v_add_nc_u32_e32 v9, v10, v9
	s_or_b32 exec_lo, exec_lo, s37
	s_and_saveexec_b32 s37, s23
	s_cbranch_execnz .LBB10_97
.LBB10_65:                              ;   in Loop: Header=BB10_41 Depth=1
	s_or_b32 exec_lo, exec_lo, s37
	s_and_saveexec_b32 s37, s24
	s_cbranch_execz .LBB10_98
.LBB10_66:                              ;   in Loop: Header=BB10_41 Depth=1
	ds_load_b32 v10, v3 offset:32864
	s_wait_dscnt 0x0
	v_add_nc_u32_e32 v9, v10, v9
	s_or_b32 exec_lo, exec_lo, s37
	s_and_saveexec_b32 s37, s25
	s_cbranch_execnz .LBB10_99
.LBB10_67:                              ;   in Loop: Header=BB10_41 Depth=1
	s_or_b32 exec_lo, exec_lo, s37
	s_and_saveexec_b32 s37, s26
	s_cbranch_execz .LBB10_100
.LBB10_68:                              ;   in Loop: Header=BB10_41 Depth=1
	ds_load_b32 v10, v3 offset:32872
	s_wait_dscnt 0x0
	v_add_nc_u32_e32 v9, v10, v9
	s_or_b32 exec_lo, exec_lo, s37
	s_and_saveexec_b32 s37, s27
	s_cbranch_execnz .LBB10_101
.LBB10_69:                              ;   in Loop: Header=BB10_41 Depth=1
	s_or_b32 exec_lo, exec_lo, s37
	s_and_saveexec_b32 s37, s28
	s_cbranch_execz .LBB10_102
.LBB10_70:                              ;   in Loop: Header=BB10_41 Depth=1
	ds_load_b32 v10, v3 offset:32880
	s_wait_dscnt 0x0
	v_add_nc_u32_e32 v9, v10, v9
	s_or_b32 exec_lo, exec_lo, s37
	s_and_saveexec_b32 s37, s29
	s_cbranch_execnz .LBB10_103
.LBB10_71:                              ;   in Loop: Header=BB10_41 Depth=1
	s_or_b32 exec_lo, exec_lo, s37
	s_and_saveexec_b32 s37, s30
	s_cbranch_execz .LBB10_104
.LBB10_72:                              ;   in Loop: Header=BB10_41 Depth=1
	ds_load_b32 v10, v3 offset:32888
	s_wait_dscnt 0x0
	v_add_nc_u32_e32 v9, v10, v9
	s_or_b32 exec_lo, exec_lo, s37
	s_and_saveexec_b32 s37, s31
	s_cbranch_execnz .LBB10_105
.LBB10_73:                              ;   in Loop: Header=BB10_41 Depth=1
	s_or_b32 exec_lo, exec_lo, s37
	s_and_saveexec_b32 s31, vcc_lo
	s_cbranch_execz .LBB10_40
	s_branch .LBB10_106
.LBB10_74:                              ;   in Loop: Header=BB10_41 Depth=1
	s_or_b32 exec_lo, exec_lo, s37
	s_and_saveexec_b32 s37, s1
	s_cbranch_execz .LBB10_43
.LBB10_75:                              ;   in Loop: Header=BB10_41 Depth=1
	ds_load_b32 v10, v3 offset:32772
	s_wait_dscnt 0x0
	v_add_nc_u32_e32 v9, v10, v9
	s_or_b32 exec_lo, exec_lo, s37
	s_and_saveexec_b32 s37, s2
	s_cbranch_execnz .LBB10_44
.LBB10_76:                              ;   in Loop: Header=BB10_41 Depth=1
	s_or_b32 exec_lo, exec_lo, s37
	s_and_saveexec_b32 s37, s3
	s_cbranch_execz .LBB10_45
.LBB10_77:                              ;   in Loop: Header=BB10_41 Depth=1
	ds_load_b32 v10, v3 offset:32780
	s_wait_dscnt 0x0
	v_add_nc_u32_e32 v9, v10, v9
	s_or_b32 exec_lo, exec_lo, s37
	s_and_saveexec_b32 s37, s4
	s_cbranch_execnz .LBB10_46
.LBB10_78:                              ;   in Loop: Header=BB10_41 Depth=1
	s_or_b32 exec_lo, exec_lo, s37
	s_and_saveexec_b32 s37, s5
	s_cbranch_execz .LBB10_47
.LBB10_79:                              ;   in Loop: Header=BB10_41 Depth=1
	ds_load_b32 v10, v3 offset:32788
	s_wait_dscnt 0x0
	v_add_nc_u32_e32 v9, v10, v9
	s_or_b32 exec_lo, exec_lo, s37
	s_and_saveexec_b32 s37, s6
	s_cbranch_execnz .LBB10_48
.LBB10_80:                              ;   in Loop: Header=BB10_41 Depth=1
	s_or_b32 exec_lo, exec_lo, s37
	s_and_saveexec_b32 s37, s7
	s_cbranch_execz .LBB10_49
.LBB10_81:                              ;   in Loop: Header=BB10_41 Depth=1
	ds_load_b32 v10, v3 offset:32796
	s_wait_dscnt 0x0
	v_add_nc_u32_e32 v9, v10, v9
	s_or_b32 exec_lo, exec_lo, s37
	s_and_saveexec_b32 s37, s8
	s_cbranch_execnz .LBB10_50
.LBB10_82:                              ;   in Loop: Header=BB10_41 Depth=1
	s_or_b32 exec_lo, exec_lo, s37
	s_and_saveexec_b32 s37, s9
	s_cbranch_execz .LBB10_51
.LBB10_83:                              ;   in Loop: Header=BB10_41 Depth=1
	ds_load_b32 v10, v3 offset:32804
	s_wait_dscnt 0x0
	v_add_nc_u32_e32 v9, v10, v9
	s_or_b32 exec_lo, exec_lo, s37
	s_and_saveexec_b32 s37, s10
	s_cbranch_execnz .LBB10_52
.LBB10_84:                              ;   in Loop: Header=BB10_41 Depth=1
	s_or_b32 exec_lo, exec_lo, s37
	s_and_saveexec_b32 s37, s11
	s_cbranch_execz .LBB10_53
.LBB10_85:                              ;   in Loop: Header=BB10_41 Depth=1
	ds_load_b32 v10, v3 offset:32812
	s_wait_dscnt 0x0
	v_add_nc_u32_e32 v9, v10, v9
	s_or_b32 exec_lo, exec_lo, s37
	s_and_saveexec_b32 s37, s12
	s_cbranch_execnz .LBB10_54
.LBB10_86:                              ;   in Loop: Header=BB10_41 Depth=1
	s_or_b32 exec_lo, exec_lo, s37
	s_and_saveexec_b32 s37, s13
	s_cbranch_execz .LBB10_55
.LBB10_87:                              ;   in Loop: Header=BB10_41 Depth=1
	ds_load_b32 v10, v3 offset:32820
	s_wait_dscnt 0x0
	v_add_nc_u32_e32 v9, v10, v9
	s_or_b32 exec_lo, exec_lo, s37
	s_and_saveexec_b32 s37, s14
	s_cbranch_execnz .LBB10_56
.LBB10_88:                              ;   in Loop: Header=BB10_41 Depth=1
	s_or_b32 exec_lo, exec_lo, s37
	s_and_saveexec_b32 s37, s15
	s_cbranch_execz .LBB10_57
.LBB10_89:                              ;   in Loop: Header=BB10_41 Depth=1
	ds_load_b32 v10, v3 offset:32828
	s_wait_dscnt 0x0
	v_add_nc_u32_e32 v9, v10, v9
	s_or_b32 exec_lo, exec_lo, s37
	s_and_saveexec_b32 s37, s16
	s_cbranch_execnz .LBB10_58
.LBB10_90:                              ;   in Loop: Header=BB10_41 Depth=1
	s_or_b32 exec_lo, exec_lo, s37
	s_and_saveexec_b32 s37, s17
	s_cbranch_execz .LBB10_59
.LBB10_91:                              ;   in Loop: Header=BB10_41 Depth=1
	ds_load_b32 v10, v3 offset:32836
	s_wait_dscnt 0x0
	v_add_nc_u32_e32 v9, v10, v9
	s_or_b32 exec_lo, exec_lo, s37
	s_and_saveexec_b32 s37, s18
	s_cbranch_execnz .LBB10_60
.LBB10_92:                              ;   in Loop: Header=BB10_41 Depth=1
	s_or_b32 exec_lo, exec_lo, s37
	s_and_saveexec_b32 s37, s19
	s_cbranch_execz .LBB10_61
.LBB10_93:                              ;   in Loop: Header=BB10_41 Depth=1
	ds_load_b32 v10, v3 offset:32844
	s_wait_dscnt 0x0
	v_add_nc_u32_e32 v9, v10, v9
	s_or_b32 exec_lo, exec_lo, s37
	s_and_saveexec_b32 s37, s20
	s_cbranch_execnz .LBB10_62
.LBB10_94:                              ;   in Loop: Header=BB10_41 Depth=1
	s_or_b32 exec_lo, exec_lo, s37
	s_and_saveexec_b32 s37, s21
	s_cbranch_execz .LBB10_63
.LBB10_95:                              ;   in Loop: Header=BB10_41 Depth=1
	ds_load_b32 v10, v3 offset:32852
	s_wait_dscnt 0x0
	v_add_nc_u32_e32 v9, v10, v9
	s_or_b32 exec_lo, exec_lo, s37
	s_and_saveexec_b32 s37, s22
	s_cbranch_execnz .LBB10_64
.LBB10_96:                              ;   in Loop: Header=BB10_41 Depth=1
	s_or_b32 exec_lo, exec_lo, s37
	s_and_saveexec_b32 s37, s23
	s_cbranch_execz .LBB10_65
.LBB10_97:                              ;   in Loop: Header=BB10_41 Depth=1
	ds_load_b32 v10, v3 offset:32860
	s_wait_dscnt 0x0
	v_add_nc_u32_e32 v9, v10, v9
	s_or_b32 exec_lo, exec_lo, s37
	s_and_saveexec_b32 s37, s24
	s_cbranch_execnz .LBB10_66
.LBB10_98:                              ;   in Loop: Header=BB10_41 Depth=1
	s_or_b32 exec_lo, exec_lo, s37
	s_and_saveexec_b32 s37, s25
	s_cbranch_execz .LBB10_67
.LBB10_99:                              ;   in Loop: Header=BB10_41 Depth=1
	ds_load_b32 v10, v3 offset:32868
	s_wait_dscnt 0x0
	v_add_nc_u32_e32 v9, v10, v9
	s_or_b32 exec_lo, exec_lo, s37
	s_and_saveexec_b32 s37, s26
	s_cbranch_execnz .LBB10_68
.LBB10_100:                             ;   in Loop: Header=BB10_41 Depth=1
	s_or_b32 exec_lo, exec_lo, s37
	s_and_saveexec_b32 s37, s27
	s_cbranch_execz .LBB10_69
.LBB10_101:                             ;   in Loop: Header=BB10_41 Depth=1
	ds_load_b32 v10, v3 offset:32876
	s_wait_dscnt 0x0
	v_add_nc_u32_e32 v9, v10, v9
	s_or_b32 exec_lo, exec_lo, s37
	s_and_saveexec_b32 s37, s28
	s_cbranch_execnz .LBB10_70
.LBB10_102:                             ;   in Loop: Header=BB10_41 Depth=1
	s_or_b32 exec_lo, exec_lo, s37
	s_and_saveexec_b32 s37, s29
	s_cbranch_execz .LBB10_71
.LBB10_103:                             ;   in Loop: Header=BB10_41 Depth=1
	ds_load_b32 v10, v3 offset:32884
	s_wait_dscnt 0x0
	v_add_nc_u32_e32 v9, v10, v9
	s_or_b32 exec_lo, exec_lo, s37
	s_and_saveexec_b32 s37, s30
	s_cbranch_execnz .LBB10_72
.LBB10_104:                             ;   in Loop: Header=BB10_41 Depth=1
	s_or_b32 exec_lo, exec_lo, s37
	s_and_saveexec_b32 s37, s31
	s_cbranch_execz .LBB10_73
.LBB10_105:                             ;   in Loop: Header=BB10_41 Depth=1
	s_delay_alu instid0(VALU_DEP_1) | instskip(SKIP_1) | instid1(VALU_DEP_2)
	v_add3_u32 v10, v8, -1, v9
	v_add_nc_u32_e32 v11, v8, v9
	v_lshl_add_u32 v10, v10, 2, 0
	s_delay_alu instid0(VALU_DEP_2)
	v_lshl_add_u32 v11, v11, 2, 0
	ds_store_b32 v10, v4
	ds_store_b32 v11, v5 offset:16380
	s_or_b32 exec_lo, exec_lo, s37
	s_and_saveexec_b32 s31, vcc_lo
	s_cbranch_execz .LBB10_40
.LBB10_106:                             ;   in Loop: Header=BB10_41 Depth=1
	ds_store_b32 v3, v9 offset:32892
	s_branch .LBB10_40
.LBB10_107:
	s_or_b32 exec_lo, exec_lo, s36
	s_wait_kmcnt 0x0
	s_ashr_i32 s43, s42, 31
	s_delay_alu instid0(SALU_CYCLE_1) | instskip(NEXT) | instid1(SALU_CYCLE_1)
	s_lshl_b64 s[0:1], s[42:43], 2
	s_add_nc_u64 s[2:3], s[40:41], s[0:1]
	s_load_b64 s[0:1], s[2:3], 0x0
	s_wait_kmcnt 0x0
	s_sub_co_i32 s4, s1, s0
	s_mov_b32 s1, exec_lo
	v_cmpx_gt_i32_e64 s4, v0
	s_cbranch_execz .LBB10_121
; %bb.108:
	v_sub_co_u32 v1, s1, s4, 2
	s_sub_co_i32 s2, s0, s38
	s_xor_b32 s6, s1, -1
	s_and_b32 s5, s4, -2
	v_readfirstlane_b32 s3, v1
	s_lshr_b32 s0, s3, 1
	s_mov_b32 s3, 0
	s_add_co_i32 s0, s0, 1
	s_mov_b32 s11, s3
	s_and_b32 s1, s0, 7
	s_and_b32 s7, s0, -8
	s_cmp_lg_u32 s1, 0
	v_cmp_lt_u32_e64 s0, 13, v1
	s_cselect_b32 s8, -1, 0
	s_cmp_lg_u32 s4, s5
	s_cselect_b32 s9, -1, 0
	s_lshl_b32 s10, s1, 3
	s_branch .LBB10_110
.LBB10_109:                             ;   in Loop: Header=BB10_110 Depth=1
	v_add_nc_u32_e32 v0, 0x400, v0
	s_wait_dscnt 0x0
	global_store_b32 v1, v3, s[34:35] scale_offset
	v_cmp_le_i32_e32 vcc_lo, s4, v0
	s_or_b32 s11, vcc_lo, s11
	s_wait_xcnt 0x0
	s_and_not1_b32 exec_lo, exec_lo, s11
	s_cbranch_execz .LBB10_121
.LBB10_110:                             ; =>This Loop Header: Depth=1
                                        ;     Child Loop BB10_113 Depth 2
                                        ;     Child Loop BB10_116 Depth 2
	;; [unrolled: 1-line block ×3, first 2 shown]
	v_lshl_add_u32 v1, v0, 2, 0
	s_and_not1_b32 vcc_lo, exec_lo, s6
	s_mov_b32 s1, 0
	s_mov_b32 s12, -1
	ds_load_2addr_stride64_b32 v[2:3], v1 offset1:64
	v_mov_b32_e32 v1, s2
	s_cbranch_vccnz .LBB10_118
; %bb.111:                              ;   in Loop: Header=BB10_110 Depth=1
	v_mov_b64_e32 v[4:5], s[2:3]
	s_and_not1_b32 vcc_lo, exec_lo, s0
	s_mov_b32 s12, 0
	s_cbranch_vccnz .LBB10_114
; %bb.112:                              ;   in Loop: Header=BB10_110 Depth=1
	v_dual_mov_b32 v4, s2 :: v_dual_mov_b32 v5, 0
	s_mov_b32 s13, 0
	s_mov_b32 s14, s7
.LBB10_113:                             ;   Parent Loop BB10_110 Depth=1
                                        ; =>  This Inner Loop Header: Depth=2
	v_mov_b32_e32 v1, s13
	s_add_co_i32 s14, s14, -8
	s_add_co_i32 s12, s12, 16
	s_add_co_i32 s13, s13, 64
	s_cmp_lg_u32 s14, 0
	ds_load_2addr_b32 v[6:7], v1 offset1:1
	ds_load_2addr_b32 v[8:9], v1 offset0:2 offset1:3
	ds_load_2addr_b32 v[10:11], v1 offset0:4 offset1:5
	;; [unrolled: 1-line block ×7, first 2 shown]
	s_wait_dscnt 0x7
	v_cmp_gt_i32_e32 vcc_lo, v2, v7
	s_wait_dscnt 0x5
	v_cmp_gt_i32_e64 s1, v2, v10
	v_cndmask_b32_e64 v1, 0, 1, vcc_lo
	v_cmp_gt_i32_e32 vcc_lo, v2, v6
	s_delay_alu instid0(VALU_DEP_3) | instskip(SKIP_3) | instid1(VALU_DEP_3)
	v_cndmask_b32_e64 v7, 0, 1, s1
	v_cmp_gt_i32_e64 s1, v2, v11
	v_cndmask_b32_e64 v6, 0, 1, vcc_lo
	v_cmp_gt_i32_e32 vcc_lo, v2, v8
	v_cndmask_b32_e64 v8, 0, 1, s1
	s_wait_dscnt 0x4
	v_cmp_gt_i32_e64 s1, v2, v13
	v_add_co_ci_u32_e64 v4, null, v4, v6, vcc_lo
	s_delay_alu instid0(VALU_DEP_2) | instskip(SKIP_3) | instid1(VALU_DEP_2)
	v_cndmask_b32_e64 v10, 0, 1, s1
	v_cmp_gt_i32_e64 s1, v2, v12
	s_wait_dscnt 0x2
	v_cmp_gt_i32_e32 vcc_lo, v2, v16
	v_cndmask_b32_e64 v11, 0, 1, s1
	v_cmp_gt_i32_e64 s1, v2, v14
	v_add_co_ci_u32_e64 v4, null, v4, v7, vcc_lo
	s_wait_dscnt 0x1
	v_cmp_gt_i32_e32 vcc_lo, v2, v18
	s_delay_alu instid0(VALU_DEP_3) | instskip(SKIP_4) | instid1(VALU_DEP_3)
	v_cndmask_b32_e64 v12, 0, 1, s1
	v_cmp_gt_i32_e64 s1, v2, v15
	v_add_co_ci_u32_e64 v4, null, v4, v11, vcc_lo
	s_wait_dscnt 0x0
	v_cmp_gt_i32_e32 vcc_lo, v2, v20
	v_cndmask_b32_e64 v13, 0, 1, s1
	v_cmp_gt_i32_e64 s1, v2, v9
	v_add_co_ci_u32_e64 v4, null, v4, v12, vcc_lo
	s_delay_alu instid0(VALU_DEP_2) | instskip(SKIP_1) | instid1(VALU_DEP_1)
	v_add_co_ci_u32_e64 v1, null, v5, v1, s1
	v_cmp_gt_i32_e64 s1, v2, v17
	v_add_co_ci_u32_e64 v1, null, v1, v8, s1
	v_cmp_gt_i32_e64 s1, v2, v19
	s_delay_alu instid0(VALU_DEP_1) | instskip(SKIP_1) | instid1(VALU_DEP_1)
	v_add_co_ci_u32_e64 v1, null, v1, v10, s1
	v_cmp_gt_i32_e64 s1, v2, v21
	v_add_co_ci_u32_e64 v5, null, v1, v13, s1
	s_cbranch_scc1 .LBB10_113
.LBB10_114:                             ;   in Loop: Header=BB10_110 Depth=1
	s_and_not1_b32 vcc_lo, exec_lo, s8
	s_cbranch_vccnz .LBB10_117
; %bb.115:                              ;   in Loop: Header=BB10_110 Depth=1
	s_lshl_b32 s1, s12, 2
	s_mov_b32 s12, s10
	s_add_co_i32 s1, s1, 0
.LBB10_116:                             ;   Parent Loop BB10_110 Depth=1
                                        ; =>  This Inner Loop Header: Depth=2
	s_delay_alu instid0(SALU_CYCLE_1)
	v_mov_b32_e32 v1, s1
	s_add_co_i32 s12, s12, -8
	s_add_co_i32 s1, s1, 8
	s_cmp_lg_u32 s12, 0
	ds_load_2addr_b32 v[6:7], v1 offset1:1
	s_wait_dscnt 0x0
	v_cmp_gt_i32_e32 vcc_lo, v2, v7
	v_add_co_ci_u32_e64 v5, null, 0, v5, vcc_lo
	v_cmp_gt_i32_e32 vcc_lo, v2, v6
	v_add_co_ci_u32_e64 v4, null, 0, v4, vcc_lo
	s_cbranch_scc1 .LBB10_116
.LBB10_117:                             ;   in Loop: Header=BB10_110 Depth=1
	s_delay_alu instid0(VALU_DEP_1)
	v_add_nc_u32_e32 v1, v4, v5
	s_mov_b32 s1, s5
	s_mov_b32 s12, s9
.LBB10_118:                             ;   in Loop: Header=BB10_110 Depth=1
	s_delay_alu instid0(SALU_CYCLE_1)
	s_and_b32 vcc_lo, exec_lo, s12
	s_cbranch_vccz .LBB10_109
; %bb.119:                              ;   in Loop: Header=BB10_110 Depth=1
	s_lshl_b32 s12, s1, 2
	s_delay_alu instid0(SALU_CYCLE_1)
	s_add_co_i32 s12, s12, 0
.LBB10_120:                             ;   Parent Loop BB10_110 Depth=1
                                        ; =>  This Inner Loop Header: Depth=2
	s_delay_alu instid0(SALU_CYCLE_1)
	v_mov_b32_e32 v4, s12
	s_add_co_i32 s1, s1, 1
	s_add_co_i32 s12, s12, 4
	s_cmp_ge_i32 s1, s4
	ds_load_b32 v4, v4
	s_wait_dscnt 0x0
	v_cmp_gt_i32_e32 vcc_lo, v2, v4
	v_add_co_ci_u32_e64 v1, null, 0, v1, vcc_lo
	s_cbranch_scc0 .LBB10_120
	s_branch .LBB10_109
.LBB10_121:
	s_endpgm
	.section	.rodata,"a",@progbits
	.p2align	6, 0x0
	.amdhsa_kernel _ZN9rocsparseL41csrgemm_numeric_fill_block_per_row_kernelILj1024ELj64ELj4096ELj137ELj32EiifEEvT5_PKS1_S3_NS_24const_host_device_scalarIT6_EEPKT4_S3_PKS5_S9_S3_SB_S6_S9_S3_SB_S9_S3_PS5_21rocsparse_index_base_SD_SD_SD_bbb
		.amdhsa_group_segment_fixed_size 0
		.amdhsa_private_segment_fixed_size 0
		.amdhsa_kernarg_size 156
		.amdhsa_user_sgpr_count 2
		.amdhsa_user_sgpr_dispatch_ptr 0
		.amdhsa_user_sgpr_queue_ptr 0
		.amdhsa_user_sgpr_kernarg_segment_ptr 1
		.amdhsa_user_sgpr_dispatch_id 0
		.amdhsa_user_sgpr_kernarg_preload_length 0
		.amdhsa_user_sgpr_kernarg_preload_offset 0
		.amdhsa_user_sgpr_private_segment_size 0
		.amdhsa_wavefront_size32 1
		.amdhsa_uses_dynamic_stack 0
		.amdhsa_enable_private_segment 0
		.amdhsa_system_sgpr_workgroup_id_x 1
		.amdhsa_system_sgpr_workgroup_id_y 0
		.amdhsa_system_sgpr_workgroup_id_z 0
		.amdhsa_system_sgpr_workgroup_info 0
		.amdhsa_system_vgpr_workitem_id 0
		.amdhsa_next_free_vgpr 22
		.amdhsa_next_free_sgpr 44
		.amdhsa_named_barrier_count 0
		.amdhsa_reserve_vcc 1
		.amdhsa_float_round_mode_32 0
		.amdhsa_float_round_mode_16_64 0
		.amdhsa_float_denorm_mode_32 3
		.amdhsa_float_denorm_mode_16_64 3
		.amdhsa_fp16_overflow 0
		.amdhsa_memory_ordered 1
		.amdhsa_forward_progress 1
		.amdhsa_inst_pref_size 33
		.amdhsa_round_robin_scheduling 0
		.amdhsa_exception_fp_ieee_invalid_op 0
		.amdhsa_exception_fp_denorm_src 0
		.amdhsa_exception_fp_ieee_div_zero 0
		.amdhsa_exception_fp_ieee_overflow 0
		.amdhsa_exception_fp_ieee_underflow 0
		.amdhsa_exception_fp_ieee_inexact 0
		.amdhsa_exception_int_div_zero 0
	.end_amdhsa_kernel
	.section	.text._ZN9rocsparseL41csrgemm_numeric_fill_block_per_row_kernelILj1024ELj64ELj4096ELj137ELj32EiifEEvT5_PKS1_S3_NS_24const_host_device_scalarIT6_EEPKT4_S3_PKS5_S9_S3_SB_S6_S9_S3_SB_S9_S3_PS5_21rocsparse_index_base_SD_SD_SD_bbb,"axG",@progbits,_ZN9rocsparseL41csrgemm_numeric_fill_block_per_row_kernelILj1024ELj64ELj4096ELj137ELj32EiifEEvT5_PKS1_S3_NS_24const_host_device_scalarIT6_EEPKT4_S3_PKS5_S9_S3_SB_S6_S9_S3_SB_S9_S3_PS5_21rocsparse_index_base_SD_SD_SD_bbb,comdat
.Lfunc_end10:
	.size	_ZN9rocsparseL41csrgemm_numeric_fill_block_per_row_kernelILj1024ELj64ELj4096ELj137ELj32EiifEEvT5_PKS1_S3_NS_24const_host_device_scalarIT6_EEPKT4_S3_PKS5_S9_S3_SB_S6_S9_S3_SB_S9_S3_PS5_21rocsparse_index_base_SD_SD_SD_bbb, .Lfunc_end10-_ZN9rocsparseL41csrgemm_numeric_fill_block_per_row_kernelILj1024ELj64ELj4096ELj137ELj32EiifEEvT5_PKS1_S3_NS_24const_host_device_scalarIT6_EEPKT4_S3_PKS5_S9_S3_SB_S6_S9_S3_SB_S9_S3_PS5_21rocsparse_index_base_SD_SD_SD_bbb
                                        ; -- End function
	.set _ZN9rocsparseL41csrgemm_numeric_fill_block_per_row_kernelILj1024ELj64ELj4096ELj137ELj32EiifEEvT5_PKS1_S3_NS_24const_host_device_scalarIT6_EEPKT4_S3_PKS5_S9_S3_SB_S6_S9_S3_SB_S9_S3_PS5_21rocsparse_index_base_SD_SD_SD_bbb.num_vgpr, 22
	.set _ZN9rocsparseL41csrgemm_numeric_fill_block_per_row_kernelILj1024ELj64ELj4096ELj137ELj32EiifEEvT5_PKS1_S3_NS_24const_host_device_scalarIT6_EEPKT4_S3_PKS5_S9_S3_SB_S6_S9_S3_SB_S9_S3_PS5_21rocsparse_index_base_SD_SD_SD_bbb.num_agpr, 0
	.set _ZN9rocsparseL41csrgemm_numeric_fill_block_per_row_kernelILj1024ELj64ELj4096ELj137ELj32EiifEEvT5_PKS1_S3_NS_24const_host_device_scalarIT6_EEPKT4_S3_PKS5_S9_S3_SB_S6_S9_S3_SB_S9_S3_PS5_21rocsparse_index_base_SD_SD_SD_bbb.numbered_sgpr, 44
	.set _ZN9rocsparseL41csrgemm_numeric_fill_block_per_row_kernelILj1024ELj64ELj4096ELj137ELj32EiifEEvT5_PKS1_S3_NS_24const_host_device_scalarIT6_EEPKT4_S3_PKS5_S9_S3_SB_S6_S9_S3_SB_S9_S3_PS5_21rocsparse_index_base_SD_SD_SD_bbb.num_named_barrier, 0
	.set _ZN9rocsparseL41csrgemm_numeric_fill_block_per_row_kernelILj1024ELj64ELj4096ELj137ELj32EiifEEvT5_PKS1_S3_NS_24const_host_device_scalarIT6_EEPKT4_S3_PKS5_S9_S3_SB_S6_S9_S3_SB_S9_S3_PS5_21rocsparse_index_base_SD_SD_SD_bbb.private_seg_size, 0
	.set _ZN9rocsparseL41csrgemm_numeric_fill_block_per_row_kernelILj1024ELj64ELj4096ELj137ELj32EiifEEvT5_PKS1_S3_NS_24const_host_device_scalarIT6_EEPKT4_S3_PKS5_S9_S3_SB_S6_S9_S3_SB_S9_S3_PS5_21rocsparse_index_base_SD_SD_SD_bbb.uses_vcc, 1
	.set _ZN9rocsparseL41csrgemm_numeric_fill_block_per_row_kernelILj1024ELj64ELj4096ELj137ELj32EiifEEvT5_PKS1_S3_NS_24const_host_device_scalarIT6_EEPKT4_S3_PKS5_S9_S3_SB_S6_S9_S3_SB_S9_S3_PS5_21rocsparse_index_base_SD_SD_SD_bbb.uses_flat_scratch, 0
	.set _ZN9rocsparseL41csrgemm_numeric_fill_block_per_row_kernelILj1024ELj64ELj4096ELj137ELj32EiifEEvT5_PKS1_S3_NS_24const_host_device_scalarIT6_EEPKT4_S3_PKS5_S9_S3_SB_S6_S9_S3_SB_S9_S3_PS5_21rocsparse_index_base_SD_SD_SD_bbb.has_dyn_sized_stack, 0
	.set _ZN9rocsparseL41csrgemm_numeric_fill_block_per_row_kernelILj1024ELj64ELj4096ELj137ELj32EiifEEvT5_PKS1_S3_NS_24const_host_device_scalarIT6_EEPKT4_S3_PKS5_S9_S3_SB_S6_S9_S3_SB_S9_S3_PS5_21rocsparse_index_base_SD_SD_SD_bbb.has_recursion, 0
	.set _ZN9rocsparseL41csrgemm_numeric_fill_block_per_row_kernelILj1024ELj64ELj4096ELj137ELj32EiifEEvT5_PKS1_S3_NS_24const_host_device_scalarIT6_EEPKT4_S3_PKS5_S9_S3_SB_S6_S9_S3_SB_S9_S3_PS5_21rocsparse_index_base_SD_SD_SD_bbb.has_indirect_call, 0
	.section	.AMDGPU.csdata,"",@progbits
; Kernel info:
; codeLenInByte = 4200
; TotalNumSgprs: 46
; NumVgprs: 22
; ScratchSize: 0
; MemoryBound: 0
; FloatMode: 240
; IeeeMode: 1
; LDSByteSize: 0 bytes/workgroup (compile time only)
; SGPRBlocks: 0
; VGPRBlocks: 1
; NumSGPRsForWavesPerEU: 46
; NumVGPRsForWavesPerEU: 22
; NamedBarCnt: 0
; Occupancy: 16
; WaveLimiterHint : 1
; COMPUTE_PGM_RSRC2:SCRATCH_EN: 0
; COMPUTE_PGM_RSRC2:USER_SGPR: 2
; COMPUTE_PGM_RSRC2:TRAP_HANDLER: 0
; COMPUTE_PGM_RSRC2:TGID_X_EN: 1
; COMPUTE_PGM_RSRC2:TGID_Y_EN: 0
; COMPUTE_PGM_RSRC2:TGID_Z_EN: 0
; COMPUTE_PGM_RSRC2:TIDIG_COMP_CNT: 0
	.section	.text._ZN9rocsparseL41csrgemm_numeric_fill_block_per_row_kernelILj1024ELj64ELj4096ELj137ELj64EiifEEvT5_PKS1_S3_NS_24const_host_device_scalarIT6_EEPKT4_S3_PKS5_S9_S3_SB_S6_S9_S3_SB_S9_S3_PS5_21rocsparse_index_base_SD_SD_SD_bbb,"axG",@progbits,_ZN9rocsparseL41csrgemm_numeric_fill_block_per_row_kernelILj1024ELj64ELj4096ELj137ELj64EiifEEvT5_PKS1_S3_NS_24const_host_device_scalarIT6_EEPKT4_S3_PKS5_S9_S3_SB_S6_S9_S3_SB_S9_S3_PS5_21rocsparse_index_base_SD_SD_SD_bbb,comdat
	.globl	_ZN9rocsparseL41csrgemm_numeric_fill_block_per_row_kernelILj1024ELj64ELj4096ELj137ELj64EiifEEvT5_PKS1_S3_NS_24const_host_device_scalarIT6_EEPKT4_S3_PKS5_S9_S3_SB_S6_S9_S3_SB_S9_S3_PS5_21rocsparse_index_base_SD_SD_SD_bbb ; -- Begin function _ZN9rocsparseL41csrgemm_numeric_fill_block_per_row_kernelILj1024ELj64ELj4096ELj137ELj64EiifEEvT5_PKS1_S3_NS_24const_host_device_scalarIT6_EEPKT4_S3_PKS5_S9_S3_SB_S6_S9_S3_SB_S9_S3_PS5_21rocsparse_index_base_SD_SD_SD_bbb
	.p2align	8
	.type	_ZN9rocsparseL41csrgemm_numeric_fill_block_per_row_kernelILj1024ELj64ELj4096ELj137ELj64EiifEEvT5_PKS1_S3_NS_24const_host_device_scalarIT6_EEPKT4_S3_PKS5_S9_S3_SB_S6_S9_S3_SB_S9_S3_PS5_21rocsparse_index_base_SD_SD_SD_bbb,@function
_ZN9rocsparseL41csrgemm_numeric_fill_block_per_row_kernelILj1024ELj64ELj4096ELj137ELj64EiifEEvT5_PKS1_S3_NS_24const_host_device_scalarIT6_EEPKT4_S3_PKS5_S9_S3_SB_S6_S9_S3_SB_S9_S3_PS5_21rocsparse_index_base_SD_SD_SD_bbb: ; @_ZN9rocsparseL41csrgemm_numeric_fill_block_per_row_kernelILj1024ELj64ELj4096ELj137ELj64EiifEEvT5_PKS1_S3_NS_24const_host_device_scalarIT6_EEPKT4_S3_PKS5_S9_S3_SB_S6_S9_S3_SB_S9_S3_PS5_21rocsparse_index_base_SD_SD_SD_bbb
; %bb.0:
	s_clause 0x3
	s_load_b32 s14, s[0:1], 0x98
	s_load_b64 s[2:3], s[0:1], 0x18
	s_load_b128 s[16:19], s[0:1], 0x88
	s_load_b64 s[12:13], s[0:1], 0x50
	s_wait_kmcnt 0x0
	s_and_b32 s4, 1, s14
	s_bitcmp1_b32 s14, 16
	s_cselect_b32 s15, -1, 0
	s_cmp_eq_u32 s4, 1
	s_cselect_b32 s37, -1, 0
	s_delay_alu instid0(SALU_CYCLE_1) | instskip(SKIP_2) | instid1(SALU_CYCLE_1)
	s_and_b32 s4, s37, exec_lo
	s_cselect_b32 s35, s2, 0
	s_xor_b32 s4, s37, -1
	s_or_b32 s4, s15, s4
	s_delay_alu instid0(SALU_CYCLE_1)
	s_and_b32 vcc_lo, exec_lo, s4
	s_cbranch_vccnz .LBB11_2
; %bb.1:
	s_load_b32 s35, s[2:3], 0x0
.LBB11_2:
	s_clause 0x3
	s_load_b64 s[24:25], s[0:1], 0x80
	s_load_b128 s[4:7], s[0:1], 0x60
	s_load_b128 s[8:11], s[0:1], 0x40
	;; [unrolled: 1-line block ×3, first 2 shown]
	s_wait_xcnt 0x0
	s_load_b64 s[2:3], s[0:1], 0x28
	s_bitcmp1_b32 s14, 8
	s_cselect_b32 s36, -1, 0
	s_delay_alu instid0(SALU_CYCLE_1) | instskip(SKIP_2) | instid1(SALU_CYCLE_1)
	s_and_b32 s14, s36, exec_lo
	s_cselect_b32 s34, s12, 0
	s_xor_b32 s14, s36, -1
	s_or_b32 s14, s15, s14
	s_delay_alu instid0(SALU_CYCLE_1)
	s_and_b32 vcc_lo, exec_lo, s14
	s_cbranch_vccnz .LBB11_4
; %bb.3:
	s_load_b32 s34, s[12:13], 0x0
.LBB11_4:
	s_clause 0x3
	s_load_b32 s33, s[0:1], 0x0
	s_load_b64 s[30:31], s[0:1], 0x20
	s_load_b64 s[26:27], s[0:1], 0x70
	;; [unrolled: 1-line block ×3, first 2 shown]
	s_wait_xcnt 0x0
	s_load_b128 s[12:15], s[0:1], 0x30
	v_lshl_add_u32 v1, v0, 2, 0
	v_or_b32_e32 v6, 0xfffffc00, v0
	v_mov_b32_e32 v2, 0
	s_wait_xcnt 0x0
	s_mov_b32 s0, 0
	s_delay_alu instid0(VALU_DEP_2)
	v_dual_mov_b32 v3, v1 :: v_dual_mov_b32 v5, v6
	s_wait_kmcnt 0x0
	v_mov_b32_e32 v4, s33
.LBB11_5:                               ; =>This Inner Loop Header: Depth=1
	s_delay_alu instid0(VALU_DEP_2) | instskip(SKIP_4) | instid1(SALU_CYCLE_1)
	v_add_nc_u32_e32 v5, 0x400, v5
	ds_store_2addr_stride64_b32 v3, v4, v2 offset1:64
	v_add_nc_u32_e32 v3, 0x1000, v3
	v_cmp_lt_u32_e32 vcc_lo, 0xbff, v5
	s_or_b32 s0, vcc_lo, s0
	s_and_not1_b32 exec_lo, exec_lo, s0
	s_cbranch_execnz .LBB11_5
; %bb.6:
	s_or_b32 exec_lo, exec_lo, s0
	s_wait_dscnt 0x0
	s_barrier_signal -1
	s_barrier_wait -1
	s_load_b32 s0, s[20:21], 0x0
	s_bfe_u32 s1, ttmp6, 0x4000c
	s_wait_xcnt 0x0
	s_and_b32 s20, ttmp6, 15
	s_add_co_i32 s1, s1, 1
	s_getreg_b32 s21, hwreg(HW_REG_IB_STS2, 6, 4)
	s_mul_i32 s1, ttmp9, s1
	v_lshrrev_b32_e32 v4, 6, v0
	s_add_co_i32 s20, s20, s1
	s_cmp_eq_u32 s21, 0
	s_cselect_b32 s1, ttmp9, s20
	s_and_b32 vcc_lo, exec_lo, s37
	s_wait_kmcnt 0x0
	s_add_co_i32 s0, s0, s1
	s_load_b32 s20, s[22:23], s0 offset:0x0 scale_offset
	s_cbranch_vccz .LBB11_24
; %bb.7:
	s_wait_kmcnt 0x0
	s_ashr_i32 s21, s20, 31
	v_subrev_nc_u32_e32 v2, s16, v4
	s_lshl_b64 s[0:1], s[20:21], 2
	s_delay_alu instid0(SALU_CYCLE_1)
	s_add_nc_u64 s[0:1], s[30:31], s[0:1]
	s_load_b64 s[22:23], s[0:1], 0x0
	s_wait_xcnt 0x0
	s_mov_b32 s1, exec_lo
	s_wait_kmcnt 0x0
	v_add_nc_u32_e32 v2, s22, v2
	s_sub_co_i32 s0, s23, s16
	s_delay_alu instid0(VALU_DEP_1) | instid1(SALU_CYCLE_1)
	v_cmpx_gt_i32_e64 s0, v2
	s_cbranch_execz .LBB11_23
; %bb.8:
	v_and_b32_e32 v3, 63, v0
	s_mov_b32 s21, 0
	s_delay_alu instid0(VALU_DEP_1)
	v_subrev_nc_u32_e32 v5, s17, v3
	s_branch .LBB11_10
.LBB11_9:                               ;   in Loop: Header=BB11_10 Depth=1
	s_or_b32 exec_lo, exec_lo, s22
	v_add_nc_u32_e32 v2, 16, v2
	s_delay_alu instid0(VALU_DEP_1) | instskip(SKIP_1) | instid1(SALU_CYCLE_1)
	v_cmp_le_i32_e32 vcc_lo, s0, v2
	s_or_b32 s21, vcc_lo, s21
	s_and_not1_b32 exec_lo, exec_lo, s21
	s_cbranch_execz .LBB11_23
.LBB11_10:                              ; =>This Loop Header: Depth=1
                                        ;     Child Loop BB11_14 Depth 2
                                        ;       Child Loop BB11_17 Depth 3
	global_load_b32 v3, v2, s[2:3] scale_offset
	s_mov_b32 s22, exec_lo
	s_wait_loadcnt 0x0
	v_subrev_nc_u32_e32 v8, s16, v3
	s_delay_alu instid0(VALU_DEP_1) | instskip(NEXT) | instid1(VALU_DEP_1)
	v_ashrrev_i32_e32 v9, 31, v8
	v_lshl_add_u64 v[8:9], v[8:9], 2, s[14:15]
	global_load_b64 v[8:9], v[8:9], off
	s_wait_loadcnt 0x0
	v_subrev_nc_u32_e32 v7, s17, v9
	s_wait_xcnt 0x0
	v_add_nc_u32_e32 v8, v8, v5
	s_delay_alu instid0(VALU_DEP_1)
	v_cmpx_lt_i32_e64 v8, v7
	s_cbranch_execz .LBB11_9
; %bb.11:                               ;   in Loop: Header=BB11_10 Depth=1
	v_ashrrev_i32_e32 v3, 31, v2
	s_mov_b32 s23, 0
	s_delay_alu instid0(VALU_DEP_1)
	v_lshl_add_u64 v[10:11], v[2:3], 2, s[12:13]
	global_load_b32 v3, v[10:11], off
	s_wait_loadcnt 0x0
	v_mul_f32_e32 v3, s35, v3
	s_branch .LBB11_14
.LBB11_12:                              ;   in Loop: Header=BB11_14 Depth=2
	s_or_b32 exec_lo, exec_lo, s31
.LBB11_13:                              ;   in Loop: Header=BB11_14 Depth=2
	s_delay_alu instid0(SALU_CYCLE_1) | instskip(SKIP_3) | instid1(VALU_DEP_2)
	s_or_b32 exec_lo, exec_lo, s30
	s_wait_loadcnt 0x0
	v_dual_mul_f32 v9, v3, v9 :: v_dual_add_nc_u32 v8, 64, v8
	v_lshl_add_u32 v10, v10, 2, 0
	v_cmp_ge_i32_e32 vcc_lo, v8, v7
	ds_add_f32 v10, v9 offset:16384
	s_or_b32 s23, vcc_lo, s23
	s_delay_alu instid0(SALU_CYCLE_1)
	s_and_not1_b32 exec_lo, exec_lo, s23
	s_cbranch_execz .LBB11_9
.LBB11_14:                              ;   Parent Loop BB11_10 Depth=1
                                        ; =>  This Loop Header: Depth=2
                                        ;       Child Loop BB11_17 Depth 3
	s_clause 0x1
	global_load_b32 v10, v8, s[8:9] scale_offset
	global_load_b32 v9, v8, s[10:11] scale_offset
	s_mov_b32 s30, exec_lo
	s_wait_loadcnt 0x1
	v_subrev_nc_u32_e32 v11, s17, v10
	s_delay_alu instid0(VALU_DEP_1) | instskip(NEXT) | instid1(VALU_DEP_1)
	v_mul_lo_u32 v10, 0x89, v11
	v_and_b32_e32 v10, 0xfff, v10
	s_delay_alu instid0(VALU_DEP_1)
	v_lshl_add_u32 v12, v10, 2, 0
	ds_load_b32 v13, v12
	s_wait_dscnt 0x0
	s_wait_xcnt 0x0
	v_cmpx_ne_u32_e64 v13, v11
	s_cbranch_execz .LBB11_13
; %bb.15:                               ;   in Loop: Header=BB11_14 Depth=2
	s_mov_b32 s31, 0
	s_branch .LBB11_17
.LBB11_16:                              ;   in Loop: Header=BB11_17 Depth=3
	s_or_b32 exec_lo, exec_lo, s39
	s_delay_alu instid0(SALU_CYCLE_1) | instskip(NEXT) | instid1(SALU_CYCLE_1)
	s_and_b32 s37, exec_lo, s38
	s_or_b32 s31, s37, s31
	s_delay_alu instid0(SALU_CYCLE_1)
	s_and_not1_b32 exec_lo, exec_lo, s31
	s_cbranch_execz .LBB11_12
.LBB11_17:                              ;   Parent Loop BB11_10 Depth=1
                                        ;     Parent Loop BB11_14 Depth=2
                                        ; =>    This Inner Loop Header: Depth=3
	s_mov_b32 s37, 0
	s_mov_b32 s38, exec_lo
	v_cmpx_ne_u32_e64 s33, v13
	s_xor_b32 s38, exec_lo, s38
	s_cbranch_execz .LBB11_19
; %bb.18:                               ;   in Loop: Header=BB11_17 Depth=3
	v_add_nc_u32_e32 v10, 1, v10
	s_mov_b32 s37, exec_lo
                                        ; implicit-def: $vgpr12
	s_delay_alu instid0(VALU_DEP_1)
	v_and_b32_e32 v10, 0xfff, v10
	s_and_not1_saveexec_b32 s38, s38
	s_cbranch_execz .LBB11_21
	s_branch .LBB11_20
.LBB11_19:                              ;   in Loop: Header=BB11_17 Depth=3
	s_and_not1_saveexec_b32 s38, s38
	s_cbranch_execz .LBB11_21
.LBB11_20:                              ;   in Loop: Header=BB11_17 Depth=3
	v_mov_b32_e32 v13, s33
	s_and_not1_b32 s37, s37, exec_lo
	ds_cmpstore_rtn_b32 v12, v12, v11, v13
	s_wait_dscnt 0x0
	v_cmp_ne_u32_e32 vcc_lo, s33, v12
	s_and_b32 s39, vcc_lo, exec_lo
	s_delay_alu instid0(SALU_CYCLE_1)
	s_or_b32 s37, s37, s39
.LBB11_21:                              ;   in Loop: Header=BB11_17 Depth=3
	s_or_b32 exec_lo, exec_lo, s38
	s_mov_b32 s38, -1
                                        ; implicit-def: $vgpr12
                                        ; implicit-def: $vgpr13
	s_and_saveexec_b32 s39, s37
	s_cbranch_execz .LBB11_16
; %bb.22:                               ;   in Loop: Header=BB11_17 Depth=3
	v_lshl_add_u32 v12, v10, 2, 0
	ds_load_b32 v13, v12
	s_wait_dscnt 0x0
	v_cmp_eq_u32_e32 vcc_lo, v13, v11
	s_or_not1_b32 s38, vcc_lo, exec_lo
	s_branch .LBB11_16
.LBB11_23:
	s_or_b32 exec_lo, exec_lo, s1
.LBB11_24:
	s_delay_alu instid0(SALU_CYCLE_1)
	s_and_not1_b32 vcc_lo, exec_lo, s36
	s_cbranch_vccnz .LBB11_39
; %bb.25:
	s_wait_kmcnt 0x0
	s_ashr_i32 s21, s20, 31
	v_subrev_nc_u32_e32 v2, s19, v0
	s_lshl_b64 s[0:1], s[20:21], 2
	s_delay_alu instid0(SALU_CYCLE_1)
	s_add_nc_u64 s[0:1], s[28:29], s[0:1]
	s_load_b64 s[2:3], s[0:1], 0x0
	s_wait_xcnt 0x0
	s_mov_b32 s1, exec_lo
	s_wait_kmcnt 0x0
	v_add_nc_u32_e32 v2, s2, v2
	s_sub_co_i32 s0, s3, s19
	s_delay_alu instid0(VALU_DEP_1) | instid1(SALU_CYCLE_1)
	v_cmpx_gt_i32_e64 s0, v2
	s_cbranch_execz .LBB11_38
; %bb.26:
	s_mov_b32 s2, 0
	s_branch .LBB11_29
.LBB11_27:                              ;   in Loop: Header=BB11_29 Depth=1
	s_or_b32 exec_lo, exec_lo, s8
.LBB11_28:                              ;   in Loop: Header=BB11_29 Depth=1
	s_delay_alu instid0(SALU_CYCLE_1) | instskip(SKIP_3) | instid1(VALU_DEP_2)
	s_or_b32 exec_lo, exec_lo, s3
	s_wait_loadcnt 0x0
	v_dual_mul_f32 v3, s34, v3 :: v_dual_add_nc_u32 v2, 0x400, v2
	v_lshl_add_u32 v5, v5, 2, 0
	v_cmp_le_i32_e32 vcc_lo, s0, v2
	ds_add_f32 v5, v3 offset:16384
	s_or_b32 s2, vcc_lo, s2
	s_delay_alu instid0(SALU_CYCLE_1)
	s_and_not1_b32 exec_lo, exec_lo, s2
	s_cbranch_execz .LBB11_38
.LBB11_29:                              ; =>This Loop Header: Depth=1
                                        ;     Child Loop BB11_32 Depth 2
	s_clause 0x1
	global_load_b32 v5, v2, s[4:5] scale_offset
	global_load_b32 v3, v2, s[6:7] scale_offset
	s_mov_b32 s3, exec_lo
	s_wait_loadcnt 0x1
	v_subrev_nc_u32_e32 v7, s19, v5
	s_delay_alu instid0(VALU_DEP_1) | instskip(NEXT) | instid1(VALU_DEP_1)
	v_mul_lo_u32 v5, 0x89, v7
	v_and_b32_e32 v5, 0xfff, v5
	s_delay_alu instid0(VALU_DEP_1)
	v_lshl_add_u32 v8, v5, 2, 0
	ds_load_b32 v9, v8
	s_wait_dscnt 0x0
	s_wait_xcnt 0x0
	v_cmpx_ne_u32_e64 v9, v7
	s_cbranch_execz .LBB11_28
; %bb.30:                               ;   in Loop: Header=BB11_29 Depth=1
	s_mov_b32 s8, 0
	s_branch .LBB11_32
.LBB11_31:                              ;   in Loop: Header=BB11_32 Depth=2
	s_or_b32 exec_lo, exec_lo, s11
	s_delay_alu instid0(SALU_CYCLE_1) | instskip(NEXT) | instid1(SALU_CYCLE_1)
	s_and_b32 s9, exec_lo, s10
	s_or_b32 s8, s9, s8
	s_delay_alu instid0(SALU_CYCLE_1)
	s_and_not1_b32 exec_lo, exec_lo, s8
	s_cbranch_execz .LBB11_27
.LBB11_32:                              ;   Parent Loop BB11_29 Depth=1
                                        ; =>  This Inner Loop Header: Depth=2
	s_mov_b32 s9, 0
	s_mov_b32 s10, exec_lo
	v_cmpx_ne_u32_e64 s33, v9
	s_xor_b32 s10, exec_lo, s10
	s_cbranch_execz .LBB11_34
; %bb.33:                               ;   in Loop: Header=BB11_32 Depth=2
	v_add_nc_u32_e32 v5, 1, v5
	s_mov_b32 s9, exec_lo
                                        ; implicit-def: $vgpr8
	s_delay_alu instid0(VALU_DEP_1)
	v_and_b32_e32 v5, 0xfff, v5
	s_and_not1_saveexec_b32 s10, s10
	s_cbranch_execz .LBB11_36
	s_branch .LBB11_35
.LBB11_34:                              ;   in Loop: Header=BB11_32 Depth=2
	s_and_not1_saveexec_b32 s10, s10
	s_cbranch_execz .LBB11_36
.LBB11_35:                              ;   in Loop: Header=BB11_32 Depth=2
	v_mov_b32_e32 v9, s33
	s_and_not1_b32 s9, s9, exec_lo
	ds_cmpstore_rtn_b32 v8, v8, v7, v9
	s_wait_dscnt 0x0
	v_cmp_ne_u32_e32 vcc_lo, s33, v8
	s_and_b32 s11, vcc_lo, exec_lo
	s_delay_alu instid0(SALU_CYCLE_1)
	s_or_b32 s9, s9, s11
.LBB11_36:                              ;   in Loop: Header=BB11_32 Depth=2
	s_or_b32 exec_lo, exec_lo, s10
	s_mov_b32 s10, -1
                                        ; implicit-def: $vgpr8
                                        ; implicit-def: $vgpr9
	s_and_saveexec_b32 s11, s9
	s_cbranch_execz .LBB11_31
; %bb.37:                               ;   in Loop: Header=BB11_32 Depth=2
	v_lshl_add_u32 v8, v5, 2, 0
	ds_load_b32 v9, v8
	s_wait_dscnt 0x0
	v_cmp_eq_u32_e32 vcc_lo, v9, v7
	s_or_not1_b32 s10, vcc_lo, exec_lo
	s_branch .LBB11_31
.LBB11_38:
	s_or_b32 exec_lo, exec_lo, s1
.LBB11_39:
	v_mbcnt_lo_u32_b32 v2, -1, 0
	v_mov_b32_e32 v3, 0
	v_lshl_add_u32 v7, v4, 2, 0
	s_wait_xcnt 0x0
	v_cmp_lt_u32_e64 s0, 63, v0
	v_cmp_lt_u32_e64 s1, 0x7f, v0
	v_xor_b32_e32 v2, 31, v2
	v_cmp_lt_u32_e64 s2, 0xbf, v0
	v_cmp_lt_u32_e64 s3, 0xff, v0
	;; [unrolled: 1-line block ×4, first 2 shown]
	v_lshrrev_b32_e64 v2, v2, -1
	v_cmp_lt_u32_e64 s6, 0x1bf, v0
	v_cmp_lt_u32_e64 s7, 0x1ff, v0
	;; [unrolled: 1-line block ×9, first 2 shown]
	v_mov_b32_e32 v8, 0
	s_mov_b32 s16, 0
	s_wait_dscnt 0x0
	v_cmp_eq_u32_e32 vcc_lo, 0x3ff, v0
	s_barrier_signal -1
	s_barrier_wait -1
	s_branch .LBB11_41
.LBB11_40:                              ;   in Loop: Header=BB11_41 Depth=1
	s_or_b32 exec_lo, exec_lo, s15
	s_wait_dscnt 0x0
	s_barrier_signal -1
	s_barrier_wait -1
	ds_load_b32 v4, v3 offset:32828
	v_add_nc_u32_e32 v6, 0x400, v6
	v_add_nc_u32_e32 v1, 0x1000, v1
	s_delay_alu instid0(VALU_DEP_2)
	v_cmp_lt_u32_e64 s15, 0xbff, v6
	s_or_b32 s16, s15, s16
	s_wait_dscnt 0x0
	v_add_nc_u32_e32 v8, v4, v8
	s_and_not1_b32 exec_lo, exec_lo, s16
	s_cbranch_execz .LBB11_75
.LBB11_41:                              ; =>This Inner Loop Header: Depth=1
	ds_load_2addr_stride64_b32 v[4:5], v1 offset1:64
	s_wait_dscnt 0x0
	s_barrier_signal -1
	s_barrier_wait -1
	v_cmp_gt_i32_e64 s15, s33, v4
	s_bcnt1_i32_b32 s17, s15
	s_delay_alu instid0(SALU_CYCLE_1) | instskip(NEXT) | instid1(VALU_DEP_1)
	v_dual_mov_b32 v10, s17 :: v_dual_bitop2_b32 v9, s15, v2 bitop3:0x40
	v_bcnt_u32_b32 v9, v9, 0
	ds_store_b32 v7, v10 offset:32768
	s_wait_dscnt 0x0
	s_barrier_signal -1
	s_barrier_wait -1
	s_and_saveexec_b32 s17, s0
	s_cbranch_execz .LBB11_58
; %bb.42:                               ;   in Loop: Header=BB11_41 Depth=1
	ds_load_b32 v10, v3 offset:32768
	s_wait_dscnt 0x0
	v_add_nc_u32_e32 v9, v10, v9
	s_or_b32 exec_lo, exec_lo, s17
	s_and_saveexec_b32 s17, s1
	s_cbranch_execnz .LBB11_59
.LBB11_43:                              ;   in Loop: Header=BB11_41 Depth=1
	s_or_b32 exec_lo, exec_lo, s17
	s_and_saveexec_b32 s17, s2
	s_cbranch_execz .LBB11_60
.LBB11_44:                              ;   in Loop: Header=BB11_41 Depth=1
	ds_load_b32 v10, v3 offset:32776
	s_wait_dscnt 0x0
	v_add_nc_u32_e32 v9, v10, v9
	s_or_b32 exec_lo, exec_lo, s17
	s_and_saveexec_b32 s17, s3
	s_cbranch_execnz .LBB11_61
.LBB11_45:                              ;   in Loop: Header=BB11_41 Depth=1
	s_or_b32 exec_lo, exec_lo, s17
	s_and_saveexec_b32 s17, s4
	s_cbranch_execz .LBB11_62
.LBB11_46:                              ;   in Loop: Header=BB11_41 Depth=1
	ds_load_b32 v10, v3 offset:32784
	s_wait_dscnt 0x0
	v_add_nc_u32_e32 v9, v10, v9
	s_or_b32 exec_lo, exec_lo, s17
	s_and_saveexec_b32 s17, s5
	s_cbranch_execnz .LBB11_63
.LBB11_47:                              ;   in Loop: Header=BB11_41 Depth=1
	s_or_b32 exec_lo, exec_lo, s17
	s_and_saveexec_b32 s17, s6
	s_cbranch_execz .LBB11_64
.LBB11_48:                              ;   in Loop: Header=BB11_41 Depth=1
	ds_load_b32 v10, v3 offset:32792
	s_wait_dscnt 0x0
	v_add_nc_u32_e32 v9, v10, v9
	s_or_b32 exec_lo, exec_lo, s17
	s_and_saveexec_b32 s17, s7
	s_cbranch_execnz .LBB11_65
.LBB11_49:                              ;   in Loop: Header=BB11_41 Depth=1
	s_or_b32 exec_lo, exec_lo, s17
	s_and_saveexec_b32 s17, s8
	s_cbranch_execz .LBB11_66
.LBB11_50:                              ;   in Loop: Header=BB11_41 Depth=1
	ds_load_b32 v10, v3 offset:32800
	s_wait_dscnt 0x0
	v_add_nc_u32_e32 v9, v10, v9
	s_or_b32 exec_lo, exec_lo, s17
	s_and_saveexec_b32 s17, s9
	s_cbranch_execnz .LBB11_67
.LBB11_51:                              ;   in Loop: Header=BB11_41 Depth=1
	s_or_b32 exec_lo, exec_lo, s17
	s_and_saveexec_b32 s17, s10
	s_cbranch_execz .LBB11_68
.LBB11_52:                              ;   in Loop: Header=BB11_41 Depth=1
	ds_load_b32 v10, v3 offset:32808
	s_wait_dscnt 0x0
	v_add_nc_u32_e32 v9, v10, v9
	s_or_b32 exec_lo, exec_lo, s17
	s_and_saveexec_b32 s17, s11
	s_cbranch_execnz .LBB11_69
.LBB11_53:                              ;   in Loop: Header=BB11_41 Depth=1
	s_or_b32 exec_lo, exec_lo, s17
	s_and_saveexec_b32 s17, s12
	s_cbranch_execz .LBB11_70
.LBB11_54:                              ;   in Loop: Header=BB11_41 Depth=1
	ds_load_b32 v10, v3 offset:32816
	s_wait_dscnt 0x0
	v_add_nc_u32_e32 v9, v10, v9
	s_or_b32 exec_lo, exec_lo, s17
	s_and_saveexec_b32 s17, s13
	s_cbranch_execnz .LBB11_71
.LBB11_55:                              ;   in Loop: Header=BB11_41 Depth=1
	s_or_b32 exec_lo, exec_lo, s17
	s_and_saveexec_b32 s17, s14
	s_cbranch_execz .LBB11_72
.LBB11_56:                              ;   in Loop: Header=BB11_41 Depth=1
	ds_load_b32 v10, v3 offset:32824
	s_wait_dscnt 0x0
	v_add_nc_u32_e32 v9, v10, v9
	s_or_b32 exec_lo, exec_lo, s17
	s_and_saveexec_b32 s17, s15
	s_cbranch_execnz .LBB11_73
.LBB11_57:                              ;   in Loop: Header=BB11_41 Depth=1
	s_or_b32 exec_lo, exec_lo, s17
	s_and_saveexec_b32 s15, vcc_lo
	s_cbranch_execz .LBB11_40
	s_branch .LBB11_74
.LBB11_58:                              ;   in Loop: Header=BB11_41 Depth=1
	s_or_b32 exec_lo, exec_lo, s17
	s_and_saveexec_b32 s17, s1
	s_cbranch_execz .LBB11_43
.LBB11_59:                              ;   in Loop: Header=BB11_41 Depth=1
	ds_load_b32 v10, v3 offset:32772
	s_wait_dscnt 0x0
	v_add_nc_u32_e32 v9, v10, v9
	s_or_b32 exec_lo, exec_lo, s17
	s_and_saveexec_b32 s17, s2
	s_cbranch_execnz .LBB11_44
.LBB11_60:                              ;   in Loop: Header=BB11_41 Depth=1
	s_or_b32 exec_lo, exec_lo, s17
	s_and_saveexec_b32 s17, s3
	s_cbranch_execz .LBB11_45
.LBB11_61:                              ;   in Loop: Header=BB11_41 Depth=1
	ds_load_b32 v10, v3 offset:32780
	s_wait_dscnt 0x0
	v_add_nc_u32_e32 v9, v10, v9
	s_or_b32 exec_lo, exec_lo, s17
	s_and_saveexec_b32 s17, s4
	s_cbranch_execnz .LBB11_46
.LBB11_62:                              ;   in Loop: Header=BB11_41 Depth=1
	s_or_b32 exec_lo, exec_lo, s17
	s_and_saveexec_b32 s17, s5
	s_cbranch_execz .LBB11_47
.LBB11_63:                              ;   in Loop: Header=BB11_41 Depth=1
	ds_load_b32 v10, v3 offset:32788
	s_wait_dscnt 0x0
	v_add_nc_u32_e32 v9, v10, v9
	s_or_b32 exec_lo, exec_lo, s17
	s_and_saveexec_b32 s17, s6
	s_cbranch_execnz .LBB11_48
.LBB11_64:                              ;   in Loop: Header=BB11_41 Depth=1
	s_or_b32 exec_lo, exec_lo, s17
	s_and_saveexec_b32 s17, s7
	s_cbranch_execz .LBB11_49
.LBB11_65:                              ;   in Loop: Header=BB11_41 Depth=1
	ds_load_b32 v10, v3 offset:32796
	s_wait_dscnt 0x0
	v_add_nc_u32_e32 v9, v10, v9
	s_or_b32 exec_lo, exec_lo, s17
	s_and_saveexec_b32 s17, s8
	s_cbranch_execnz .LBB11_50
.LBB11_66:                              ;   in Loop: Header=BB11_41 Depth=1
	s_or_b32 exec_lo, exec_lo, s17
	s_and_saveexec_b32 s17, s9
	s_cbranch_execz .LBB11_51
.LBB11_67:                              ;   in Loop: Header=BB11_41 Depth=1
	ds_load_b32 v10, v3 offset:32804
	s_wait_dscnt 0x0
	v_add_nc_u32_e32 v9, v10, v9
	s_or_b32 exec_lo, exec_lo, s17
	s_and_saveexec_b32 s17, s10
	s_cbranch_execnz .LBB11_52
.LBB11_68:                              ;   in Loop: Header=BB11_41 Depth=1
	s_or_b32 exec_lo, exec_lo, s17
	s_and_saveexec_b32 s17, s11
	s_cbranch_execz .LBB11_53
.LBB11_69:                              ;   in Loop: Header=BB11_41 Depth=1
	ds_load_b32 v10, v3 offset:32812
	s_wait_dscnt 0x0
	v_add_nc_u32_e32 v9, v10, v9
	s_or_b32 exec_lo, exec_lo, s17
	s_and_saveexec_b32 s17, s12
	s_cbranch_execnz .LBB11_54
.LBB11_70:                              ;   in Loop: Header=BB11_41 Depth=1
	s_or_b32 exec_lo, exec_lo, s17
	s_and_saveexec_b32 s17, s13
	s_cbranch_execz .LBB11_55
.LBB11_71:                              ;   in Loop: Header=BB11_41 Depth=1
	ds_load_b32 v10, v3 offset:32820
	s_wait_dscnt 0x0
	v_add_nc_u32_e32 v9, v10, v9
	s_or_b32 exec_lo, exec_lo, s17
	s_and_saveexec_b32 s17, s14
	s_cbranch_execnz .LBB11_56
.LBB11_72:                              ;   in Loop: Header=BB11_41 Depth=1
	s_or_b32 exec_lo, exec_lo, s17
	s_and_saveexec_b32 s17, s15
	s_cbranch_execz .LBB11_57
.LBB11_73:                              ;   in Loop: Header=BB11_41 Depth=1
	s_delay_alu instid0(VALU_DEP_1) | instskip(SKIP_1) | instid1(VALU_DEP_2)
	v_add3_u32 v10, v8, -1, v9
	v_add_nc_u32_e32 v11, v8, v9
	v_lshl_add_u32 v10, v10, 2, 0
	s_delay_alu instid0(VALU_DEP_2)
	v_lshl_add_u32 v11, v11, 2, 0
	ds_store_b32 v10, v4
	ds_store_b32 v11, v5 offset:16380
	s_or_b32 exec_lo, exec_lo, s17
	s_and_saveexec_b32 s15, vcc_lo
	s_cbranch_execz .LBB11_40
.LBB11_74:                              ;   in Loop: Header=BB11_41 Depth=1
	ds_store_b32 v3, v9 offset:32828
	s_branch .LBB11_40
.LBB11_75:
	s_or_b32 exec_lo, exec_lo, s16
	s_wait_kmcnt 0x0
	s_ashr_i32 s21, s20, 31
	s_delay_alu instid0(SALU_CYCLE_1) | instskip(NEXT) | instid1(SALU_CYCLE_1)
	s_lshl_b64 s[0:1], s[20:21], 2
	s_add_nc_u64 s[2:3], s[26:27], s[0:1]
	s_load_b64 s[0:1], s[2:3], 0x0
	s_wait_kmcnt 0x0
	s_sub_co_i32 s4, s1, s0
	s_mov_b32 s1, exec_lo
	v_cmpx_gt_i32_e64 s4, v0
	s_cbranch_execz .LBB11_89
; %bb.76:
	v_sub_co_u32 v1, s1, s4, 2
	s_sub_co_i32 s2, s0, s18
	s_xor_b32 s6, s1, -1
	s_and_b32 s5, s4, -2
	v_readfirstlane_b32 s3, v1
	s_lshr_b32 s0, s3, 1
	s_mov_b32 s3, 0
	s_add_co_i32 s0, s0, 1
	s_mov_b32 s11, s3
	s_and_b32 s1, s0, 7
	s_and_b32 s7, s0, -8
	s_cmp_lg_u32 s1, 0
	v_cmp_lt_u32_e64 s0, 13, v1
	s_cselect_b32 s8, -1, 0
	s_cmp_lg_u32 s4, s5
	s_cselect_b32 s9, -1, 0
	s_lshl_b32 s10, s1, 3
	s_branch .LBB11_78
.LBB11_77:                              ;   in Loop: Header=BB11_78 Depth=1
	v_add_nc_u32_e32 v0, 0x400, v0
	s_wait_dscnt 0x0
	global_store_b32 v1, v3, s[24:25] scale_offset
	v_cmp_le_i32_e32 vcc_lo, s4, v0
	s_or_b32 s11, vcc_lo, s11
	s_wait_xcnt 0x0
	s_and_not1_b32 exec_lo, exec_lo, s11
	s_cbranch_execz .LBB11_89
.LBB11_78:                              ; =>This Loop Header: Depth=1
                                        ;     Child Loop BB11_81 Depth 2
                                        ;     Child Loop BB11_84 Depth 2
	;; [unrolled: 1-line block ×3, first 2 shown]
	v_lshl_add_u32 v1, v0, 2, 0
	s_and_not1_b32 vcc_lo, exec_lo, s6
	s_mov_b32 s1, 0
	s_mov_b32 s12, -1
	ds_load_2addr_stride64_b32 v[2:3], v1 offset1:64
	v_mov_b32_e32 v1, s2
	s_cbranch_vccnz .LBB11_86
; %bb.79:                               ;   in Loop: Header=BB11_78 Depth=1
	v_mov_b64_e32 v[4:5], s[2:3]
	s_and_not1_b32 vcc_lo, exec_lo, s0
	s_mov_b32 s12, 0
	s_cbranch_vccnz .LBB11_82
; %bb.80:                               ;   in Loop: Header=BB11_78 Depth=1
	v_dual_mov_b32 v4, s2 :: v_dual_mov_b32 v5, 0
	s_mov_b32 s13, 0
	s_mov_b32 s14, s7
.LBB11_81:                              ;   Parent Loop BB11_78 Depth=1
                                        ; =>  This Inner Loop Header: Depth=2
	v_mov_b32_e32 v1, s13
	s_add_co_i32 s14, s14, -8
	s_add_co_i32 s12, s12, 16
	s_add_co_i32 s13, s13, 64
	s_cmp_lg_u32 s14, 0
	ds_load_2addr_b32 v[6:7], v1 offset1:1
	ds_load_2addr_b32 v[8:9], v1 offset0:2 offset1:3
	ds_load_2addr_b32 v[10:11], v1 offset0:4 offset1:5
	;; [unrolled: 1-line block ×7, first 2 shown]
	s_wait_dscnt 0x7
	v_cmp_gt_i32_e32 vcc_lo, v2, v7
	s_wait_dscnt 0x5
	v_cmp_gt_i32_e64 s1, v2, v10
	v_cndmask_b32_e64 v1, 0, 1, vcc_lo
	v_cmp_gt_i32_e32 vcc_lo, v2, v6
	s_delay_alu instid0(VALU_DEP_3) | instskip(SKIP_3) | instid1(VALU_DEP_3)
	v_cndmask_b32_e64 v7, 0, 1, s1
	v_cmp_gt_i32_e64 s1, v2, v11
	v_cndmask_b32_e64 v6, 0, 1, vcc_lo
	v_cmp_gt_i32_e32 vcc_lo, v2, v8
	v_cndmask_b32_e64 v8, 0, 1, s1
	s_wait_dscnt 0x4
	v_cmp_gt_i32_e64 s1, v2, v13
	v_add_co_ci_u32_e64 v4, null, v4, v6, vcc_lo
	s_delay_alu instid0(VALU_DEP_2) | instskip(SKIP_3) | instid1(VALU_DEP_2)
	v_cndmask_b32_e64 v10, 0, 1, s1
	v_cmp_gt_i32_e64 s1, v2, v12
	s_wait_dscnt 0x2
	v_cmp_gt_i32_e32 vcc_lo, v2, v16
	v_cndmask_b32_e64 v11, 0, 1, s1
	v_cmp_gt_i32_e64 s1, v2, v14
	v_add_co_ci_u32_e64 v4, null, v4, v7, vcc_lo
	s_wait_dscnt 0x1
	v_cmp_gt_i32_e32 vcc_lo, v2, v18
	s_delay_alu instid0(VALU_DEP_3) | instskip(SKIP_4) | instid1(VALU_DEP_3)
	v_cndmask_b32_e64 v12, 0, 1, s1
	v_cmp_gt_i32_e64 s1, v2, v15
	v_add_co_ci_u32_e64 v4, null, v4, v11, vcc_lo
	s_wait_dscnt 0x0
	v_cmp_gt_i32_e32 vcc_lo, v2, v20
	v_cndmask_b32_e64 v13, 0, 1, s1
	v_cmp_gt_i32_e64 s1, v2, v9
	v_add_co_ci_u32_e64 v4, null, v4, v12, vcc_lo
	s_delay_alu instid0(VALU_DEP_2) | instskip(SKIP_1) | instid1(VALU_DEP_1)
	v_add_co_ci_u32_e64 v1, null, v5, v1, s1
	v_cmp_gt_i32_e64 s1, v2, v17
	v_add_co_ci_u32_e64 v1, null, v1, v8, s1
	v_cmp_gt_i32_e64 s1, v2, v19
	s_delay_alu instid0(VALU_DEP_1) | instskip(SKIP_1) | instid1(VALU_DEP_1)
	v_add_co_ci_u32_e64 v1, null, v1, v10, s1
	v_cmp_gt_i32_e64 s1, v2, v21
	v_add_co_ci_u32_e64 v5, null, v1, v13, s1
	s_cbranch_scc1 .LBB11_81
.LBB11_82:                              ;   in Loop: Header=BB11_78 Depth=1
	s_and_not1_b32 vcc_lo, exec_lo, s8
	s_cbranch_vccnz .LBB11_85
; %bb.83:                               ;   in Loop: Header=BB11_78 Depth=1
	s_lshl_b32 s1, s12, 2
	s_mov_b32 s12, s10
	s_add_co_i32 s1, s1, 0
.LBB11_84:                              ;   Parent Loop BB11_78 Depth=1
                                        ; =>  This Inner Loop Header: Depth=2
	s_delay_alu instid0(SALU_CYCLE_1)
	v_mov_b32_e32 v1, s1
	s_add_co_i32 s12, s12, -8
	s_add_co_i32 s1, s1, 8
	s_cmp_lg_u32 s12, 0
	ds_load_2addr_b32 v[6:7], v1 offset1:1
	s_wait_dscnt 0x0
	v_cmp_gt_i32_e32 vcc_lo, v2, v7
	v_add_co_ci_u32_e64 v5, null, 0, v5, vcc_lo
	v_cmp_gt_i32_e32 vcc_lo, v2, v6
	v_add_co_ci_u32_e64 v4, null, 0, v4, vcc_lo
	s_cbranch_scc1 .LBB11_84
.LBB11_85:                              ;   in Loop: Header=BB11_78 Depth=1
	s_delay_alu instid0(VALU_DEP_1)
	v_add_nc_u32_e32 v1, v4, v5
	s_mov_b32 s1, s5
	s_mov_b32 s12, s9
.LBB11_86:                              ;   in Loop: Header=BB11_78 Depth=1
	s_delay_alu instid0(SALU_CYCLE_1)
	s_and_b32 vcc_lo, exec_lo, s12
	s_cbranch_vccz .LBB11_77
; %bb.87:                               ;   in Loop: Header=BB11_78 Depth=1
	s_lshl_b32 s12, s1, 2
	s_delay_alu instid0(SALU_CYCLE_1)
	s_add_co_i32 s12, s12, 0
.LBB11_88:                              ;   Parent Loop BB11_78 Depth=1
                                        ; =>  This Inner Loop Header: Depth=2
	s_delay_alu instid0(SALU_CYCLE_1)
	v_mov_b32_e32 v4, s12
	s_add_co_i32 s1, s1, 1
	s_add_co_i32 s12, s12, 4
	s_cmp_ge_i32 s1, s4
	ds_load_b32 v4, v4
	s_wait_dscnt 0x0
	v_cmp_gt_i32_e32 vcc_lo, v2, v4
	v_add_co_ci_u32_e64 v1, null, 0, v1, vcc_lo
	s_cbranch_scc0 .LBB11_88
	s_branch .LBB11_77
.LBB11_89:
	s_endpgm
	.section	.rodata,"a",@progbits
	.p2align	6, 0x0
	.amdhsa_kernel _ZN9rocsparseL41csrgemm_numeric_fill_block_per_row_kernelILj1024ELj64ELj4096ELj137ELj64EiifEEvT5_PKS1_S3_NS_24const_host_device_scalarIT6_EEPKT4_S3_PKS5_S9_S3_SB_S6_S9_S3_SB_S9_S3_PS5_21rocsparse_index_base_SD_SD_SD_bbb
		.amdhsa_group_segment_fixed_size 0
		.amdhsa_private_segment_fixed_size 0
		.amdhsa_kernarg_size 156
		.amdhsa_user_sgpr_count 2
		.amdhsa_user_sgpr_dispatch_ptr 0
		.amdhsa_user_sgpr_queue_ptr 0
		.amdhsa_user_sgpr_kernarg_segment_ptr 1
		.amdhsa_user_sgpr_dispatch_id 0
		.amdhsa_user_sgpr_kernarg_preload_length 0
		.amdhsa_user_sgpr_kernarg_preload_offset 0
		.amdhsa_user_sgpr_private_segment_size 0
		.amdhsa_wavefront_size32 1
		.amdhsa_uses_dynamic_stack 0
		.amdhsa_enable_private_segment 0
		.amdhsa_system_sgpr_workgroup_id_x 1
		.amdhsa_system_sgpr_workgroup_id_y 0
		.amdhsa_system_sgpr_workgroup_id_z 0
		.amdhsa_system_sgpr_workgroup_info 0
		.amdhsa_system_vgpr_workitem_id 0
		.amdhsa_next_free_vgpr 22
		.amdhsa_next_free_sgpr 40
		.amdhsa_named_barrier_count 0
		.amdhsa_reserve_vcc 1
		.amdhsa_float_round_mode_32 0
		.amdhsa_float_round_mode_16_64 0
		.amdhsa_float_denorm_mode_32 3
		.amdhsa_float_denorm_mode_16_64 3
		.amdhsa_fp16_overflow 0
		.amdhsa_memory_ordered 1
		.amdhsa_forward_progress 1
		.amdhsa_inst_pref_size 27
		.amdhsa_round_robin_scheduling 0
		.amdhsa_exception_fp_ieee_invalid_op 0
		.amdhsa_exception_fp_denorm_src 0
		.amdhsa_exception_fp_ieee_div_zero 0
		.amdhsa_exception_fp_ieee_overflow 0
		.amdhsa_exception_fp_ieee_underflow 0
		.amdhsa_exception_fp_ieee_inexact 0
		.amdhsa_exception_int_div_zero 0
	.end_amdhsa_kernel
	.section	.text._ZN9rocsparseL41csrgemm_numeric_fill_block_per_row_kernelILj1024ELj64ELj4096ELj137ELj64EiifEEvT5_PKS1_S3_NS_24const_host_device_scalarIT6_EEPKT4_S3_PKS5_S9_S3_SB_S6_S9_S3_SB_S9_S3_PS5_21rocsparse_index_base_SD_SD_SD_bbb,"axG",@progbits,_ZN9rocsparseL41csrgemm_numeric_fill_block_per_row_kernelILj1024ELj64ELj4096ELj137ELj64EiifEEvT5_PKS1_S3_NS_24const_host_device_scalarIT6_EEPKT4_S3_PKS5_S9_S3_SB_S6_S9_S3_SB_S9_S3_PS5_21rocsparse_index_base_SD_SD_SD_bbb,comdat
.Lfunc_end11:
	.size	_ZN9rocsparseL41csrgemm_numeric_fill_block_per_row_kernelILj1024ELj64ELj4096ELj137ELj64EiifEEvT5_PKS1_S3_NS_24const_host_device_scalarIT6_EEPKT4_S3_PKS5_S9_S3_SB_S6_S9_S3_SB_S9_S3_PS5_21rocsparse_index_base_SD_SD_SD_bbb, .Lfunc_end11-_ZN9rocsparseL41csrgemm_numeric_fill_block_per_row_kernelILj1024ELj64ELj4096ELj137ELj64EiifEEvT5_PKS1_S3_NS_24const_host_device_scalarIT6_EEPKT4_S3_PKS5_S9_S3_SB_S6_S9_S3_SB_S9_S3_PS5_21rocsparse_index_base_SD_SD_SD_bbb
                                        ; -- End function
	.set _ZN9rocsparseL41csrgemm_numeric_fill_block_per_row_kernelILj1024ELj64ELj4096ELj137ELj64EiifEEvT5_PKS1_S3_NS_24const_host_device_scalarIT6_EEPKT4_S3_PKS5_S9_S3_SB_S6_S9_S3_SB_S9_S3_PS5_21rocsparse_index_base_SD_SD_SD_bbb.num_vgpr, 22
	.set _ZN9rocsparseL41csrgemm_numeric_fill_block_per_row_kernelILj1024ELj64ELj4096ELj137ELj64EiifEEvT5_PKS1_S3_NS_24const_host_device_scalarIT6_EEPKT4_S3_PKS5_S9_S3_SB_S6_S9_S3_SB_S9_S3_PS5_21rocsparse_index_base_SD_SD_SD_bbb.num_agpr, 0
	.set _ZN9rocsparseL41csrgemm_numeric_fill_block_per_row_kernelILj1024ELj64ELj4096ELj137ELj64EiifEEvT5_PKS1_S3_NS_24const_host_device_scalarIT6_EEPKT4_S3_PKS5_S9_S3_SB_S6_S9_S3_SB_S9_S3_PS5_21rocsparse_index_base_SD_SD_SD_bbb.numbered_sgpr, 40
	.set _ZN9rocsparseL41csrgemm_numeric_fill_block_per_row_kernelILj1024ELj64ELj4096ELj137ELj64EiifEEvT5_PKS1_S3_NS_24const_host_device_scalarIT6_EEPKT4_S3_PKS5_S9_S3_SB_S6_S9_S3_SB_S9_S3_PS5_21rocsparse_index_base_SD_SD_SD_bbb.num_named_barrier, 0
	.set _ZN9rocsparseL41csrgemm_numeric_fill_block_per_row_kernelILj1024ELj64ELj4096ELj137ELj64EiifEEvT5_PKS1_S3_NS_24const_host_device_scalarIT6_EEPKT4_S3_PKS5_S9_S3_SB_S6_S9_S3_SB_S9_S3_PS5_21rocsparse_index_base_SD_SD_SD_bbb.private_seg_size, 0
	.set _ZN9rocsparseL41csrgemm_numeric_fill_block_per_row_kernelILj1024ELj64ELj4096ELj137ELj64EiifEEvT5_PKS1_S3_NS_24const_host_device_scalarIT6_EEPKT4_S3_PKS5_S9_S3_SB_S6_S9_S3_SB_S9_S3_PS5_21rocsparse_index_base_SD_SD_SD_bbb.uses_vcc, 1
	.set _ZN9rocsparseL41csrgemm_numeric_fill_block_per_row_kernelILj1024ELj64ELj4096ELj137ELj64EiifEEvT5_PKS1_S3_NS_24const_host_device_scalarIT6_EEPKT4_S3_PKS5_S9_S3_SB_S6_S9_S3_SB_S9_S3_PS5_21rocsparse_index_base_SD_SD_SD_bbb.uses_flat_scratch, 0
	.set _ZN9rocsparseL41csrgemm_numeric_fill_block_per_row_kernelILj1024ELj64ELj4096ELj137ELj64EiifEEvT5_PKS1_S3_NS_24const_host_device_scalarIT6_EEPKT4_S3_PKS5_S9_S3_SB_S6_S9_S3_SB_S9_S3_PS5_21rocsparse_index_base_SD_SD_SD_bbb.has_dyn_sized_stack, 0
	.set _ZN9rocsparseL41csrgemm_numeric_fill_block_per_row_kernelILj1024ELj64ELj4096ELj137ELj64EiifEEvT5_PKS1_S3_NS_24const_host_device_scalarIT6_EEPKT4_S3_PKS5_S9_S3_SB_S6_S9_S3_SB_S9_S3_PS5_21rocsparse_index_base_SD_SD_SD_bbb.has_recursion, 0
	.set _ZN9rocsparseL41csrgemm_numeric_fill_block_per_row_kernelILj1024ELj64ELj4096ELj137ELj64EiifEEvT5_PKS1_S3_NS_24const_host_device_scalarIT6_EEPKT4_S3_PKS5_S9_S3_SB_S6_S9_S3_SB_S9_S3_PS5_21rocsparse_index_base_SD_SD_SD_bbb.has_indirect_call, 0
	.section	.AMDGPU.csdata,"",@progbits
; Kernel info:
; codeLenInByte = 3360
; TotalNumSgprs: 42
; NumVgprs: 22
; ScratchSize: 0
; MemoryBound: 0
; FloatMode: 240
; IeeeMode: 1
; LDSByteSize: 0 bytes/workgroup (compile time only)
; SGPRBlocks: 0
; VGPRBlocks: 1
; NumSGPRsForWavesPerEU: 42
; NumVGPRsForWavesPerEU: 22
; NamedBarCnt: 0
; Occupancy: 16
; WaveLimiterHint : 1
; COMPUTE_PGM_RSRC2:SCRATCH_EN: 0
; COMPUTE_PGM_RSRC2:USER_SGPR: 2
; COMPUTE_PGM_RSRC2:TRAP_HANDLER: 0
; COMPUTE_PGM_RSRC2:TGID_X_EN: 1
; COMPUTE_PGM_RSRC2:TGID_Y_EN: 0
; COMPUTE_PGM_RSRC2:TGID_Z_EN: 0
; COMPUTE_PGM_RSRC2:TIDIG_COMP_CNT: 0
	.section	.text._ZN9rocsparseL41csrgemm_numeric_fill_block_per_row_kernelILj1024ELj64ELj8192ELj137ELj32EiifEEvT5_PKS1_S3_NS_24const_host_device_scalarIT6_EEPKT4_S3_PKS5_S9_S3_SB_S6_S9_S3_SB_S9_S3_PS5_21rocsparse_index_base_SD_SD_SD_bbb,"axG",@progbits,_ZN9rocsparseL41csrgemm_numeric_fill_block_per_row_kernelILj1024ELj64ELj8192ELj137ELj32EiifEEvT5_PKS1_S3_NS_24const_host_device_scalarIT6_EEPKT4_S3_PKS5_S9_S3_SB_S6_S9_S3_SB_S9_S3_PS5_21rocsparse_index_base_SD_SD_SD_bbb,comdat
	.globl	_ZN9rocsparseL41csrgemm_numeric_fill_block_per_row_kernelILj1024ELj64ELj8192ELj137ELj32EiifEEvT5_PKS1_S3_NS_24const_host_device_scalarIT6_EEPKT4_S3_PKS5_S9_S3_SB_S6_S9_S3_SB_S9_S3_PS5_21rocsparse_index_base_SD_SD_SD_bbb ; -- Begin function _ZN9rocsparseL41csrgemm_numeric_fill_block_per_row_kernelILj1024ELj64ELj8192ELj137ELj32EiifEEvT5_PKS1_S3_NS_24const_host_device_scalarIT6_EEPKT4_S3_PKS5_S9_S3_SB_S6_S9_S3_SB_S9_S3_PS5_21rocsparse_index_base_SD_SD_SD_bbb
	.p2align	8
	.type	_ZN9rocsparseL41csrgemm_numeric_fill_block_per_row_kernelILj1024ELj64ELj8192ELj137ELj32EiifEEvT5_PKS1_S3_NS_24const_host_device_scalarIT6_EEPKT4_S3_PKS5_S9_S3_SB_S6_S9_S3_SB_S9_S3_PS5_21rocsparse_index_base_SD_SD_SD_bbb,@function
_ZN9rocsparseL41csrgemm_numeric_fill_block_per_row_kernelILj1024ELj64ELj8192ELj137ELj32EiifEEvT5_PKS1_S3_NS_24const_host_device_scalarIT6_EEPKT4_S3_PKS5_S9_S3_SB_S6_S9_S3_SB_S9_S3_PS5_21rocsparse_index_base_SD_SD_SD_bbb: ; @_ZN9rocsparseL41csrgemm_numeric_fill_block_per_row_kernelILj1024ELj64ELj8192ELj137ELj32EiifEEvT5_PKS1_S3_NS_24const_host_device_scalarIT6_EEPKT4_S3_PKS5_S9_S3_SB_S6_S9_S3_SB_S9_S3_PS5_21rocsparse_index_base_SD_SD_SD_bbb
; %bb.0:
	s_clause 0x4
	s_load_b32 s11, s[0:1], 0x98
	s_load_b64 s[8:9], s[0:1], 0x18
	s_load_b128 s[4:7], s[0:1], 0x8
	s_load_b128 s[36:39], s[0:1], 0x88
	s_load_b64 s[2:3], s[0:1], 0x50
	s_wait_kmcnt 0x0
	s_and_b32 s10, 1, s11
	s_bitcmp1_b32 s11, 16
	s_cselect_b32 s15, -1, 0
	s_cmp_eq_u32 s10, 1
	s_cselect_b32 s10, -1, 0
	s_delay_alu instid0(SALU_CYCLE_1) | instskip(SKIP_2) | instid1(SALU_CYCLE_1)
	s_and_b32 s12, s10, exec_lo
	s_cselect_b32 s13, s8, 0
	s_xor_b32 s12, s10, -1
	s_or_b32 s12, s15, s12
	s_delay_alu instid0(SALU_CYCLE_1)
	s_and_b32 vcc_lo, exec_lo, s12
	s_cbranch_vccnz .LBB12_2
; %bb.1:
	s_load_b32 s13, s[8:9], 0x0
.LBB12_2:
	s_bitcmp1_b32 s11, 8
	s_cselect_b32 s14, -1, 0
	s_wait_xcnt 0x0
	s_and_b32 s8, s14, exec_lo
	s_cselect_b32 s12, s2, 0
	s_xor_b32 s8, s14, -1
	s_delay_alu instid0(SALU_CYCLE_1) | instskip(NEXT) | instid1(SALU_CYCLE_1)
	s_or_b32 s8, s15, s8
	s_and_b32 vcc_lo, exec_lo, s8
	s_cbranch_vccnz .LBB12_4
; %bb.3:
	s_load_b32 s12, s[2:3], 0x0
.LBB12_4:
	s_load_b32 s33, s[0:1], 0x0
	v_lshl_add_u32 v1, v0, 2, 0
	v_mov_b32_e32 v2, 0
	s_wait_xcnt 0x0
	s_bfe_u32 s3, ttmp6, 0x4000c
	s_delay_alu instid0(SALU_CYCLE_1) | instskip(NEXT) | instid1(SALU_CYCLE_1)
	s_add_co_i32 s3, s3, 1
	s_mul_i32 s3, ttmp9, s3
	s_wait_kmcnt 0x0
	v_dual_mov_b32 v3, s33 :: v_dual_mov_b32 v4, s33
	v_dual_mov_b32 v5, s33 :: v_dual_mov_b32 v6, s33
	;; [unrolled: 1-line block ×4, first 2 shown]
	ds_store_2addr_stride64_b32 v1, v2, v2 offset0:128 offset1:144
	ds_store_2addr_stride64_b32 v1, v2, v2 offset0:160 offset1:176
	;; [unrolled: 1-line block ×4, first 2 shown]
	ds_store_2addr_stride64_b32 v1, v3, v4 offset1:16
	ds_store_2addr_stride64_b32 v1, v5, v6 offset0:32 offset1:48
	ds_store_2addr_stride64_b32 v1, v7, v8 offset0:64 offset1:80
	;; [unrolled: 1-line block ×3, first 2 shown]
	s_wait_dscnt 0x0
	s_barrier_signal -1
	s_barrier_wait -1
	s_load_b32 s2, s[4:5], 0x0
	s_wait_xcnt 0x0
	s_and_b32 s4, ttmp6, 15
	s_getreg_b32 s5, hwreg(HW_REG_IB_STS2, 6, 4)
	s_add_co_i32 s4, s4, s3
	s_cmp_eq_u32 s5, 0
	s_cselect_b32 s3, ttmp9, s4
	s_and_not1_b32 vcc_lo, exec_lo, s10
	s_wait_kmcnt 0x0
	s_add_co_i32 s2, s2, s3
	s_load_b32 s40, s[6:7], s2 offset:0x0 scale_offset
	s_cbranch_vccnz .LBB12_22
; %bb.5:
	s_wait_xcnt 0x0
	s_load_b64 s[2:3], s[0:1], 0x20
	s_wait_kmcnt 0x0
	s_ashr_i32 s41, s40, 31
	v_lshrrev_b32_e32 v2, 6, v0
	s_lshl_b64 s[4:5], s[40:41], 2
	s_mov_b32 s16, exec_lo
	s_delay_alu instid0(VALU_DEP_1) | instskip(SKIP_3) | instid1(VALU_DEP_1)
	v_subrev_nc_u32_e32 v2, s36, v2
	s_add_nc_u64 s[2:3], s[2:3], s[4:5]
	s_load_b64 s[4:5], s[2:3], 0x0
	s_wait_kmcnt 0x0
	v_add_nc_u32_e32 v2, s4, v2
	s_sub_co_i32 s15, s5, s36
	s_delay_alu instid0(VALU_DEP_1) | instid1(SALU_CYCLE_1)
	v_cmpx_gt_i32_e64 s15, v2
	s_cbranch_execz .LBB12_21
; %bb.6:
	s_clause 0x1
	s_load_b64 s[2:3], s[0:1], 0x48
	s_load_b256 s[4:11], s[0:1], 0x28
	v_and_b32_e32 v3, 63, v0
	s_mov_b32 s17, 0
	s_delay_alu instid0(VALU_DEP_1)
	v_subrev_nc_u32_e32 v4, s37, v3
	s_branch .LBB12_8
.LBB12_7:                               ;   in Loop: Header=BB12_8 Depth=1
	s_or_b32 exec_lo, exec_lo, s18
	v_add_nc_u32_e32 v2, 16, v2
	s_delay_alu instid0(VALU_DEP_1) | instskip(SKIP_1) | instid1(SALU_CYCLE_1)
	v_cmp_le_i32_e32 vcc_lo, s15, v2
	s_or_b32 s17, vcc_lo, s17
	s_and_not1_b32 exec_lo, exec_lo, s17
	s_cbranch_execz .LBB12_21
.LBB12_8:                               ; =>This Loop Header: Depth=1
                                        ;     Child Loop BB12_12 Depth 2
                                        ;       Child Loop BB12_15 Depth 3
	s_wait_kmcnt 0x0
	global_load_b32 v3, v2, s[4:5] scale_offset
	s_mov_b32 s18, exec_lo
	s_wait_loadcnt 0x0
	v_subrev_nc_u32_e32 v6, s36, v3
	s_delay_alu instid0(VALU_DEP_1) | instskip(NEXT) | instid1(VALU_DEP_1)
	v_ashrrev_i32_e32 v7, 31, v6
	v_lshl_add_u64 v[6:7], v[6:7], 2, s[8:9]
	global_load_b64 v[6:7], v[6:7], off
	s_wait_loadcnt 0x0
	v_subrev_nc_u32_e32 v5, s37, v7
	s_wait_xcnt 0x0
	v_add_nc_u32_e32 v6, v6, v4
	s_delay_alu instid0(VALU_DEP_1)
	v_cmpx_lt_i32_e64 v6, v5
	s_cbranch_execz .LBB12_7
; %bb.9:                                ;   in Loop: Header=BB12_8 Depth=1
	v_ashrrev_i32_e32 v3, 31, v2
	s_mov_b32 s19, 0
	s_delay_alu instid0(VALU_DEP_1)
	v_lshl_add_u64 v[8:9], v[2:3], 2, s[6:7]
	global_load_b32 v3, v[8:9], off
	s_wait_loadcnt 0x0
	v_mul_f32_e32 v3, s13, v3
	s_branch .LBB12_12
.LBB12_10:                              ;   in Loop: Header=BB12_12 Depth=2
	s_or_b32 exec_lo, exec_lo, s21
.LBB12_11:                              ;   in Loop: Header=BB12_12 Depth=2
	s_delay_alu instid0(SALU_CYCLE_1) | instskip(SKIP_3) | instid1(VALU_DEP_2)
	s_or_b32 exec_lo, exec_lo, s20
	s_wait_loadcnt 0x0
	v_dual_mul_f32 v7, v3, v7 :: v_dual_add_nc_u32 v6, 64, v6
	v_lshl_add_u32 v8, v8, 2, 0
	v_cmp_ge_i32_e32 vcc_lo, v6, v5
	ds_add_f32 v8, v7 offset:32768
	s_or_b32 s19, vcc_lo, s19
	s_delay_alu instid0(SALU_CYCLE_1)
	s_and_not1_b32 exec_lo, exec_lo, s19
	s_cbranch_execz .LBB12_7
.LBB12_12:                              ;   Parent Loop BB12_8 Depth=1
                                        ; =>  This Loop Header: Depth=2
                                        ;       Child Loop BB12_15 Depth 3
	s_clause 0x1
	global_load_b32 v8, v6, s[10:11] scale_offset
	global_load_b32 v7, v6, s[2:3] scale_offset
	s_mov_b32 s20, exec_lo
	s_wait_loadcnt 0x1
	v_subrev_nc_u32_e32 v9, s37, v8
	s_delay_alu instid0(VALU_DEP_1) | instskip(NEXT) | instid1(VALU_DEP_1)
	v_mul_lo_u32 v8, 0x89, v9
	v_and_b32_e32 v8, 0x1fff, v8
	s_delay_alu instid0(VALU_DEP_1)
	v_lshl_add_u32 v10, v8, 2, 0
	ds_load_b32 v11, v10
	s_wait_dscnt 0x0
	s_wait_xcnt 0x0
	v_cmpx_ne_u32_e64 v11, v9
	s_cbranch_execz .LBB12_11
; %bb.13:                               ;   in Loop: Header=BB12_12 Depth=2
	s_mov_b32 s21, 0
	s_branch .LBB12_15
.LBB12_14:                              ;   in Loop: Header=BB12_15 Depth=3
	s_or_b32 exec_lo, exec_lo, s24
	s_delay_alu instid0(SALU_CYCLE_1) | instskip(NEXT) | instid1(SALU_CYCLE_1)
	s_and_b32 s22, exec_lo, s23
	s_or_b32 s21, s22, s21
	s_delay_alu instid0(SALU_CYCLE_1)
	s_and_not1_b32 exec_lo, exec_lo, s21
	s_cbranch_execz .LBB12_10
.LBB12_15:                              ;   Parent Loop BB12_8 Depth=1
                                        ;     Parent Loop BB12_12 Depth=2
                                        ; =>    This Inner Loop Header: Depth=3
	s_mov_b32 s22, 0
	s_mov_b32 s23, exec_lo
	v_cmpx_ne_u32_e64 s33, v11
	s_xor_b32 s23, exec_lo, s23
	s_cbranch_execz .LBB12_17
; %bb.16:                               ;   in Loop: Header=BB12_15 Depth=3
	v_add_nc_u32_e32 v8, 1, v8
	s_mov_b32 s22, exec_lo
                                        ; implicit-def: $vgpr10
	s_delay_alu instid0(VALU_DEP_1)
	v_and_b32_e32 v8, 0x1fff, v8
	s_and_not1_saveexec_b32 s23, s23
	s_cbranch_execz .LBB12_19
	s_branch .LBB12_18
.LBB12_17:                              ;   in Loop: Header=BB12_15 Depth=3
	s_and_not1_saveexec_b32 s23, s23
	s_cbranch_execz .LBB12_19
.LBB12_18:                              ;   in Loop: Header=BB12_15 Depth=3
	v_mov_b32_e32 v11, s33
	s_and_not1_b32 s22, s22, exec_lo
	ds_cmpstore_rtn_b32 v10, v10, v9, v11
	s_wait_dscnt 0x0
	v_cmp_ne_u32_e32 vcc_lo, s33, v10
	s_and_b32 s24, vcc_lo, exec_lo
	s_delay_alu instid0(SALU_CYCLE_1)
	s_or_b32 s22, s22, s24
.LBB12_19:                              ;   in Loop: Header=BB12_15 Depth=3
	s_or_b32 exec_lo, exec_lo, s23
	s_mov_b32 s23, -1
                                        ; implicit-def: $vgpr10
                                        ; implicit-def: $vgpr11
	s_and_saveexec_b32 s24, s22
	s_cbranch_execz .LBB12_14
; %bb.20:                               ;   in Loop: Header=BB12_15 Depth=3
	v_lshl_add_u32 v10, v8, 2, 0
	ds_load_b32 v11, v10
	s_wait_dscnt 0x0
	v_cmp_eq_u32_e32 vcc_lo, v11, v9
	s_or_not1_b32 s23, vcc_lo, exec_lo
	s_branch .LBB12_14
.LBB12_21:
	s_or_b32 exec_lo, exec_lo, s16
.LBB12_22:
	s_load_b64 s[34:35], s[0:1], 0x80
	s_and_not1_b32 vcc_lo, exec_lo, s14
	s_cbranch_vccnz .LBB12_37
; %bb.23:
	s_wait_xcnt 0x0
	s_load_b64 s[2:3], s[0:1], 0x58
	s_wait_kmcnt 0x0
	s_ashr_i32 s41, s40, 31
	v_subrev_nc_u32_e32 v2, s39, v0
	s_lshl_b64 s[4:5], s[40:41], 2
	s_delay_alu instid0(SALU_CYCLE_1)
	s_add_nc_u64 s[2:3], s[2:3], s[4:5]
	s_load_b64 s[4:5], s[2:3], 0x0
	s_wait_xcnt 0x0
	s_mov_b32 s3, exec_lo
	s_wait_kmcnt 0x0
	v_add_nc_u32_e32 v2, s4, v2
	s_sub_co_i32 s2, s5, s39
	s_delay_alu instid0(VALU_DEP_1) | instid1(SALU_CYCLE_1)
	v_cmpx_gt_i32_e64 s2, v2
	s_cbranch_execz .LBB12_36
; %bb.24:
	s_load_b128 s[4:7], s[0:1], 0x60
	s_mov_b32 s8, 0
	s_branch .LBB12_27
.LBB12_25:                              ;   in Loop: Header=BB12_27 Depth=1
	s_or_b32 exec_lo, exec_lo, s10
.LBB12_26:                              ;   in Loop: Header=BB12_27 Depth=1
	s_delay_alu instid0(SALU_CYCLE_1) | instskip(SKIP_3) | instid1(VALU_DEP_2)
	s_or_b32 exec_lo, exec_lo, s9
	s_wait_loadcnt 0x0
	v_dual_mul_f32 v3, s12, v3 :: v_dual_add_nc_u32 v2, 0x400, v2
	v_lshl_add_u32 v4, v4, 2, 0
	v_cmp_le_i32_e32 vcc_lo, s2, v2
	ds_add_f32 v4, v3 offset:32768
	s_or_b32 s8, vcc_lo, s8
	s_delay_alu instid0(SALU_CYCLE_1)
	s_and_not1_b32 exec_lo, exec_lo, s8
	s_cbranch_execz .LBB12_36
.LBB12_27:                              ; =>This Loop Header: Depth=1
                                        ;     Child Loop BB12_30 Depth 2
	s_wait_kmcnt 0x0
	s_clause 0x1
	global_load_b32 v4, v2, s[4:5] scale_offset
	global_load_b32 v3, v2, s[6:7] scale_offset
	s_mov_b32 s9, exec_lo
	s_wait_loadcnt 0x1
	v_subrev_nc_u32_e32 v5, s39, v4
	s_delay_alu instid0(VALU_DEP_1) | instskip(NEXT) | instid1(VALU_DEP_1)
	v_mul_lo_u32 v4, 0x89, v5
	v_and_b32_e32 v4, 0x1fff, v4
	s_delay_alu instid0(VALU_DEP_1)
	v_lshl_add_u32 v6, v4, 2, 0
	ds_load_b32 v7, v6
	s_wait_dscnt 0x0
	s_wait_xcnt 0x0
	v_cmpx_ne_u32_e64 v7, v5
	s_cbranch_execz .LBB12_26
; %bb.28:                               ;   in Loop: Header=BB12_27 Depth=1
	s_mov_b32 s10, 0
	s_branch .LBB12_30
.LBB12_29:                              ;   in Loop: Header=BB12_30 Depth=2
	s_or_b32 exec_lo, exec_lo, s14
	s_delay_alu instid0(SALU_CYCLE_1) | instskip(NEXT) | instid1(SALU_CYCLE_1)
	s_and_b32 s11, exec_lo, s13
	s_or_b32 s10, s11, s10
	s_delay_alu instid0(SALU_CYCLE_1)
	s_and_not1_b32 exec_lo, exec_lo, s10
	s_cbranch_execz .LBB12_25
.LBB12_30:                              ;   Parent Loop BB12_27 Depth=1
                                        ; =>  This Inner Loop Header: Depth=2
	s_mov_b32 s11, 0
	s_mov_b32 s13, exec_lo
	v_cmpx_ne_u32_e64 s33, v7
	s_xor_b32 s13, exec_lo, s13
	s_cbranch_execz .LBB12_32
; %bb.31:                               ;   in Loop: Header=BB12_30 Depth=2
	v_add_nc_u32_e32 v4, 1, v4
	s_mov_b32 s11, exec_lo
                                        ; implicit-def: $vgpr6
	s_delay_alu instid0(VALU_DEP_1)
	v_and_b32_e32 v4, 0x1fff, v4
	s_and_not1_saveexec_b32 s13, s13
	s_cbranch_execz .LBB12_34
	s_branch .LBB12_33
.LBB12_32:                              ;   in Loop: Header=BB12_30 Depth=2
	s_and_not1_saveexec_b32 s13, s13
	s_cbranch_execz .LBB12_34
.LBB12_33:                              ;   in Loop: Header=BB12_30 Depth=2
	v_mov_b32_e32 v7, s33
	s_and_not1_b32 s11, s11, exec_lo
	ds_cmpstore_rtn_b32 v6, v6, v5, v7
	s_wait_dscnt 0x0
	v_cmp_ne_u32_e32 vcc_lo, s33, v6
	s_and_b32 s14, vcc_lo, exec_lo
	s_delay_alu instid0(SALU_CYCLE_1)
	s_or_b32 s11, s11, s14
.LBB12_34:                              ;   in Loop: Header=BB12_30 Depth=2
	s_or_b32 exec_lo, exec_lo, s13
	s_mov_b32 s13, -1
                                        ; implicit-def: $vgpr6
                                        ; implicit-def: $vgpr7
	s_and_saveexec_b32 s14, s11
	s_cbranch_execz .LBB12_29
; %bb.35:                               ;   in Loop: Header=BB12_30 Depth=2
	v_lshl_add_u32 v6, v4, 2, 0
	ds_load_b32 v7, v6
	s_wait_dscnt 0x0
	v_cmp_eq_u32_e32 vcc_lo, v7, v5
	s_or_not1_b32 s13, vcc_lo, exec_lo
	s_branch .LBB12_29
.LBB12_36:
	s_or_b32 exec_lo, exec_lo, s3
.LBB12_37:
	s_load_b64 s[36:37], s[0:1], 0x70
	v_mbcnt_lo_u32_b32 v2, -1, 0
	v_lshrrev_b32_e32 v3, 3, v0
	s_wait_xcnt 0x0
	v_cmp_lt_u32_e64 s0, 31, v0
	v_cmp_lt_u32_e64 s1, 63, v0
	v_cmp_lt_u32_e64 s2, 0x5f, v0
	v_xor_b32_e32 v2, 31, v2
	v_and_b32_e32 v4, 0x7c, v3
	v_mov_b32_e32 v3, 0
	v_cmp_lt_u32_e64 s3, 0x7f, v0
	v_cmp_lt_u32_e64 s4, 0x9f, v0
	v_lshrrev_b32_e64 v2, v2, -1
	v_add3_u32 v6, 0x10000, 0, v4
	v_cmp_lt_u32_e64 s5, 0xbf, v0
	v_cmp_lt_u32_e64 s6, 0xdf, v0
	v_cmp_lt_u32_e64 s7, 0xff, v0
	v_cmp_lt_u32_e64 s8, 0x11f, v0
	v_cmp_lt_u32_e64 s9, 0x13f, v0
	v_cmp_lt_u32_e64 s10, 0x15f, v0
	v_cmp_lt_u32_e64 s11, 0x17f, v0
	v_cmp_lt_u32_e64 s12, 0x19f, v0
	v_cmp_lt_u32_e64 s13, 0x1bf, v0
	v_cmp_lt_u32_e64 s14, 0x1df, v0
	v_cmp_lt_u32_e64 s15, 0x1ff, v0
	v_cmp_lt_u32_e64 s16, 0x21f, v0
	v_cmp_lt_u32_e64 s17, 0x23f, v0
	v_cmp_lt_u32_e64 s18, 0x25f, v0
	v_cmp_lt_u32_e64 s19, 0x27f, v0
	v_cmp_lt_u32_e64 s20, 0x29f, v0
	v_cmp_lt_u32_e64 s21, 0x2bf, v0
	v_cmp_lt_u32_e64 s22, 0x2df, v0
	v_cmp_lt_u32_e64 s23, 0x2ff, v0
	v_cmp_lt_u32_e64 s24, 0x31f, v0
	v_cmp_lt_u32_e64 s25, 0x33f, v0
	v_cmp_lt_u32_e64 s26, 0x35f, v0
	v_cmp_lt_u32_e64 s27, 0x37f, v0
	v_cmp_lt_u32_e64 s28, 0x39f, v0
	v_cmp_lt_u32_e64 s29, 0x3bf, v0
	v_cmp_lt_u32_e64 s30, 0x3df, v0
	v_or_b32_e32 v7, 0xfffffc00, v0
	s_mov_b32 s39, 0
	s_add_co_i32 s41, 0, 0x10000
	s_add_co_i32 s42, 0, 0x10004
	;; [unrolled: 1-line block ×32, first 2 shown]
	s_wait_dscnt 0x0
	s_barrier_signal -1
	s_barrier_wait -1
	v_cmp_eq_u32_e32 vcc_lo, 0x3ff, v0
	s_branch .LBB12_39
.LBB12_38:                              ;   in Loop: Header=BB12_39 Depth=1
	s_or_b32 exec_lo, exec_lo, s31
	v_dual_mov_b32 v4, s72 :: v_dual_add_nc_u32 v7, 0x400, v7
	s_wait_dscnt 0x0
	s_barrier_signal -1
	s_barrier_wait -1
	ds_load_b32 v4, v4
	v_cmp_lt_u32_e64 s31, 0x1bff, v7
	v_add_nc_u32_e32 v1, 0x1000, v1
	s_or_b32 s39, s31, s39
	s_wait_dscnt 0x0
	v_add_nc_u32_e32 v3, v4, v3
	s_and_not1_b32 exec_lo, exec_lo, s39
	s_cbranch_execz .LBB12_105
.LBB12_39:                              ; =>This Inner Loop Header: Depth=1
	ds_load_2addr_stride64_b32 v[4:5], v1 offset1:128
	s_wait_dscnt 0x0
	s_barrier_signal -1
	s_barrier_wait -1
	v_cmp_gt_i32_e64 s31, s33, v4
	s_bcnt1_i32_b32 s73, s31
	s_delay_alu instid0(SALU_CYCLE_1) | instskip(NEXT) | instid1(VALU_DEP_1)
	v_dual_mov_b32 v9, s73 :: v_dual_bitop2_b32 v8, s31, v2 bitop3:0x40
	v_bcnt_u32_b32 v8, v8, 0
	ds_store_b32 v6, v9
	s_wait_dscnt 0x0
	s_barrier_signal -1
	s_barrier_wait -1
	s_and_saveexec_b32 s73, s0
	s_cbranch_execz .LBB12_72
; %bb.40:                               ;   in Loop: Header=BB12_39 Depth=1
	v_mov_b32_e32 v9, s41
	ds_load_b32 v9, v9
	s_wait_dscnt 0x0
	v_add_nc_u32_e32 v8, v9, v8
	s_or_b32 exec_lo, exec_lo, s73
	s_and_saveexec_b32 s73, s1
	s_cbranch_execnz .LBB12_73
.LBB12_41:                              ;   in Loop: Header=BB12_39 Depth=1
	s_or_b32 exec_lo, exec_lo, s73
	s_and_saveexec_b32 s73, s2
	s_cbranch_execz .LBB12_74
.LBB12_42:                              ;   in Loop: Header=BB12_39 Depth=1
	v_mov_b32_e32 v9, s43
	ds_load_b32 v9, v9
	s_wait_dscnt 0x0
	v_add_nc_u32_e32 v8, v9, v8
	s_or_b32 exec_lo, exec_lo, s73
	s_and_saveexec_b32 s73, s3
	s_cbranch_execnz .LBB12_75
.LBB12_43:                              ;   in Loop: Header=BB12_39 Depth=1
	s_or_b32 exec_lo, exec_lo, s73
	s_and_saveexec_b32 s73, s4
	s_cbranch_execz .LBB12_76
.LBB12_44:                              ;   in Loop: Header=BB12_39 Depth=1
	v_mov_b32_e32 v9, s45
	ds_load_b32 v9, v9
	s_wait_dscnt 0x0
	v_add_nc_u32_e32 v8, v9, v8
	s_or_b32 exec_lo, exec_lo, s73
	s_and_saveexec_b32 s73, s5
	s_cbranch_execnz .LBB12_77
.LBB12_45:                              ;   in Loop: Header=BB12_39 Depth=1
	s_or_b32 exec_lo, exec_lo, s73
	s_and_saveexec_b32 s73, s6
	s_cbranch_execz .LBB12_78
.LBB12_46:                              ;   in Loop: Header=BB12_39 Depth=1
	v_mov_b32_e32 v9, s47
	ds_load_b32 v9, v9
	s_wait_dscnt 0x0
	v_add_nc_u32_e32 v8, v9, v8
	s_or_b32 exec_lo, exec_lo, s73
	s_and_saveexec_b32 s73, s7
	s_cbranch_execnz .LBB12_79
.LBB12_47:                              ;   in Loop: Header=BB12_39 Depth=1
	s_or_b32 exec_lo, exec_lo, s73
	s_and_saveexec_b32 s73, s8
	s_cbranch_execz .LBB12_80
.LBB12_48:                              ;   in Loop: Header=BB12_39 Depth=1
	v_mov_b32_e32 v9, s49
	ds_load_b32 v9, v9
	s_wait_dscnt 0x0
	v_add_nc_u32_e32 v8, v9, v8
	s_or_b32 exec_lo, exec_lo, s73
	s_and_saveexec_b32 s73, s9
	s_cbranch_execnz .LBB12_81
.LBB12_49:                              ;   in Loop: Header=BB12_39 Depth=1
	s_or_b32 exec_lo, exec_lo, s73
	s_and_saveexec_b32 s73, s10
	s_cbranch_execz .LBB12_82
.LBB12_50:                              ;   in Loop: Header=BB12_39 Depth=1
	v_mov_b32_e32 v9, s51
	ds_load_b32 v9, v9
	s_wait_dscnt 0x0
	v_add_nc_u32_e32 v8, v9, v8
	s_or_b32 exec_lo, exec_lo, s73
	s_and_saveexec_b32 s73, s11
	s_cbranch_execnz .LBB12_83
.LBB12_51:                              ;   in Loop: Header=BB12_39 Depth=1
	s_or_b32 exec_lo, exec_lo, s73
	s_and_saveexec_b32 s73, s12
	s_cbranch_execz .LBB12_84
.LBB12_52:                              ;   in Loop: Header=BB12_39 Depth=1
	v_mov_b32_e32 v9, s53
	ds_load_b32 v9, v9
	s_wait_dscnt 0x0
	v_add_nc_u32_e32 v8, v9, v8
	s_or_b32 exec_lo, exec_lo, s73
	s_and_saveexec_b32 s73, s13
	s_cbranch_execnz .LBB12_85
.LBB12_53:                              ;   in Loop: Header=BB12_39 Depth=1
	s_or_b32 exec_lo, exec_lo, s73
	s_and_saveexec_b32 s73, s14
	s_cbranch_execz .LBB12_86
.LBB12_54:                              ;   in Loop: Header=BB12_39 Depth=1
	v_mov_b32_e32 v9, s55
	ds_load_b32 v9, v9
	s_wait_dscnt 0x0
	v_add_nc_u32_e32 v8, v9, v8
	s_or_b32 exec_lo, exec_lo, s73
	s_and_saveexec_b32 s73, s15
	s_cbranch_execnz .LBB12_87
.LBB12_55:                              ;   in Loop: Header=BB12_39 Depth=1
	s_or_b32 exec_lo, exec_lo, s73
	s_and_saveexec_b32 s73, s16
	s_cbranch_execz .LBB12_88
.LBB12_56:                              ;   in Loop: Header=BB12_39 Depth=1
	v_mov_b32_e32 v9, s57
	ds_load_b32 v9, v9
	s_wait_dscnt 0x0
	v_add_nc_u32_e32 v8, v9, v8
	s_or_b32 exec_lo, exec_lo, s73
	s_and_saveexec_b32 s73, s17
	s_cbranch_execnz .LBB12_89
.LBB12_57:                              ;   in Loop: Header=BB12_39 Depth=1
	s_or_b32 exec_lo, exec_lo, s73
	s_and_saveexec_b32 s73, s18
	s_cbranch_execz .LBB12_90
.LBB12_58:                              ;   in Loop: Header=BB12_39 Depth=1
	v_mov_b32_e32 v9, s59
	ds_load_b32 v9, v9
	s_wait_dscnt 0x0
	v_add_nc_u32_e32 v8, v9, v8
	s_or_b32 exec_lo, exec_lo, s73
	s_and_saveexec_b32 s73, s19
	s_cbranch_execnz .LBB12_91
.LBB12_59:                              ;   in Loop: Header=BB12_39 Depth=1
	s_or_b32 exec_lo, exec_lo, s73
	s_and_saveexec_b32 s73, s20
	s_cbranch_execz .LBB12_92
.LBB12_60:                              ;   in Loop: Header=BB12_39 Depth=1
	v_mov_b32_e32 v9, s61
	ds_load_b32 v9, v9
	s_wait_dscnt 0x0
	v_add_nc_u32_e32 v8, v9, v8
	s_or_b32 exec_lo, exec_lo, s73
	s_and_saveexec_b32 s73, s21
	s_cbranch_execnz .LBB12_93
.LBB12_61:                              ;   in Loop: Header=BB12_39 Depth=1
	s_or_b32 exec_lo, exec_lo, s73
	s_and_saveexec_b32 s73, s22
	s_cbranch_execz .LBB12_94
.LBB12_62:                              ;   in Loop: Header=BB12_39 Depth=1
	v_mov_b32_e32 v9, s63
	ds_load_b32 v9, v9
	s_wait_dscnt 0x0
	v_add_nc_u32_e32 v8, v9, v8
	s_or_b32 exec_lo, exec_lo, s73
	s_and_saveexec_b32 s73, s23
	s_cbranch_execnz .LBB12_95
.LBB12_63:                              ;   in Loop: Header=BB12_39 Depth=1
	s_or_b32 exec_lo, exec_lo, s73
	s_and_saveexec_b32 s73, s24
	s_cbranch_execz .LBB12_96
.LBB12_64:                              ;   in Loop: Header=BB12_39 Depth=1
	v_mov_b32_e32 v9, s65
	ds_load_b32 v9, v9
	s_wait_dscnt 0x0
	v_add_nc_u32_e32 v8, v9, v8
	s_or_b32 exec_lo, exec_lo, s73
	s_and_saveexec_b32 s73, s25
	s_cbranch_execnz .LBB12_97
.LBB12_65:                              ;   in Loop: Header=BB12_39 Depth=1
	s_or_b32 exec_lo, exec_lo, s73
	s_and_saveexec_b32 s73, s26
	s_cbranch_execz .LBB12_98
.LBB12_66:                              ;   in Loop: Header=BB12_39 Depth=1
	v_mov_b32_e32 v9, s67
	ds_load_b32 v9, v9
	s_wait_dscnt 0x0
	v_add_nc_u32_e32 v8, v9, v8
	s_or_b32 exec_lo, exec_lo, s73
	s_and_saveexec_b32 s73, s27
	s_cbranch_execnz .LBB12_99
.LBB12_67:                              ;   in Loop: Header=BB12_39 Depth=1
	s_or_b32 exec_lo, exec_lo, s73
	s_and_saveexec_b32 s73, s28
	s_cbranch_execz .LBB12_100
.LBB12_68:                              ;   in Loop: Header=BB12_39 Depth=1
	v_mov_b32_e32 v9, s69
	ds_load_b32 v9, v9
	s_wait_dscnt 0x0
	v_add_nc_u32_e32 v8, v9, v8
	s_or_b32 exec_lo, exec_lo, s73
	s_and_saveexec_b32 s73, s29
	s_cbranch_execnz .LBB12_101
.LBB12_69:                              ;   in Loop: Header=BB12_39 Depth=1
	s_or_b32 exec_lo, exec_lo, s73
	s_and_saveexec_b32 s73, s30
	s_cbranch_execz .LBB12_102
.LBB12_70:                              ;   in Loop: Header=BB12_39 Depth=1
	v_mov_b32_e32 v9, s71
	ds_load_b32 v9, v9
	s_wait_dscnt 0x0
	v_add_nc_u32_e32 v8, v9, v8
	s_or_b32 exec_lo, exec_lo, s73
	s_and_saveexec_b32 s73, s31
	s_cbranch_execnz .LBB12_103
.LBB12_71:                              ;   in Loop: Header=BB12_39 Depth=1
	s_or_b32 exec_lo, exec_lo, s73
	s_and_saveexec_b32 s31, vcc_lo
	s_cbranch_execz .LBB12_38
	s_branch .LBB12_104
.LBB12_72:                              ;   in Loop: Header=BB12_39 Depth=1
	s_or_b32 exec_lo, exec_lo, s73
	s_and_saveexec_b32 s73, s1
	s_cbranch_execz .LBB12_41
.LBB12_73:                              ;   in Loop: Header=BB12_39 Depth=1
	v_mov_b32_e32 v9, s42
	ds_load_b32 v9, v9
	s_wait_dscnt 0x0
	v_add_nc_u32_e32 v8, v9, v8
	s_or_b32 exec_lo, exec_lo, s73
	s_and_saveexec_b32 s73, s2
	s_cbranch_execnz .LBB12_42
.LBB12_74:                              ;   in Loop: Header=BB12_39 Depth=1
	s_or_b32 exec_lo, exec_lo, s73
	s_and_saveexec_b32 s73, s3
	s_cbranch_execz .LBB12_43
.LBB12_75:                              ;   in Loop: Header=BB12_39 Depth=1
	v_mov_b32_e32 v9, s44
	ds_load_b32 v9, v9
	s_wait_dscnt 0x0
	v_add_nc_u32_e32 v8, v9, v8
	s_or_b32 exec_lo, exec_lo, s73
	s_and_saveexec_b32 s73, s4
	s_cbranch_execnz .LBB12_44
.LBB12_76:                              ;   in Loop: Header=BB12_39 Depth=1
	s_or_b32 exec_lo, exec_lo, s73
	s_and_saveexec_b32 s73, s5
	s_cbranch_execz .LBB12_45
.LBB12_77:                              ;   in Loop: Header=BB12_39 Depth=1
	v_mov_b32_e32 v9, s46
	ds_load_b32 v9, v9
	s_wait_dscnt 0x0
	v_add_nc_u32_e32 v8, v9, v8
	s_or_b32 exec_lo, exec_lo, s73
	s_and_saveexec_b32 s73, s6
	s_cbranch_execnz .LBB12_46
.LBB12_78:                              ;   in Loop: Header=BB12_39 Depth=1
	s_or_b32 exec_lo, exec_lo, s73
	s_and_saveexec_b32 s73, s7
	s_cbranch_execz .LBB12_47
.LBB12_79:                              ;   in Loop: Header=BB12_39 Depth=1
	v_mov_b32_e32 v9, s48
	ds_load_b32 v9, v9
	s_wait_dscnt 0x0
	v_add_nc_u32_e32 v8, v9, v8
	s_or_b32 exec_lo, exec_lo, s73
	s_and_saveexec_b32 s73, s8
	s_cbranch_execnz .LBB12_48
.LBB12_80:                              ;   in Loop: Header=BB12_39 Depth=1
	s_or_b32 exec_lo, exec_lo, s73
	s_and_saveexec_b32 s73, s9
	s_cbranch_execz .LBB12_49
.LBB12_81:                              ;   in Loop: Header=BB12_39 Depth=1
	v_mov_b32_e32 v9, s50
	ds_load_b32 v9, v9
	s_wait_dscnt 0x0
	v_add_nc_u32_e32 v8, v9, v8
	s_or_b32 exec_lo, exec_lo, s73
	s_and_saveexec_b32 s73, s10
	s_cbranch_execnz .LBB12_50
.LBB12_82:                              ;   in Loop: Header=BB12_39 Depth=1
	s_or_b32 exec_lo, exec_lo, s73
	s_and_saveexec_b32 s73, s11
	s_cbranch_execz .LBB12_51
.LBB12_83:                              ;   in Loop: Header=BB12_39 Depth=1
	v_mov_b32_e32 v9, s52
	ds_load_b32 v9, v9
	s_wait_dscnt 0x0
	v_add_nc_u32_e32 v8, v9, v8
	s_or_b32 exec_lo, exec_lo, s73
	s_and_saveexec_b32 s73, s12
	s_cbranch_execnz .LBB12_52
.LBB12_84:                              ;   in Loop: Header=BB12_39 Depth=1
	s_or_b32 exec_lo, exec_lo, s73
	s_and_saveexec_b32 s73, s13
	s_cbranch_execz .LBB12_53
.LBB12_85:                              ;   in Loop: Header=BB12_39 Depth=1
	v_mov_b32_e32 v9, s54
	ds_load_b32 v9, v9
	s_wait_dscnt 0x0
	v_add_nc_u32_e32 v8, v9, v8
	s_or_b32 exec_lo, exec_lo, s73
	s_and_saveexec_b32 s73, s14
	s_cbranch_execnz .LBB12_54
.LBB12_86:                              ;   in Loop: Header=BB12_39 Depth=1
	s_or_b32 exec_lo, exec_lo, s73
	s_and_saveexec_b32 s73, s15
	s_cbranch_execz .LBB12_55
.LBB12_87:                              ;   in Loop: Header=BB12_39 Depth=1
	v_mov_b32_e32 v9, s56
	ds_load_b32 v9, v9
	s_wait_dscnt 0x0
	v_add_nc_u32_e32 v8, v9, v8
	s_or_b32 exec_lo, exec_lo, s73
	s_and_saveexec_b32 s73, s16
	s_cbranch_execnz .LBB12_56
.LBB12_88:                              ;   in Loop: Header=BB12_39 Depth=1
	s_or_b32 exec_lo, exec_lo, s73
	s_and_saveexec_b32 s73, s17
	s_cbranch_execz .LBB12_57
.LBB12_89:                              ;   in Loop: Header=BB12_39 Depth=1
	v_mov_b32_e32 v9, s58
	ds_load_b32 v9, v9
	s_wait_dscnt 0x0
	v_add_nc_u32_e32 v8, v9, v8
	s_or_b32 exec_lo, exec_lo, s73
	s_and_saveexec_b32 s73, s18
	s_cbranch_execnz .LBB12_58
.LBB12_90:                              ;   in Loop: Header=BB12_39 Depth=1
	s_or_b32 exec_lo, exec_lo, s73
	s_and_saveexec_b32 s73, s19
	s_cbranch_execz .LBB12_59
.LBB12_91:                              ;   in Loop: Header=BB12_39 Depth=1
	v_mov_b32_e32 v9, s60
	ds_load_b32 v9, v9
	s_wait_dscnt 0x0
	v_add_nc_u32_e32 v8, v9, v8
	s_or_b32 exec_lo, exec_lo, s73
	s_and_saveexec_b32 s73, s20
	s_cbranch_execnz .LBB12_60
.LBB12_92:                              ;   in Loop: Header=BB12_39 Depth=1
	s_or_b32 exec_lo, exec_lo, s73
	s_and_saveexec_b32 s73, s21
	s_cbranch_execz .LBB12_61
.LBB12_93:                              ;   in Loop: Header=BB12_39 Depth=1
	v_mov_b32_e32 v9, s62
	ds_load_b32 v9, v9
	s_wait_dscnt 0x0
	v_add_nc_u32_e32 v8, v9, v8
	s_or_b32 exec_lo, exec_lo, s73
	s_and_saveexec_b32 s73, s22
	s_cbranch_execnz .LBB12_62
.LBB12_94:                              ;   in Loop: Header=BB12_39 Depth=1
	s_or_b32 exec_lo, exec_lo, s73
	s_and_saveexec_b32 s73, s23
	s_cbranch_execz .LBB12_63
.LBB12_95:                              ;   in Loop: Header=BB12_39 Depth=1
	v_mov_b32_e32 v9, s64
	ds_load_b32 v9, v9
	s_wait_dscnt 0x0
	v_add_nc_u32_e32 v8, v9, v8
	s_or_b32 exec_lo, exec_lo, s73
	s_and_saveexec_b32 s73, s24
	s_cbranch_execnz .LBB12_64
.LBB12_96:                              ;   in Loop: Header=BB12_39 Depth=1
	s_or_b32 exec_lo, exec_lo, s73
	s_and_saveexec_b32 s73, s25
	s_cbranch_execz .LBB12_65
.LBB12_97:                              ;   in Loop: Header=BB12_39 Depth=1
	v_mov_b32_e32 v9, s66
	ds_load_b32 v9, v9
	s_wait_dscnt 0x0
	v_add_nc_u32_e32 v8, v9, v8
	s_or_b32 exec_lo, exec_lo, s73
	s_and_saveexec_b32 s73, s26
	s_cbranch_execnz .LBB12_66
.LBB12_98:                              ;   in Loop: Header=BB12_39 Depth=1
	s_or_b32 exec_lo, exec_lo, s73
	s_and_saveexec_b32 s73, s27
	s_cbranch_execz .LBB12_67
.LBB12_99:                              ;   in Loop: Header=BB12_39 Depth=1
	v_mov_b32_e32 v9, s68
	ds_load_b32 v9, v9
	s_wait_dscnt 0x0
	v_add_nc_u32_e32 v8, v9, v8
	s_or_b32 exec_lo, exec_lo, s73
	s_and_saveexec_b32 s73, s28
	s_cbranch_execnz .LBB12_68
.LBB12_100:                             ;   in Loop: Header=BB12_39 Depth=1
	s_or_b32 exec_lo, exec_lo, s73
	s_and_saveexec_b32 s73, s29
	s_cbranch_execz .LBB12_69
.LBB12_101:                             ;   in Loop: Header=BB12_39 Depth=1
	v_mov_b32_e32 v9, s70
	ds_load_b32 v9, v9
	s_wait_dscnt 0x0
	v_add_nc_u32_e32 v8, v9, v8
	s_or_b32 exec_lo, exec_lo, s73
	s_and_saveexec_b32 s73, s30
	s_cbranch_execnz .LBB12_70
.LBB12_102:                             ;   in Loop: Header=BB12_39 Depth=1
	s_or_b32 exec_lo, exec_lo, s73
	s_and_saveexec_b32 s73, s31
	s_cbranch_execz .LBB12_71
.LBB12_103:                             ;   in Loop: Header=BB12_39 Depth=1
	s_delay_alu instid0(VALU_DEP_1) | instskip(SKIP_1) | instid1(VALU_DEP_2)
	v_add3_u32 v9, v3, -1, v8
	v_add_nc_u32_e32 v10, v3, v8
	v_lshl_add_u32 v9, v9, 2, 0
	s_delay_alu instid0(VALU_DEP_2)
	v_lshl_add_u32 v10, v10, 2, 0
	ds_store_b32 v9, v4
	ds_store_b32 v10, v5 offset:32764
	s_or_b32 exec_lo, exec_lo, s73
	s_and_saveexec_b32 s31, vcc_lo
	s_cbranch_execz .LBB12_38
.LBB12_104:                             ;   in Loop: Header=BB12_39 Depth=1
	v_mov_b32_e32 v4, s72
	ds_store_b32 v4, v8
	s_branch .LBB12_38
.LBB12_105:
	s_or_b32 exec_lo, exec_lo, s39
	s_wait_kmcnt 0x0
	s_ashr_i32 s41, s40, 31
	s_delay_alu instid0(SALU_CYCLE_1) | instskip(NEXT) | instid1(SALU_CYCLE_1)
	s_lshl_b64 s[0:1], s[40:41], 2
	s_add_nc_u64 s[2:3], s[36:37], s[0:1]
	s_load_b64 s[0:1], s[2:3], 0x0
	s_wait_kmcnt 0x0
	s_sub_co_i32 s4, s1, s0
	s_mov_b32 s1, exec_lo
	v_cmpx_gt_i32_e64 s4, v0
	s_cbranch_execz .LBB12_119
; %bb.106:
	v_sub_co_u32 v1, s1, s4, 2
	s_sub_co_i32 s2, s0, s38
	s_xor_b32 s6, s1, -1
	s_and_b32 s5, s4, -2
	v_readfirstlane_b32 s3, v1
	s_lshr_b32 s0, s3, 1
	s_mov_b32 s3, 0
	s_add_co_i32 s0, s0, 1
	s_mov_b32 s11, s3
	s_and_b32 s1, s0, 7
	s_and_b32 s7, s0, -8
	s_cmp_lg_u32 s1, 0
	v_cmp_lt_u32_e64 s0, 13, v1
	s_cselect_b32 s8, -1, 0
	s_cmp_lg_u32 s4, s5
	s_cselect_b32 s9, -1, 0
	s_lshl_b32 s10, s1, 3
	s_branch .LBB12_108
.LBB12_107:                             ;   in Loop: Header=BB12_108 Depth=1
	v_add_nc_u32_e32 v0, 0x400, v0
	s_wait_dscnt 0x0
	global_store_b32 v1, v3, s[34:35] scale_offset
	v_cmp_le_i32_e32 vcc_lo, s4, v0
	s_or_b32 s11, vcc_lo, s11
	s_wait_xcnt 0x0
	s_and_not1_b32 exec_lo, exec_lo, s11
	s_cbranch_execz .LBB12_119
.LBB12_108:                             ; =>This Loop Header: Depth=1
                                        ;     Child Loop BB12_111 Depth 2
                                        ;     Child Loop BB12_114 Depth 2
	;; [unrolled: 1-line block ×3, first 2 shown]
	v_lshl_add_u32 v1, v0, 2, 0
	s_and_not1_b32 vcc_lo, exec_lo, s6
	s_mov_b32 s1, 0
	s_mov_b32 s12, -1
	ds_load_2addr_stride64_b32 v[2:3], v1 offset1:128
	v_mov_b32_e32 v1, s2
	s_cbranch_vccnz .LBB12_116
; %bb.109:                              ;   in Loop: Header=BB12_108 Depth=1
	v_mov_b64_e32 v[4:5], s[2:3]
	s_and_not1_b32 vcc_lo, exec_lo, s0
	s_mov_b32 s12, 0
	s_cbranch_vccnz .LBB12_112
; %bb.110:                              ;   in Loop: Header=BB12_108 Depth=1
	v_dual_mov_b32 v4, s2 :: v_dual_mov_b32 v5, 0
	s_mov_b32 s13, 0
	s_mov_b32 s14, s7
.LBB12_111:                             ;   Parent Loop BB12_108 Depth=1
                                        ; =>  This Inner Loop Header: Depth=2
	v_mov_b32_e32 v1, s13
	s_add_co_i32 s14, s14, -8
	s_add_co_i32 s12, s12, 16
	s_add_co_i32 s13, s13, 64
	s_cmp_lg_u32 s14, 0
	ds_load_2addr_b32 v[6:7], v1 offset1:1
	ds_load_2addr_b32 v[8:9], v1 offset0:2 offset1:3
	ds_load_2addr_b32 v[10:11], v1 offset0:4 offset1:5
	;; [unrolled: 1-line block ×7, first 2 shown]
	s_wait_dscnt 0x7
	v_cmp_gt_i32_e32 vcc_lo, v2, v7
	s_wait_dscnt 0x5
	v_cmp_gt_i32_e64 s1, v2, v10
	v_cndmask_b32_e64 v1, 0, 1, vcc_lo
	v_cmp_gt_i32_e32 vcc_lo, v2, v6
	s_delay_alu instid0(VALU_DEP_3) | instskip(SKIP_3) | instid1(VALU_DEP_3)
	v_cndmask_b32_e64 v7, 0, 1, s1
	v_cmp_gt_i32_e64 s1, v2, v11
	v_cndmask_b32_e64 v6, 0, 1, vcc_lo
	v_cmp_gt_i32_e32 vcc_lo, v2, v8
	v_cndmask_b32_e64 v8, 0, 1, s1
	s_wait_dscnt 0x4
	v_cmp_gt_i32_e64 s1, v2, v13
	v_add_co_ci_u32_e64 v4, null, v4, v6, vcc_lo
	s_delay_alu instid0(VALU_DEP_2) | instskip(SKIP_3) | instid1(VALU_DEP_2)
	v_cndmask_b32_e64 v10, 0, 1, s1
	v_cmp_gt_i32_e64 s1, v2, v12
	s_wait_dscnt 0x2
	v_cmp_gt_i32_e32 vcc_lo, v2, v16
	v_cndmask_b32_e64 v11, 0, 1, s1
	v_cmp_gt_i32_e64 s1, v2, v14
	v_add_co_ci_u32_e64 v4, null, v4, v7, vcc_lo
	s_wait_dscnt 0x1
	v_cmp_gt_i32_e32 vcc_lo, v2, v18
	s_delay_alu instid0(VALU_DEP_3) | instskip(SKIP_4) | instid1(VALU_DEP_3)
	v_cndmask_b32_e64 v12, 0, 1, s1
	v_cmp_gt_i32_e64 s1, v2, v15
	v_add_co_ci_u32_e64 v4, null, v4, v11, vcc_lo
	s_wait_dscnt 0x0
	v_cmp_gt_i32_e32 vcc_lo, v2, v20
	v_cndmask_b32_e64 v13, 0, 1, s1
	v_cmp_gt_i32_e64 s1, v2, v9
	v_add_co_ci_u32_e64 v4, null, v4, v12, vcc_lo
	s_delay_alu instid0(VALU_DEP_2) | instskip(SKIP_1) | instid1(VALU_DEP_1)
	v_add_co_ci_u32_e64 v1, null, v5, v1, s1
	v_cmp_gt_i32_e64 s1, v2, v17
	v_add_co_ci_u32_e64 v1, null, v1, v8, s1
	v_cmp_gt_i32_e64 s1, v2, v19
	s_delay_alu instid0(VALU_DEP_1) | instskip(SKIP_1) | instid1(VALU_DEP_1)
	v_add_co_ci_u32_e64 v1, null, v1, v10, s1
	v_cmp_gt_i32_e64 s1, v2, v21
	v_add_co_ci_u32_e64 v5, null, v1, v13, s1
	s_cbranch_scc1 .LBB12_111
.LBB12_112:                             ;   in Loop: Header=BB12_108 Depth=1
	s_and_not1_b32 vcc_lo, exec_lo, s8
	s_cbranch_vccnz .LBB12_115
; %bb.113:                              ;   in Loop: Header=BB12_108 Depth=1
	s_lshl_b32 s1, s12, 2
	s_mov_b32 s12, s10
	s_add_co_i32 s1, s1, 0
.LBB12_114:                             ;   Parent Loop BB12_108 Depth=1
                                        ; =>  This Inner Loop Header: Depth=2
	s_delay_alu instid0(SALU_CYCLE_1)
	v_mov_b32_e32 v1, s1
	s_add_co_i32 s12, s12, -8
	s_add_co_i32 s1, s1, 8
	s_cmp_lg_u32 s12, 0
	ds_load_2addr_b32 v[6:7], v1 offset1:1
	s_wait_dscnt 0x0
	v_cmp_gt_i32_e32 vcc_lo, v2, v7
	v_add_co_ci_u32_e64 v5, null, 0, v5, vcc_lo
	v_cmp_gt_i32_e32 vcc_lo, v2, v6
	v_add_co_ci_u32_e64 v4, null, 0, v4, vcc_lo
	s_cbranch_scc1 .LBB12_114
.LBB12_115:                             ;   in Loop: Header=BB12_108 Depth=1
	s_delay_alu instid0(VALU_DEP_1)
	v_add_nc_u32_e32 v1, v4, v5
	s_mov_b32 s1, s5
	s_mov_b32 s12, s9
.LBB12_116:                             ;   in Loop: Header=BB12_108 Depth=1
	s_delay_alu instid0(SALU_CYCLE_1)
	s_and_b32 vcc_lo, exec_lo, s12
	s_cbranch_vccz .LBB12_107
; %bb.117:                              ;   in Loop: Header=BB12_108 Depth=1
	s_lshl_b32 s12, s1, 2
	s_delay_alu instid0(SALU_CYCLE_1)
	s_add_co_i32 s12, s12, 0
.LBB12_118:                             ;   Parent Loop BB12_108 Depth=1
                                        ; =>  This Inner Loop Header: Depth=2
	s_delay_alu instid0(SALU_CYCLE_1)
	v_mov_b32_e32 v4, s12
	s_add_co_i32 s1, s1, 1
	s_add_co_i32 s12, s12, 4
	s_cmp_ge_i32 s1, s4
	ds_load_b32 v4, v4
	s_wait_dscnt 0x0
	v_cmp_gt_i32_e32 vcc_lo, v2, v4
	v_add_co_ci_u32_e64 v1, null, 0, v1, vcc_lo
	s_cbranch_scc0 .LBB12_118
	s_branch .LBB12_107
.LBB12_119:
	s_endpgm
	.section	.rodata,"a",@progbits
	.p2align	6, 0x0
	.amdhsa_kernel _ZN9rocsparseL41csrgemm_numeric_fill_block_per_row_kernelILj1024ELj64ELj8192ELj137ELj32EiifEEvT5_PKS1_S3_NS_24const_host_device_scalarIT6_EEPKT4_S3_PKS5_S9_S3_SB_S6_S9_S3_SB_S9_S3_PS5_21rocsparse_index_base_SD_SD_SD_bbb
		.amdhsa_group_segment_fixed_size 0
		.amdhsa_private_segment_fixed_size 0
		.amdhsa_kernarg_size 156
		.amdhsa_user_sgpr_count 2
		.amdhsa_user_sgpr_dispatch_ptr 0
		.amdhsa_user_sgpr_queue_ptr 0
		.amdhsa_user_sgpr_kernarg_segment_ptr 1
		.amdhsa_user_sgpr_dispatch_id 0
		.amdhsa_user_sgpr_kernarg_preload_length 0
		.amdhsa_user_sgpr_kernarg_preload_offset 0
		.amdhsa_user_sgpr_private_segment_size 0
		.amdhsa_wavefront_size32 1
		.amdhsa_uses_dynamic_stack 0
		.amdhsa_enable_private_segment 0
		.amdhsa_system_sgpr_workgroup_id_x 1
		.amdhsa_system_sgpr_workgroup_id_y 0
		.amdhsa_system_sgpr_workgroup_id_z 0
		.amdhsa_system_sgpr_workgroup_info 0
		.amdhsa_system_vgpr_workitem_id 0
		.amdhsa_next_free_vgpr 22
		.amdhsa_next_free_sgpr 74
		.amdhsa_named_barrier_count 0
		.amdhsa_reserve_vcc 1
		.amdhsa_float_round_mode_32 0
		.amdhsa_float_round_mode_16_64 0
		.amdhsa_float_denorm_mode_32 3
		.amdhsa_float_denorm_mode_16_64 3
		.amdhsa_fp16_overflow 0
		.amdhsa_memory_ordered 1
		.amdhsa_forward_progress 1
		.amdhsa_inst_pref_size 36
		.amdhsa_round_robin_scheduling 0
		.amdhsa_exception_fp_ieee_invalid_op 0
		.amdhsa_exception_fp_denorm_src 0
		.amdhsa_exception_fp_ieee_div_zero 0
		.amdhsa_exception_fp_ieee_overflow 0
		.amdhsa_exception_fp_ieee_underflow 0
		.amdhsa_exception_fp_ieee_inexact 0
		.amdhsa_exception_int_div_zero 0
	.end_amdhsa_kernel
	.section	.text._ZN9rocsparseL41csrgemm_numeric_fill_block_per_row_kernelILj1024ELj64ELj8192ELj137ELj32EiifEEvT5_PKS1_S3_NS_24const_host_device_scalarIT6_EEPKT4_S3_PKS5_S9_S3_SB_S6_S9_S3_SB_S9_S3_PS5_21rocsparse_index_base_SD_SD_SD_bbb,"axG",@progbits,_ZN9rocsparseL41csrgemm_numeric_fill_block_per_row_kernelILj1024ELj64ELj8192ELj137ELj32EiifEEvT5_PKS1_S3_NS_24const_host_device_scalarIT6_EEPKT4_S3_PKS5_S9_S3_SB_S6_S9_S3_SB_S9_S3_PS5_21rocsparse_index_base_SD_SD_SD_bbb,comdat
.Lfunc_end12:
	.size	_ZN9rocsparseL41csrgemm_numeric_fill_block_per_row_kernelILj1024ELj64ELj8192ELj137ELj32EiifEEvT5_PKS1_S3_NS_24const_host_device_scalarIT6_EEPKT4_S3_PKS5_S9_S3_SB_S6_S9_S3_SB_S9_S3_PS5_21rocsparse_index_base_SD_SD_SD_bbb, .Lfunc_end12-_ZN9rocsparseL41csrgemm_numeric_fill_block_per_row_kernelILj1024ELj64ELj8192ELj137ELj32EiifEEvT5_PKS1_S3_NS_24const_host_device_scalarIT6_EEPKT4_S3_PKS5_S9_S3_SB_S6_S9_S3_SB_S9_S3_PS5_21rocsparse_index_base_SD_SD_SD_bbb
                                        ; -- End function
	.set _ZN9rocsparseL41csrgemm_numeric_fill_block_per_row_kernelILj1024ELj64ELj8192ELj137ELj32EiifEEvT5_PKS1_S3_NS_24const_host_device_scalarIT6_EEPKT4_S3_PKS5_S9_S3_SB_S6_S9_S3_SB_S9_S3_PS5_21rocsparse_index_base_SD_SD_SD_bbb.num_vgpr, 22
	.set _ZN9rocsparseL41csrgemm_numeric_fill_block_per_row_kernelILj1024ELj64ELj8192ELj137ELj32EiifEEvT5_PKS1_S3_NS_24const_host_device_scalarIT6_EEPKT4_S3_PKS5_S9_S3_SB_S6_S9_S3_SB_S9_S3_PS5_21rocsparse_index_base_SD_SD_SD_bbb.num_agpr, 0
	.set _ZN9rocsparseL41csrgemm_numeric_fill_block_per_row_kernelILj1024ELj64ELj8192ELj137ELj32EiifEEvT5_PKS1_S3_NS_24const_host_device_scalarIT6_EEPKT4_S3_PKS5_S9_S3_SB_S6_S9_S3_SB_S9_S3_PS5_21rocsparse_index_base_SD_SD_SD_bbb.numbered_sgpr, 74
	.set _ZN9rocsparseL41csrgemm_numeric_fill_block_per_row_kernelILj1024ELj64ELj8192ELj137ELj32EiifEEvT5_PKS1_S3_NS_24const_host_device_scalarIT6_EEPKT4_S3_PKS5_S9_S3_SB_S6_S9_S3_SB_S9_S3_PS5_21rocsparse_index_base_SD_SD_SD_bbb.num_named_barrier, 0
	.set _ZN9rocsparseL41csrgemm_numeric_fill_block_per_row_kernelILj1024ELj64ELj8192ELj137ELj32EiifEEvT5_PKS1_S3_NS_24const_host_device_scalarIT6_EEPKT4_S3_PKS5_S9_S3_SB_S6_S9_S3_SB_S9_S3_PS5_21rocsparse_index_base_SD_SD_SD_bbb.private_seg_size, 0
	.set _ZN9rocsparseL41csrgemm_numeric_fill_block_per_row_kernelILj1024ELj64ELj8192ELj137ELj32EiifEEvT5_PKS1_S3_NS_24const_host_device_scalarIT6_EEPKT4_S3_PKS5_S9_S3_SB_S6_S9_S3_SB_S9_S3_PS5_21rocsparse_index_base_SD_SD_SD_bbb.uses_vcc, 1
	.set _ZN9rocsparseL41csrgemm_numeric_fill_block_per_row_kernelILj1024ELj64ELj8192ELj137ELj32EiifEEvT5_PKS1_S3_NS_24const_host_device_scalarIT6_EEPKT4_S3_PKS5_S9_S3_SB_S6_S9_S3_SB_S9_S3_PS5_21rocsparse_index_base_SD_SD_SD_bbb.uses_flat_scratch, 0
	.set _ZN9rocsparseL41csrgemm_numeric_fill_block_per_row_kernelILj1024ELj64ELj8192ELj137ELj32EiifEEvT5_PKS1_S3_NS_24const_host_device_scalarIT6_EEPKT4_S3_PKS5_S9_S3_SB_S6_S9_S3_SB_S9_S3_PS5_21rocsparse_index_base_SD_SD_SD_bbb.has_dyn_sized_stack, 0
	.set _ZN9rocsparseL41csrgemm_numeric_fill_block_per_row_kernelILj1024ELj64ELj8192ELj137ELj32EiifEEvT5_PKS1_S3_NS_24const_host_device_scalarIT6_EEPKT4_S3_PKS5_S9_S3_SB_S6_S9_S3_SB_S9_S3_PS5_21rocsparse_index_base_SD_SD_SD_bbb.has_recursion, 0
	.set _ZN9rocsparseL41csrgemm_numeric_fill_block_per_row_kernelILj1024ELj64ELj8192ELj137ELj32EiifEEvT5_PKS1_S3_NS_24const_host_device_scalarIT6_EEPKT4_S3_PKS5_S9_S3_SB_S6_S9_S3_SB_S9_S3_PS5_21rocsparse_index_base_SD_SD_SD_bbb.has_indirect_call, 0
	.section	.AMDGPU.csdata,"",@progbits
; Kernel info:
; codeLenInByte = 4596
; TotalNumSgprs: 76
; NumVgprs: 22
; ScratchSize: 0
; MemoryBound: 0
; FloatMode: 240
; IeeeMode: 1
; LDSByteSize: 0 bytes/workgroup (compile time only)
; SGPRBlocks: 0
; VGPRBlocks: 1
; NumSGPRsForWavesPerEU: 76
; NumVGPRsForWavesPerEU: 22
; NamedBarCnt: 0
; Occupancy: 16
; WaveLimiterHint : 1
; COMPUTE_PGM_RSRC2:SCRATCH_EN: 0
; COMPUTE_PGM_RSRC2:USER_SGPR: 2
; COMPUTE_PGM_RSRC2:TRAP_HANDLER: 0
; COMPUTE_PGM_RSRC2:TGID_X_EN: 1
; COMPUTE_PGM_RSRC2:TGID_Y_EN: 0
; COMPUTE_PGM_RSRC2:TGID_Z_EN: 0
; COMPUTE_PGM_RSRC2:TIDIG_COMP_CNT: 0
	.section	.text._ZN9rocsparseL41csrgemm_numeric_fill_block_per_row_kernelILj1024ELj64ELj8192ELj137ELj64EiifEEvT5_PKS1_S3_NS_24const_host_device_scalarIT6_EEPKT4_S3_PKS5_S9_S3_SB_S6_S9_S3_SB_S9_S3_PS5_21rocsparse_index_base_SD_SD_SD_bbb,"axG",@progbits,_ZN9rocsparseL41csrgemm_numeric_fill_block_per_row_kernelILj1024ELj64ELj8192ELj137ELj64EiifEEvT5_PKS1_S3_NS_24const_host_device_scalarIT6_EEPKT4_S3_PKS5_S9_S3_SB_S6_S9_S3_SB_S9_S3_PS5_21rocsparse_index_base_SD_SD_SD_bbb,comdat
	.globl	_ZN9rocsparseL41csrgemm_numeric_fill_block_per_row_kernelILj1024ELj64ELj8192ELj137ELj64EiifEEvT5_PKS1_S3_NS_24const_host_device_scalarIT6_EEPKT4_S3_PKS5_S9_S3_SB_S6_S9_S3_SB_S9_S3_PS5_21rocsparse_index_base_SD_SD_SD_bbb ; -- Begin function _ZN9rocsparseL41csrgemm_numeric_fill_block_per_row_kernelILj1024ELj64ELj8192ELj137ELj64EiifEEvT5_PKS1_S3_NS_24const_host_device_scalarIT6_EEPKT4_S3_PKS5_S9_S3_SB_S6_S9_S3_SB_S9_S3_PS5_21rocsparse_index_base_SD_SD_SD_bbb
	.p2align	8
	.type	_ZN9rocsparseL41csrgemm_numeric_fill_block_per_row_kernelILj1024ELj64ELj8192ELj137ELj64EiifEEvT5_PKS1_S3_NS_24const_host_device_scalarIT6_EEPKT4_S3_PKS5_S9_S3_SB_S6_S9_S3_SB_S9_S3_PS5_21rocsparse_index_base_SD_SD_SD_bbb,@function
_ZN9rocsparseL41csrgemm_numeric_fill_block_per_row_kernelILj1024ELj64ELj8192ELj137ELj64EiifEEvT5_PKS1_S3_NS_24const_host_device_scalarIT6_EEPKT4_S3_PKS5_S9_S3_SB_S6_S9_S3_SB_S9_S3_PS5_21rocsparse_index_base_SD_SD_SD_bbb: ; @_ZN9rocsparseL41csrgemm_numeric_fill_block_per_row_kernelILj1024ELj64ELj8192ELj137ELj64EiifEEvT5_PKS1_S3_NS_24const_host_device_scalarIT6_EEPKT4_S3_PKS5_S9_S3_SB_S6_S9_S3_SB_S9_S3_PS5_21rocsparse_index_base_SD_SD_SD_bbb
; %bb.0:
	s_clause 0x4
	s_load_b32 s11, s[0:1], 0x98
	s_load_b64 s[8:9], s[0:1], 0x18
	s_load_b128 s[4:7], s[0:1], 0x8
	s_load_b128 s[16:19], s[0:1], 0x88
	s_load_b64 s[2:3], s[0:1], 0x50
	s_wait_kmcnt 0x0
	s_and_b32 s10, 1, s11
	s_bitcmp1_b32 s11, 16
	s_cselect_b32 s15, -1, 0
	s_cmp_eq_u32 s10, 1
	s_cselect_b32 s10, -1, 0
	s_delay_alu instid0(SALU_CYCLE_1) | instskip(SKIP_2) | instid1(SALU_CYCLE_1)
	s_and_b32 s12, s10, exec_lo
	s_cselect_b32 s13, s8, 0
	s_xor_b32 s12, s10, -1
	s_or_b32 s12, s15, s12
	s_delay_alu instid0(SALU_CYCLE_1)
	s_and_b32 vcc_lo, exec_lo, s12
	s_cbranch_vccnz .LBB13_2
; %bb.1:
	s_load_b32 s13, s[8:9], 0x0
.LBB13_2:
	s_bitcmp1_b32 s11, 8
	s_cselect_b32 s14, -1, 0
	s_wait_xcnt 0x0
	s_and_b32 s8, s14, exec_lo
	s_cselect_b32 s12, s2, 0
	s_xor_b32 s8, s14, -1
	s_delay_alu instid0(SALU_CYCLE_1) | instskip(NEXT) | instid1(SALU_CYCLE_1)
	s_or_b32 s8, s15, s8
	s_and_b32 vcc_lo, exec_lo, s8
	s_cbranch_vccnz .LBB13_4
; %bb.3:
	s_load_b32 s12, s[2:3], 0x0
.LBB13_4:
	s_load_b32 s24, s[0:1], 0x0
	v_lshl_add_u32 v1, v0, 2, 0
	v_mov_b32_e32 v2, 0
	s_wait_xcnt 0x0
	s_bfe_u32 s3, ttmp6, 0x4000c
	s_delay_alu instid0(SALU_CYCLE_1) | instskip(NEXT) | instid1(SALU_CYCLE_1)
	s_add_co_i32 s3, s3, 1
	s_mul_i32 s3, ttmp9, s3
	s_wait_kmcnt 0x0
	v_dual_mov_b32 v3, s24 :: v_dual_mov_b32 v4, s24
	v_dual_mov_b32 v5, s24 :: v_dual_mov_b32 v6, s24
	v_dual_mov_b32 v7, s24 :: v_dual_mov_b32 v8, s24
	v_dual_mov_b32 v9, s24 :: v_dual_mov_b32 v10, s24
	ds_store_2addr_stride64_b32 v1, v2, v2 offset0:128 offset1:144
	ds_store_2addr_stride64_b32 v1, v2, v2 offset0:160 offset1:176
	;; [unrolled: 1-line block ×4, first 2 shown]
	ds_store_2addr_stride64_b32 v1, v3, v4 offset1:16
	ds_store_2addr_stride64_b32 v1, v5, v6 offset0:32 offset1:48
	ds_store_2addr_stride64_b32 v1, v7, v8 offset0:64 offset1:80
	;; [unrolled: 1-line block ×3, first 2 shown]
	s_wait_dscnt 0x0
	s_barrier_signal -1
	s_barrier_wait -1
	s_load_b32 s2, s[4:5], 0x0
	s_wait_xcnt 0x0
	s_and_b32 s4, ttmp6, 15
	s_getreg_b32 s5, hwreg(HW_REG_IB_STS2, 6, 4)
	s_add_co_i32 s4, s4, s3
	s_cmp_eq_u32 s5, 0
	v_lshrrev_b32_e32 v4, 6, v0
	s_cselect_b32 s3, ttmp9, s4
	s_and_not1_b32 vcc_lo, exec_lo, s10
	s_wait_kmcnt 0x0
	s_add_co_i32 s2, s2, s3
	s_load_b32 s20, s[6:7], s2 offset:0x0 scale_offset
	s_cbranch_vccnz .LBB13_22
; %bb.5:
	s_wait_xcnt 0x0
	s_load_b64 s[2:3], s[0:1], 0x20
	s_wait_kmcnt 0x0
	s_ashr_i32 s21, s20, 31
	v_subrev_nc_u32_e32 v2, s16, v4
	s_lshl_b64 s[4:5], s[20:21], 2
	s_mov_b32 s21, exec_lo
	s_add_nc_u64 s[2:3], s[2:3], s[4:5]
	s_load_b64 s[4:5], s[2:3], 0x0
	s_wait_kmcnt 0x0
	v_add_nc_u32_e32 v2, s4, v2
	s_sub_co_i32 s15, s5, s16
	s_delay_alu instid0(VALU_DEP_1) | instid1(SALU_CYCLE_1)
	v_cmpx_gt_i32_e64 s15, v2
	s_cbranch_execz .LBB13_21
; %bb.6:
	s_clause 0x1
	s_load_b64 s[2:3], s[0:1], 0x48
	s_load_b256 s[4:11], s[0:1], 0x28
	v_and_b32_e32 v3, 63, v0
	s_mov_b32 s22, 0
	s_delay_alu instid0(VALU_DEP_1)
	v_subrev_nc_u32_e32 v5, s17, v3
	s_branch .LBB13_8
.LBB13_7:                               ;   in Loop: Header=BB13_8 Depth=1
	s_or_b32 exec_lo, exec_lo, s23
	v_add_nc_u32_e32 v2, 16, v2
	s_delay_alu instid0(VALU_DEP_1) | instskip(SKIP_1) | instid1(SALU_CYCLE_1)
	v_cmp_le_i32_e32 vcc_lo, s15, v2
	s_or_b32 s22, vcc_lo, s22
	s_and_not1_b32 exec_lo, exec_lo, s22
	s_cbranch_execz .LBB13_21
.LBB13_8:                               ; =>This Loop Header: Depth=1
                                        ;     Child Loop BB13_12 Depth 2
                                        ;       Child Loop BB13_15 Depth 3
	s_wait_kmcnt 0x0
	global_load_b32 v3, v2, s[4:5] scale_offset
	s_mov_b32 s23, exec_lo
	s_wait_loadcnt 0x0
	v_subrev_nc_u32_e32 v6, s16, v3
	s_delay_alu instid0(VALU_DEP_1) | instskip(NEXT) | instid1(VALU_DEP_1)
	v_ashrrev_i32_e32 v7, 31, v6
	v_lshl_add_u64 v[6:7], v[6:7], 2, s[8:9]
	global_load_b64 v[8:9], v[6:7], off
	s_wait_loadcnt 0x0
	s_wait_xcnt 0x0
	v_subrev_nc_u32_e32 v6, s17, v9
	v_add_nc_u32_e32 v7, v8, v5
	s_delay_alu instid0(VALU_DEP_1)
	v_cmpx_lt_i32_e64 v7, v6
	s_cbranch_execz .LBB13_7
; %bb.9:                                ;   in Loop: Header=BB13_8 Depth=1
	v_ashrrev_i32_e32 v3, 31, v2
	s_mov_b32 s25, 0
	s_delay_alu instid0(VALU_DEP_1)
	v_lshl_add_u64 v[8:9], v[2:3], 2, s[6:7]
	global_load_b32 v3, v[8:9], off
	s_wait_loadcnt 0x0
	v_mul_f32_e32 v3, s13, v3
	s_branch .LBB13_12
.LBB13_10:                              ;   in Loop: Header=BB13_12 Depth=2
	s_or_b32 exec_lo, exec_lo, s27
.LBB13_11:                              ;   in Loop: Header=BB13_12 Depth=2
	s_delay_alu instid0(SALU_CYCLE_1) | instskip(SKIP_3) | instid1(VALU_DEP_2)
	s_or_b32 exec_lo, exec_lo, s26
	s_wait_loadcnt 0x0
	v_dual_mul_f32 v8, v3, v8 :: v_dual_add_nc_u32 v7, 64, v7
	v_lshl_add_u32 v9, v9, 2, 0
	v_cmp_ge_i32_e32 vcc_lo, v7, v6
	ds_add_f32 v9, v8 offset:32768
	s_or_b32 s25, vcc_lo, s25
	s_delay_alu instid0(SALU_CYCLE_1)
	s_and_not1_b32 exec_lo, exec_lo, s25
	s_cbranch_execz .LBB13_7
.LBB13_12:                              ;   Parent Loop BB13_8 Depth=1
                                        ; =>  This Loop Header: Depth=2
                                        ;       Child Loop BB13_15 Depth 3
	s_clause 0x1
	global_load_b32 v9, v7, s[10:11] scale_offset
	global_load_b32 v8, v7, s[2:3] scale_offset
	s_mov_b32 s26, exec_lo
	s_wait_loadcnt 0x1
	v_subrev_nc_u32_e32 v10, s17, v9
	s_delay_alu instid0(VALU_DEP_1) | instskip(NEXT) | instid1(VALU_DEP_1)
	v_mul_lo_u32 v9, 0x89, v10
	v_and_b32_e32 v9, 0x1fff, v9
	s_delay_alu instid0(VALU_DEP_1)
	v_lshl_add_u32 v11, v9, 2, 0
	ds_load_b32 v12, v11
	s_wait_dscnt 0x0
	s_wait_xcnt 0x0
	v_cmpx_ne_u32_e64 v12, v10
	s_cbranch_execz .LBB13_11
; %bb.13:                               ;   in Loop: Header=BB13_12 Depth=2
	s_mov_b32 s27, 0
	s_branch .LBB13_15
.LBB13_14:                              ;   in Loop: Header=BB13_15 Depth=3
	s_or_b32 exec_lo, exec_lo, s30
	s_delay_alu instid0(SALU_CYCLE_1) | instskip(NEXT) | instid1(SALU_CYCLE_1)
	s_and_b32 s28, exec_lo, s29
	s_or_b32 s27, s28, s27
	s_delay_alu instid0(SALU_CYCLE_1)
	s_and_not1_b32 exec_lo, exec_lo, s27
	s_cbranch_execz .LBB13_10
.LBB13_15:                              ;   Parent Loop BB13_8 Depth=1
                                        ;     Parent Loop BB13_12 Depth=2
                                        ; =>    This Inner Loop Header: Depth=3
	s_mov_b32 s28, 0
	s_mov_b32 s29, exec_lo
	v_cmpx_ne_u32_e64 s24, v12
	s_xor_b32 s29, exec_lo, s29
	s_cbranch_execz .LBB13_17
; %bb.16:                               ;   in Loop: Header=BB13_15 Depth=3
	v_add_nc_u32_e32 v9, 1, v9
	s_mov_b32 s28, exec_lo
                                        ; implicit-def: $vgpr11
	s_delay_alu instid0(VALU_DEP_1)
	v_and_b32_e32 v9, 0x1fff, v9
	s_and_not1_saveexec_b32 s29, s29
	s_cbranch_execz .LBB13_19
	s_branch .LBB13_18
.LBB13_17:                              ;   in Loop: Header=BB13_15 Depth=3
	s_and_not1_saveexec_b32 s29, s29
	s_cbranch_execz .LBB13_19
.LBB13_18:                              ;   in Loop: Header=BB13_15 Depth=3
	v_mov_b32_e32 v12, s24
	s_and_not1_b32 s28, s28, exec_lo
	ds_cmpstore_rtn_b32 v11, v11, v10, v12
	s_wait_dscnt 0x0
	v_cmp_ne_u32_e32 vcc_lo, s24, v11
	s_and_b32 s30, vcc_lo, exec_lo
	s_delay_alu instid0(SALU_CYCLE_1)
	s_or_b32 s28, s28, s30
.LBB13_19:                              ;   in Loop: Header=BB13_15 Depth=3
	s_or_b32 exec_lo, exec_lo, s29
	s_mov_b32 s29, -1
                                        ; implicit-def: $vgpr11
                                        ; implicit-def: $vgpr12
	s_and_saveexec_b32 s30, s28
	s_cbranch_execz .LBB13_14
; %bb.20:                               ;   in Loop: Header=BB13_15 Depth=3
	v_lshl_add_u32 v11, v9, 2, 0
	ds_load_b32 v12, v11
	s_wait_dscnt 0x0
	v_cmp_eq_u32_e32 vcc_lo, v12, v10
	s_or_not1_b32 s29, vcc_lo, exec_lo
	s_branch .LBB13_14
.LBB13_21:
	s_or_b32 exec_lo, exec_lo, s21
.LBB13_22:
	s_load_b64 s[16:17], s[0:1], 0x80
	s_and_not1_b32 vcc_lo, exec_lo, s14
	s_cbranch_vccnz .LBB13_37
; %bb.23:
	s_wait_xcnt 0x0
	s_load_b64 s[2:3], s[0:1], 0x58
	s_wait_kmcnt 0x0
	s_ashr_i32 s21, s20, 31
	v_subrev_nc_u32_e32 v2, s19, v0
	s_lshl_b64 s[4:5], s[20:21], 2
	s_delay_alu instid0(SALU_CYCLE_1)
	s_add_nc_u64 s[2:3], s[2:3], s[4:5]
	s_load_b64 s[4:5], s[2:3], 0x0
	s_wait_xcnt 0x0
	s_mov_b32 s3, exec_lo
	s_wait_kmcnt 0x0
	v_add_nc_u32_e32 v2, s4, v2
	s_sub_co_i32 s2, s5, s19
	s_delay_alu instid0(VALU_DEP_1) | instid1(SALU_CYCLE_1)
	v_cmpx_gt_i32_e64 s2, v2
	s_cbranch_execz .LBB13_36
; %bb.24:
	s_load_b128 s[4:7], s[0:1], 0x60
	s_mov_b32 s8, 0
	s_branch .LBB13_27
.LBB13_25:                              ;   in Loop: Header=BB13_27 Depth=1
	s_or_b32 exec_lo, exec_lo, s10
.LBB13_26:                              ;   in Loop: Header=BB13_27 Depth=1
	s_delay_alu instid0(SALU_CYCLE_1) | instskip(SKIP_3) | instid1(VALU_DEP_2)
	s_or_b32 exec_lo, exec_lo, s9
	s_wait_loadcnt 0x0
	v_dual_mul_f32 v3, s12, v3 :: v_dual_add_nc_u32 v2, 0x400, v2
	v_lshl_add_u32 v5, v5, 2, 0
	v_cmp_le_i32_e32 vcc_lo, s2, v2
	ds_add_f32 v5, v3 offset:32768
	s_or_b32 s8, vcc_lo, s8
	s_delay_alu instid0(SALU_CYCLE_1)
	s_and_not1_b32 exec_lo, exec_lo, s8
	s_cbranch_execz .LBB13_36
.LBB13_27:                              ; =>This Loop Header: Depth=1
                                        ;     Child Loop BB13_30 Depth 2
	s_wait_kmcnt 0x0
	s_clause 0x1
	global_load_b32 v5, v2, s[4:5] scale_offset
	global_load_b32 v3, v2, s[6:7] scale_offset
	s_mov_b32 s9, exec_lo
	s_wait_loadcnt 0x1
	v_subrev_nc_u32_e32 v6, s19, v5
	s_delay_alu instid0(VALU_DEP_1) | instskip(NEXT) | instid1(VALU_DEP_1)
	v_mul_lo_u32 v5, 0x89, v6
	v_and_b32_e32 v5, 0x1fff, v5
	s_delay_alu instid0(VALU_DEP_1)
	v_lshl_add_u32 v7, v5, 2, 0
	ds_load_b32 v8, v7
	s_wait_dscnt 0x0
	s_wait_xcnt 0x0
	v_cmpx_ne_u32_e64 v8, v6
	s_cbranch_execz .LBB13_26
; %bb.28:                               ;   in Loop: Header=BB13_27 Depth=1
	s_mov_b32 s10, 0
	s_branch .LBB13_30
.LBB13_29:                              ;   in Loop: Header=BB13_30 Depth=2
	s_or_b32 exec_lo, exec_lo, s14
	s_delay_alu instid0(SALU_CYCLE_1) | instskip(NEXT) | instid1(SALU_CYCLE_1)
	s_and_b32 s11, exec_lo, s13
	s_or_b32 s10, s11, s10
	s_delay_alu instid0(SALU_CYCLE_1)
	s_and_not1_b32 exec_lo, exec_lo, s10
	s_cbranch_execz .LBB13_25
.LBB13_30:                              ;   Parent Loop BB13_27 Depth=1
                                        ; =>  This Inner Loop Header: Depth=2
	s_mov_b32 s11, 0
	s_mov_b32 s13, exec_lo
	v_cmpx_ne_u32_e64 s24, v8
	s_xor_b32 s13, exec_lo, s13
	s_cbranch_execz .LBB13_32
; %bb.31:                               ;   in Loop: Header=BB13_30 Depth=2
	v_add_nc_u32_e32 v5, 1, v5
	s_mov_b32 s11, exec_lo
                                        ; implicit-def: $vgpr7
	s_delay_alu instid0(VALU_DEP_1)
	v_and_b32_e32 v5, 0x1fff, v5
	s_and_not1_saveexec_b32 s13, s13
	s_cbranch_execz .LBB13_34
	s_branch .LBB13_33
.LBB13_32:                              ;   in Loop: Header=BB13_30 Depth=2
	s_and_not1_saveexec_b32 s13, s13
	s_cbranch_execz .LBB13_34
.LBB13_33:                              ;   in Loop: Header=BB13_30 Depth=2
	v_mov_b32_e32 v8, s24
	s_and_not1_b32 s11, s11, exec_lo
	ds_cmpstore_rtn_b32 v7, v7, v6, v8
	s_wait_dscnt 0x0
	v_cmp_ne_u32_e32 vcc_lo, s24, v7
	s_and_b32 s14, vcc_lo, exec_lo
	s_delay_alu instid0(SALU_CYCLE_1)
	s_or_b32 s11, s11, s14
.LBB13_34:                              ;   in Loop: Header=BB13_30 Depth=2
	s_or_b32 exec_lo, exec_lo, s13
	s_mov_b32 s13, -1
                                        ; implicit-def: $vgpr7
                                        ; implicit-def: $vgpr8
	s_and_saveexec_b32 s14, s11
	s_cbranch_execz .LBB13_29
; %bb.35:                               ;   in Loop: Header=BB13_30 Depth=2
	v_lshl_add_u32 v7, v5, 2, 0
	ds_load_b32 v8, v7
	s_wait_dscnt 0x0
	v_cmp_eq_u32_e32 vcc_lo, v8, v6
	s_or_not1_b32 s13, vcc_lo, exec_lo
	s_branch .LBB13_29
.LBB13_36:
	s_or_b32 exec_lo, exec_lo, s3
.LBB13_37:
	s_load_b64 s[22:23], s[0:1], 0x70
	v_mbcnt_lo_u32_b32 v2, -1, 0
	v_lshlrev_b32_e32 v4, 2, v4
	s_add_co_i32 s36, 0, 0x1003c
	s_delay_alu instid0(SALU_CYCLE_1) | instskip(NEXT) | instid1(VALU_DEP_3)
	v_dual_mov_b32 v3, 0 :: v_dual_mov_b32 v8, s36
	v_xor_b32_e32 v2, 31, v2
	s_delay_alu instid0(VALU_DEP_3)
	v_add3_u32 v6, 0x10000, 0, v4
	s_wait_xcnt 0x0
	v_cmp_lt_u32_e64 s0, 63, v0
	v_cmp_lt_u32_e64 s1, 0x7f, v0
	;; [unrolled: 1-line block ×3, first 2 shown]
	v_lshrrev_b32_e64 v2, v2, -1
	v_cmp_lt_u32_e64 s3, 0xff, v0
	v_cmp_lt_u32_e64 s4, 0x13f, v0
	;; [unrolled: 1-line block ×12, first 2 shown]
	v_or_b32_e32 v7, 0xfffffc00, v0
	s_mov_b32 s19, 0
	s_add_co_i32 s21, 0, 0x10000
	s_add_co_i32 s25, 0, 0x10004
	;; [unrolled: 1-line block ×15, first 2 shown]
	s_wait_dscnt 0x0
	s_barrier_signal -1
	s_barrier_wait -1
	v_cmp_eq_u32_e32 vcc_lo, 0x3ff, v0
	s_branch .LBB13_39
.LBB13_38:                              ;   in Loop: Header=BB13_39 Depth=1
	s_or_b32 exec_lo, exec_lo, s15
	s_wait_dscnt 0x0
	s_barrier_signal -1
	s_barrier_wait -1
	ds_load_b32 v4, v8
	v_add_nc_u32_e32 v7, 0x400, v7
	v_add_nc_u32_e32 v1, 0x1000, v1
	s_delay_alu instid0(VALU_DEP_2)
	v_cmp_lt_u32_e64 s15, 0x1bff, v7
	s_or_b32 s19, s15, s19
	s_wait_dscnt 0x0
	v_add_nc_u32_e32 v3, v4, v3
	s_and_not1_b32 exec_lo, exec_lo, s19
	s_cbranch_execz .LBB13_73
.LBB13_39:                              ; =>This Inner Loop Header: Depth=1
	ds_load_2addr_stride64_b32 v[4:5], v1 offset1:128
	s_wait_dscnt 0x0
	s_barrier_signal -1
	s_barrier_wait -1
	v_cmp_gt_i32_e64 s15, s24, v4
	s_bcnt1_i32_b32 s41, s15
	s_delay_alu instid0(SALU_CYCLE_1) | instskip(NEXT) | instid1(VALU_DEP_1)
	v_dual_mov_b32 v10, s41 :: v_dual_bitop2_b32 v9, s15, v2 bitop3:0x40
	v_bcnt_u32_b32 v9, v9, 0
	ds_store_b32 v6, v10
	s_wait_dscnt 0x0
	s_barrier_signal -1
	s_barrier_wait -1
	s_and_saveexec_b32 s41, s0
	s_cbranch_execz .LBB13_56
; %bb.40:                               ;   in Loop: Header=BB13_39 Depth=1
	v_mov_b32_e32 v10, s21
	ds_load_b32 v10, v10
	s_wait_dscnt 0x0
	v_add_nc_u32_e32 v9, v10, v9
	s_or_b32 exec_lo, exec_lo, s41
	s_and_saveexec_b32 s41, s1
	s_cbranch_execnz .LBB13_57
.LBB13_41:                              ;   in Loop: Header=BB13_39 Depth=1
	s_or_b32 exec_lo, exec_lo, s41
	s_and_saveexec_b32 s41, s2
	s_cbranch_execz .LBB13_58
.LBB13_42:                              ;   in Loop: Header=BB13_39 Depth=1
	v_mov_b32_e32 v10, s26
	ds_load_b32 v10, v10
	s_wait_dscnt 0x0
	v_add_nc_u32_e32 v9, v10, v9
	s_or_b32 exec_lo, exec_lo, s41
	s_and_saveexec_b32 s41, s3
	s_cbranch_execnz .LBB13_59
.LBB13_43:                              ;   in Loop: Header=BB13_39 Depth=1
	s_or_b32 exec_lo, exec_lo, s41
	s_and_saveexec_b32 s41, s4
	s_cbranch_execz .LBB13_60
.LBB13_44:                              ;   in Loop: Header=BB13_39 Depth=1
	v_mov_b32_e32 v10, s28
	ds_load_b32 v10, v10
	s_wait_dscnt 0x0
	v_add_nc_u32_e32 v9, v10, v9
	s_or_b32 exec_lo, exec_lo, s41
	s_and_saveexec_b32 s41, s5
	s_cbranch_execnz .LBB13_61
.LBB13_45:                              ;   in Loop: Header=BB13_39 Depth=1
	s_or_b32 exec_lo, exec_lo, s41
	s_and_saveexec_b32 s41, s6
	s_cbranch_execz .LBB13_62
.LBB13_46:                              ;   in Loop: Header=BB13_39 Depth=1
	v_mov_b32_e32 v10, s30
	ds_load_b32 v10, v10
	s_wait_dscnt 0x0
	v_add_nc_u32_e32 v9, v10, v9
	s_or_b32 exec_lo, exec_lo, s41
	s_and_saveexec_b32 s41, s7
	s_cbranch_execnz .LBB13_63
.LBB13_47:                              ;   in Loop: Header=BB13_39 Depth=1
	s_or_b32 exec_lo, exec_lo, s41
	s_and_saveexec_b32 s41, s8
	s_cbranch_execz .LBB13_64
.LBB13_48:                              ;   in Loop: Header=BB13_39 Depth=1
	v_mov_b32_e32 v10, s33
	ds_load_b32 v10, v10
	s_wait_dscnt 0x0
	v_add_nc_u32_e32 v9, v10, v9
	s_or_b32 exec_lo, exec_lo, s41
	s_and_saveexec_b32 s41, s9
	s_cbranch_execnz .LBB13_65
.LBB13_49:                              ;   in Loop: Header=BB13_39 Depth=1
	s_or_b32 exec_lo, exec_lo, s41
	s_and_saveexec_b32 s41, s10
	s_cbranch_execz .LBB13_66
.LBB13_50:                              ;   in Loop: Header=BB13_39 Depth=1
	v_mov_b32_e32 v10, s35
	ds_load_b32 v10, v10
	s_wait_dscnt 0x0
	v_add_nc_u32_e32 v9, v10, v9
	s_or_b32 exec_lo, exec_lo, s41
	s_and_saveexec_b32 s41, s11
	s_cbranch_execnz .LBB13_67
.LBB13_51:                              ;   in Loop: Header=BB13_39 Depth=1
	s_or_b32 exec_lo, exec_lo, s41
	s_and_saveexec_b32 s41, s12
	s_cbranch_execz .LBB13_68
.LBB13_52:                              ;   in Loop: Header=BB13_39 Depth=1
	v_mov_b32_e32 v10, s38
	ds_load_b32 v10, v10
	s_wait_dscnt 0x0
	v_add_nc_u32_e32 v9, v10, v9
	s_or_b32 exec_lo, exec_lo, s41
	s_and_saveexec_b32 s41, s13
	s_cbranch_execnz .LBB13_69
.LBB13_53:                              ;   in Loop: Header=BB13_39 Depth=1
	s_or_b32 exec_lo, exec_lo, s41
	s_and_saveexec_b32 s41, s14
	s_cbranch_execz .LBB13_70
.LBB13_54:                              ;   in Loop: Header=BB13_39 Depth=1
	v_mov_b32_e32 v10, s40
	ds_load_b32 v10, v10
	s_wait_dscnt 0x0
	v_add_nc_u32_e32 v9, v10, v9
	s_or_b32 exec_lo, exec_lo, s41
	s_and_saveexec_b32 s41, s15
	s_cbranch_execnz .LBB13_71
.LBB13_55:                              ;   in Loop: Header=BB13_39 Depth=1
	s_or_b32 exec_lo, exec_lo, s41
	s_and_saveexec_b32 s15, vcc_lo
	s_cbranch_execz .LBB13_38
	s_branch .LBB13_72
.LBB13_56:                              ;   in Loop: Header=BB13_39 Depth=1
	s_or_b32 exec_lo, exec_lo, s41
	s_and_saveexec_b32 s41, s1
	s_cbranch_execz .LBB13_41
.LBB13_57:                              ;   in Loop: Header=BB13_39 Depth=1
	v_mov_b32_e32 v10, s25
	ds_load_b32 v10, v10
	s_wait_dscnt 0x0
	v_add_nc_u32_e32 v9, v10, v9
	s_or_b32 exec_lo, exec_lo, s41
	s_and_saveexec_b32 s41, s2
	s_cbranch_execnz .LBB13_42
.LBB13_58:                              ;   in Loop: Header=BB13_39 Depth=1
	s_or_b32 exec_lo, exec_lo, s41
	s_and_saveexec_b32 s41, s3
	s_cbranch_execz .LBB13_43
.LBB13_59:                              ;   in Loop: Header=BB13_39 Depth=1
	v_mov_b32_e32 v10, s27
	ds_load_b32 v10, v10
	s_wait_dscnt 0x0
	v_add_nc_u32_e32 v9, v10, v9
	s_or_b32 exec_lo, exec_lo, s41
	s_and_saveexec_b32 s41, s4
	s_cbranch_execnz .LBB13_44
.LBB13_60:                              ;   in Loop: Header=BB13_39 Depth=1
	s_or_b32 exec_lo, exec_lo, s41
	s_and_saveexec_b32 s41, s5
	s_cbranch_execz .LBB13_45
.LBB13_61:                              ;   in Loop: Header=BB13_39 Depth=1
	v_mov_b32_e32 v10, s29
	ds_load_b32 v10, v10
	s_wait_dscnt 0x0
	v_add_nc_u32_e32 v9, v10, v9
	s_or_b32 exec_lo, exec_lo, s41
	s_and_saveexec_b32 s41, s6
	s_cbranch_execnz .LBB13_46
.LBB13_62:                              ;   in Loop: Header=BB13_39 Depth=1
	s_or_b32 exec_lo, exec_lo, s41
	s_and_saveexec_b32 s41, s7
	s_cbranch_execz .LBB13_47
.LBB13_63:                              ;   in Loop: Header=BB13_39 Depth=1
	v_mov_b32_e32 v10, s31
	ds_load_b32 v10, v10
	s_wait_dscnt 0x0
	v_add_nc_u32_e32 v9, v10, v9
	s_or_b32 exec_lo, exec_lo, s41
	s_and_saveexec_b32 s41, s8
	s_cbranch_execnz .LBB13_48
.LBB13_64:                              ;   in Loop: Header=BB13_39 Depth=1
	s_or_b32 exec_lo, exec_lo, s41
	s_and_saveexec_b32 s41, s9
	s_cbranch_execz .LBB13_49
.LBB13_65:                              ;   in Loop: Header=BB13_39 Depth=1
	v_mov_b32_e32 v10, s34
	ds_load_b32 v10, v10
	s_wait_dscnt 0x0
	v_add_nc_u32_e32 v9, v10, v9
	s_or_b32 exec_lo, exec_lo, s41
	s_and_saveexec_b32 s41, s10
	s_cbranch_execnz .LBB13_50
.LBB13_66:                              ;   in Loop: Header=BB13_39 Depth=1
	s_or_b32 exec_lo, exec_lo, s41
	s_and_saveexec_b32 s41, s11
	s_cbranch_execz .LBB13_51
.LBB13_67:                              ;   in Loop: Header=BB13_39 Depth=1
	v_mov_b32_e32 v10, s37
	ds_load_b32 v10, v10
	s_wait_dscnt 0x0
	v_add_nc_u32_e32 v9, v10, v9
	s_or_b32 exec_lo, exec_lo, s41
	s_and_saveexec_b32 s41, s12
	s_cbranch_execnz .LBB13_52
.LBB13_68:                              ;   in Loop: Header=BB13_39 Depth=1
	s_or_b32 exec_lo, exec_lo, s41
	s_and_saveexec_b32 s41, s13
	s_cbranch_execz .LBB13_53
.LBB13_69:                              ;   in Loop: Header=BB13_39 Depth=1
	v_mov_b32_e32 v10, s39
	ds_load_b32 v10, v10
	s_wait_dscnt 0x0
	v_add_nc_u32_e32 v9, v10, v9
	s_or_b32 exec_lo, exec_lo, s41
	s_and_saveexec_b32 s41, s14
	s_cbranch_execnz .LBB13_54
.LBB13_70:                              ;   in Loop: Header=BB13_39 Depth=1
	s_or_b32 exec_lo, exec_lo, s41
	s_and_saveexec_b32 s41, s15
	s_cbranch_execz .LBB13_55
.LBB13_71:                              ;   in Loop: Header=BB13_39 Depth=1
	s_delay_alu instid0(VALU_DEP_1) | instskip(SKIP_1) | instid1(VALU_DEP_2)
	v_add3_u32 v10, v3, -1, v9
	v_add_nc_u32_e32 v11, v3, v9
	v_lshl_add_u32 v10, v10, 2, 0
	s_delay_alu instid0(VALU_DEP_2)
	v_lshl_add_u32 v11, v11, 2, 0
	ds_store_b32 v10, v4
	ds_store_b32 v11, v5 offset:32764
	s_or_b32 exec_lo, exec_lo, s41
	s_and_saveexec_b32 s15, vcc_lo
	s_cbranch_execz .LBB13_38
.LBB13_72:                              ;   in Loop: Header=BB13_39 Depth=1
	v_mov_b32_e32 v4, s36
	ds_store_b32 v4, v9
	s_branch .LBB13_38
.LBB13_73:
	s_or_b32 exec_lo, exec_lo, s19
	s_wait_kmcnt 0x0
	s_ashr_i32 s21, s20, 31
	s_delay_alu instid0(SALU_CYCLE_1) | instskip(NEXT) | instid1(SALU_CYCLE_1)
	s_lshl_b64 s[0:1], s[20:21], 2
	s_add_nc_u64 s[2:3], s[22:23], s[0:1]
	s_load_b64 s[0:1], s[2:3], 0x0
	s_wait_kmcnt 0x0
	s_sub_co_i32 s4, s1, s0
	s_mov_b32 s1, exec_lo
	v_cmpx_gt_i32_e64 s4, v0
	s_cbranch_execz .LBB13_87
; %bb.74:
	v_sub_co_u32 v1, s1, s4, 2
	s_sub_co_i32 s2, s0, s18
	s_xor_b32 s6, s1, -1
	s_and_b32 s5, s4, -2
	v_readfirstlane_b32 s3, v1
	s_lshr_b32 s0, s3, 1
	s_mov_b32 s3, 0
	s_add_co_i32 s0, s0, 1
	s_mov_b32 s11, s3
	s_and_b32 s1, s0, 7
	s_and_b32 s7, s0, -8
	s_cmp_lg_u32 s1, 0
	v_cmp_lt_u32_e64 s0, 13, v1
	s_cselect_b32 s8, -1, 0
	s_cmp_lg_u32 s4, s5
	s_cselect_b32 s9, -1, 0
	s_lshl_b32 s10, s1, 3
	s_branch .LBB13_76
.LBB13_75:                              ;   in Loop: Header=BB13_76 Depth=1
	v_add_nc_u32_e32 v0, 0x400, v0
	s_wait_dscnt 0x0
	global_store_b32 v1, v3, s[16:17] scale_offset
	v_cmp_le_i32_e32 vcc_lo, s4, v0
	s_or_b32 s11, vcc_lo, s11
	s_wait_xcnt 0x0
	s_and_not1_b32 exec_lo, exec_lo, s11
	s_cbranch_execz .LBB13_87
.LBB13_76:                              ; =>This Loop Header: Depth=1
                                        ;     Child Loop BB13_79 Depth 2
                                        ;     Child Loop BB13_82 Depth 2
	;; [unrolled: 1-line block ×3, first 2 shown]
	v_lshl_add_u32 v1, v0, 2, 0
	s_and_not1_b32 vcc_lo, exec_lo, s6
	s_mov_b32 s1, 0
	s_mov_b32 s12, -1
	ds_load_2addr_stride64_b32 v[2:3], v1 offset1:128
	v_mov_b32_e32 v1, s2
	s_cbranch_vccnz .LBB13_84
; %bb.77:                               ;   in Loop: Header=BB13_76 Depth=1
	v_mov_b64_e32 v[4:5], s[2:3]
	s_and_not1_b32 vcc_lo, exec_lo, s0
	s_mov_b32 s12, 0
	s_cbranch_vccnz .LBB13_80
; %bb.78:                               ;   in Loop: Header=BB13_76 Depth=1
	v_dual_mov_b32 v4, s2 :: v_dual_mov_b32 v5, 0
	s_mov_b32 s13, 0
	s_mov_b32 s14, s7
.LBB13_79:                              ;   Parent Loop BB13_76 Depth=1
                                        ; =>  This Inner Loop Header: Depth=2
	v_mov_b32_e32 v1, s13
	s_add_co_i32 s14, s14, -8
	s_add_co_i32 s12, s12, 16
	s_add_co_i32 s13, s13, 64
	s_cmp_lg_u32 s14, 0
	ds_load_2addr_b32 v[6:7], v1 offset1:1
	ds_load_2addr_b32 v[8:9], v1 offset0:2 offset1:3
	ds_load_2addr_b32 v[10:11], v1 offset0:4 offset1:5
	;; [unrolled: 1-line block ×7, first 2 shown]
	s_wait_dscnt 0x7
	v_cmp_gt_i32_e32 vcc_lo, v2, v7
	s_wait_dscnt 0x5
	v_cmp_gt_i32_e64 s1, v2, v10
	v_cndmask_b32_e64 v1, 0, 1, vcc_lo
	v_cmp_gt_i32_e32 vcc_lo, v2, v6
	s_delay_alu instid0(VALU_DEP_3) | instskip(SKIP_3) | instid1(VALU_DEP_3)
	v_cndmask_b32_e64 v7, 0, 1, s1
	v_cmp_gt_i32_e64 s1, v2, v11
	v_cndmask_b32_e64 v6, 0, 1, vcc_lo
	v_cmp_gt_i32_e32 vcc_lo, v2, v8
	v_cndmask_b32_e64 v8, 0, 1, s1
	s_wait_dscnt 0x4
	v_cmp_gt_i32_e64 s1, v2, v13
	v_add_co_ci_u32_e64 v4, null, v4, v6, vcc_lo
	s_delay_alu instid0(VALU_DEP_2) | instskip(SKIP_3) | instid1(VALU_DEP_2)
	v_cndmask_b32_e64 v10, 0, 1, s1
	v_cmp_gt_i32_e64 s1, v2, v12
	s_wait_dscnt 0x2
	v_cmp_gt_i32_e32 vcc_lo, v2, v16
	v_cndmask_b32_e64 v11, 0, 1, s1
	v_cmp_gt_i32_e64 s1, v2, v14
	v_add_co_ci_u32_e64 v4, null, v4, v7, vcc_lo
	s_wait_dscnt 0x1
	v_cmp_gt_i32_e32 vcc_lo, v2, v18
	s_delay_alu instid0(VALU_DEP_3) | instskip(SKIP_4) | instid1(VALU_DEP_3)
	v_cndmask_b32_e64 v12, 0, 1, s1
	v_cmp_gt_i32_e64 s1, v2, v15
	v_add_co_ci_u32_e64 v4, null, v4, v11, vcc_lo
	s_wait_dscnt 0x0
	v_cmp_gt_i32_e32 vcc_lo, v2, v20
	v_cndmask_b32_e64 v13, 0, 1, s1
	v_cmp_gt_i32_e64 s1, v2, v9
	v_add_co_ci_u32_e64 v4, null, v4, v12, vcc_lo
	s_delay_alu instid0(VALU_DEP_2) | instskip(SKIP_1) | instid1(VALU_DEP_1)
	v_add_co_ci_u32_e64 v1, null, v5, v1, s1
	v_cmp_gt_i32_e64 s1, v2, v17
	v_add_co_ci_u32_e64 v1, null, v1, v8, s1
	v_cmp_gt_i32_e64 s1, v2, v19
	s_delay_alu instid0(VALU_DEP_1) | instskip(SKIP_1) | instid1(VALU_DEP_1)
	v_add_co_ci_u32_e64 v1, null, v1, v10, s1
	v_cmp_gt_i32_e64 s1, v2, v21
	v_add_co_ci_u32_e64 v5, null, v1, v13, s1
	s_cbranch_scc1 .LBB13_79
.LBB13_80:                              ;   in Loop: Header=BB13_76 Depth=1
	s_and_not1_b32 vcc_lo, exec_lo, s8
	s_cbranch_vccnz .LBB13_83
; %bb.81:                               ;   in Loop: Header=BB13_76 Depth=1
	s_lshl_b32 s1, s12, 2
	s_mov_b32 s12, s10
	s_add_co_i32 s1, s1, 0
.LBB13_82:                              ;   Parent Loop BB13_76 Depth=1
                                        ; =>  This Inner Loop Header: Depth=2
	s_delay_alu instid0(SALU_CYCLE_1)
	v_mov_b32_e32 v1, s1
	s_add_co_i32 s12, s12, -8
	s_add_co_i32 s1, s1, 8
	s_cmp_lg_u32 s12, 0
	ds_load_2addr_b32 v[6:7], v1 offset1:1
	s_wait_dscnt 0x0
	v_cmp_gt_i32_e32 vcc_lo, v2, v7
	v_add_co_ci_u32_e64 v5, null, 0, v5, vcc_lo
	v_cmp_gt_i32_e32 vcc_lo, v2, v6
	v_add_co_ci_u32_e64 v4, null, 0, v4, vcc_lo
	s_cbranch_scc1 .LBB13_82
.LBB13_83:                              ;   in Loop: Header=BB13_76 Depth=1
	s_delay_alu instid0(VALU_DEP_1)
	v_add_nc_u32_e32 v1, v4, v5
	s_mov_b32 s1, s5
	s_mov_b32 s12, s9
.LBB13_84:                              ;   in Loop: Header=BB13_76 Depth=1
	s_delay_alu instid0(SALU_CYCLE_1)
	s_and_b32 vcc_lo, exec_lo, s12
	s_cbranch_vccz .LBB13_75
; %bb.85:                               ;   in Loop: Header=BB13_76 Depth=1
	s_lshl_b32 s12, s1, 2
	s_delay_alu instid0(SALU_CYCLE_1)
	s_add_co_i32 s12, s12, 0
.LBB13_86:                              ;   Parent Loop BB13_76 Depth=1
                                        ; =>  This Inner Loop Header: Depth=2
	s_delay_alu instid0(SALU_CYCLE_1)
	v_mov_b32_e32 v4, s12
	s_add_co_i32 s1, s1, 1
	s_add_co_i32 s12, s12, 4
	s_cmp_ge_i32 s1, s4
	ds_load_b32 v4, v4
	s_wait_dscnt 0x0
	v_cmp_gt_i32_e32 vcc_lo, v2, v4
	v_add_co_ci_u32_e64 v1, null, 0, v1, vcc_lo
	s_cbranch_scc0 .LBB13_86
	s_branch .LBB13_75
.LBB13_87:
	s_endpgm
	.section	.rodata,"a",@progbits
	.p2align	6, 0x0
	.amdhsa_kernel _ZN9rocsparseL41csrgemm_numeric_fill_block_per_row_kernelILj1024ELj64ELj8192ELj137ELj64EiifEEvT5_PKS1_S3_NS_24const_host_device_scalarIT6_EEPKT4_S3_PKS5_S9_S3_SB_S6_S9_S3_SB_S9_S3_PS5_21rocsparse_index_base_SD_SD_SD_bbb
		.amdhsa_group_segment_fixed_size 0
		.amdhsa_private_segment_fixed_size 0
		.amdhsa_kernarg_size 156
		.amdhsa_user_sgpr_count 2
		.amdhsa_user_sgpr_dispatch_ptr 0
		.amdhsa_user_sgpr_queue_ptr 0
		.amdhsa_user_sgpr_kernarg_segment_ptr 1
		.amdhsa_user_sgpr_dispatch_id 0
		.amdhsa_user_sgpr_kernarg_preload_length 0
		.amdhsa_user_sgpr_kernarg_preload_offset 0
		.amdhsa_user_sgpr_private_segment_size 0
		.amdhsa_wavefront_size32 1
		.amdhsa_uses_dynamic_stack 0
		.amdhsa_enable_private_segment 0
		.amdhsa_system_sgpr_workgroup_id_x 1
		.amdhsa_system_sgpr_workgroup_id_y 0
		.amdhsa_system_sgpr_workgroup_id_z 0
		.amdhsa_system_sgpr_workgroup_info 0
		.amdhsa_system_vgpr_workitem_id 0
		.amdhsa_next_free_vgpr 22
		.amdhsa_next_free_sgpr 42
		.amdhsa_named_barrier_count 0
		.amdhsa_reserve_vcc 1
		.amdhsa_float_round_mode_32 0
		.amdhsa_float_round_mode_16_64 0
		.amdhsa_float_denorm_mode_32 3
		.amdhsa_float_denorm_mode_16_64 3
		.amdhsa_fp16_overflow 0
		.amdhsa_memory_ordered 1
		.amdhsa_forward_progress 1
		.amdhsa_inst_pref_size 28
		.amdhsa_round_robin_scheduling 0
		.amdhsa_exception_fp_ieee_invalid_op 0
		.amdhsa_exception_fp_denorm_src 0
		.amdhsa_exception_fp_ieee_div_zero 0
		.amdhsa_exception_fp_ieee_overflow 0
		.amdhsa_exception_fp_ieee_underflow 0
		.amdhsa_exception_fp_ieee_inexact 0
		.amdhsa_exception_int_div_zero 0
	.end_amdhsa_kernel
	.section	.text._ZN9rocsparseL41csrgemm_numeric_fill_block_per_row_kernelILj1024ELj64ELj8192ELj137ELj64EiifEEvT5_PKS1_S3_NS_24const_host_device_scalarIT6_EEPKT4_S3_PKS5_S9_S3_SB_S6_S9_S3_SB_S9_S3_PS5_21rocsparse_index_base_SD_SD_SD_bbb,"axG",@progbits,_ZN9rocsparseL41csrgemm_numeric_fill_block_per_row_kernelILj1024ELj64ELj8192ELj137ELj64EiifEEvT5_PKS1_S3_NS_24const_host_device_scalarIT6_EEPKT4_S3_PKS5_S9_S3_SB_S6_S9_S3_SB_S9_S3_PS5_21rocsparse_index_base_SD_SD_SD_bbb,comdat
.Lfunc_end13:
	.size	_ZN9rocsparseL41csrgemm_numeric_fill_block_per_row_kernelILj1024ELj64ELj8192ELj137ELj64EiifEEvT5_PKS1_S3_NS_24const_host_device_scalarIT6_EEPKT4_S3_PKS5_S9_S3_SB_S6_S9_S3_SB_S9_S3_PS5_21rocsparse_index_base_SD_SD_SD_bbb, .Lfunc_end13-_ZN9rocsparseL41csrgemm_numeric_fill_block_per_row_kernelILj1024ELj64ELj8192ELj137ELj64EiifEEvT5_PKS1_S3_NS_24const_host_device_scalarIT6_EEPKT4_S3_PKS5_S9_S3_SB_S6_S9_S3_SB_S9_S3_PS5_21rocsparse_index_base_SD_SD_SD_bbb
                                        ; -- End function
	.set _ZN9rocsparseL41csrgemm_numeric_fill_block_per_row_kernelILj1024ELj64ELj8192ELj137ELj64EiifEEvT5_PKS1_S3_NS_24const_host_device_scalarIT6_EEPKT4_S3_PKS5_S9_S3_SB_S6_S9_S3_SB_S9_S3_PS5_21rocsparse_index_base_SD_SD_SD_bbb.num_vgpr, 22
	.set _ZN9rocsparseL41csrgemm_numeric_fill_block_per_row_kernelILj1024ELj64ELj8192ELj137ELj64EiifEEvT5_PKS1_S3_NS_24const_host_device_scalarIT6_EEPKT4_S3_PKS5_S9_S3_SB_S6_S9_S3_SB_S9_S3_PS5_21rocsparse_index_base_SD_SD_SD_bbb.num_agpr, 0
	.set _ZN9rocsparseL41csrgemm_numeric_fill_block_per_row_kernelILj1024ELj64ELj8192ELj137ELj64EiifEEvT5_PKS1_S3_NS_24const_host_device_scalarIT6_EEPKT4_S3_PKS5_S9_S3_SB_S6_S9_S3_SB_S9_S3_PS5_21rocsparse_index_base_SD_SD_SD_bbb.numbered_sgpr, 42
	.set _ZN9rocsparseL41csrgemm_numeric_fill_block_per_row_kernelILj1024ELj64ELj8192ELj137ELj64EiifEEvT5_PKS1_S3_NS_24const_host_device_scalarIT6_EEPKT4_S3_PKS5_S9_S3_SB_S6_S9_S3_SB_S9_S3_PS5_21rocsparse_index_base_SD_SD_SD_bbb.num_named_barrier, 0
	.set _ZN9rocsparseL41csrgemm_numeric_fill_block_per_row_kernelILj1024ELj64ELj8192ELj137ELj64EiifEEvT5_PKS1_S3_NS_24const_host_device_scalarIT6_EEPKT4_S3_PKS5_S9_S3_SB_S6_S9_S3_SB_S9_S3_PS5_21rocsparse_index_base_SD_SD_SD_bbb.private_seg_size, 0
	.set _ZN9rocsparseL41csrgemm_numeric_fill_block_per_row_kernelILj1024ELj64ELj8192ELj137ELj64EiifEEvT5_PKS1_S3_NS_24const_host_device_scalarIT6_EEPKT4_S3_PKS5_S9_S3_SB_S6_S9_S3_SB_S9_S3_PS5_21rocsparse_index_base_SD_SD_SD_bbb.uses_vcc, 1
	.set _ZN9rocsparseL41csrgemm_numeric_fill_block_per_row_kernelILj1024ELj64ELj8192ELj137ELj64EiifEEvT5_PKS1_S3_NS_24const_host_device_scalarIT6_EEPKT4_S3_PKS5_S9_S3_SB_S6_S9_S3_SB_S9_S3_PS5_21rocsparse_index_base_SD_SD_SD_bbb.uses_flat_scratch, 0
	.set _ZN9rocsparseL41csrgemm_numeric_fill_block_per_row_kernelILj1024ELj64ELj8192ELj137ELj64EiifEEvT5_PKS1_S3_NS_24const_host_device_scalarIT6_EEPKT4_S3_PKS5_S9_S3_SB_S6_S9_S3_SB_S9_S3_PS5_21rocsparse_index_base_SD_SD_SD_bbb.has_dyn_sized_stack, 0
	.set _ZN9rocsparseL41csrgemm_numeric_fill_block_per_row_kernelILj1024ELj64ELj8192ELj137ELj64EiifEEvT5_PKS1_S3_NS_24const_host_device_scalarIT6_EEPKT4_S3_PKS5_S9_S3_SB_S6_S9_S3_SB_S9_S3_PS5_21rocsparse_index_base_SD_SD_SD_bbb.has_recursion, 0
	.set _ZN9rocsparseL41csrgemm_numeric_fill_block_per_row_kernelILj1024ELj64ELj8192ELj137ELj64EiifEEvT5_PKS1_S3_NS_24const_host_device_scalarIT6_EEPKT4_S3_PKS5_S9_S3_SB_S6_S9_S3_SB_S9_S3_PS5_21rocsparse_index_base_SD_SD_SD_bbb.has_indirect_call, 0
	.section	.AMDGPU.csdata,"",@progbits
; Kernel info:
; codeLenInByte = 3576
; TotalNumSgprs: 44
; NumVgprs: 22
; ScratchSize: 0
; MemoryBound: 0
; FloatMode: 240
; IeeeMode: 1
; LDSByteSize: 0 bytes/workgroup (compile time only)
; SGPRBlocks: 0
; VGPRBlocks: 1
; NumSGPRsForWavesPerEU: 44
; NumVGPRsForWavesPerEU: 22
; NamedBarCnt: 0
; Occupancy: 16
; WaveLimiterHint : 1
; COMPUTE_PGM_RSRC2:SCRATCH_EN: 0
; COMPUTE_PGM_RSRC2:USER_SGPR: 2
; COMPUTE_PGM_RSRC2:TRAP_HANDLER: 0
; COMPUTE_PGM_RSRC2:TGID_X_EN: 1
; COMPUTE_PGM_RSRC2:TGID_Y_EN: 0
; COMPUTE_PGM_RSRC2:TGID_Z_EN: 0
; COMPUTE_PGM_RSRC2:TIDIG_COMP_CNT: 0
	.section	.text._ZN9rocsparseL41csrgemm_numeric_fill_block_per_row_kernelILj1024ELj64ELj16384ELj137ELj32EiifEEvT5_PKS1_S3_NS_24const_host_device_scalarIT6_EEPKT4_S3_PKS5_S9_S3_SB_S6_S9_S3_SB_S9_S3_PS5_21rocsparse_index_base_SD_SD_SD_bbb,"axG",@progbits,_ZN9rocsparseL41csrgemm_numeric_fill_block_per_row_kernelILj1024ELj64ELj16384ELj137ELj32EiifEEvT5_PKS1_S3_NS_24const_host_device_scalarIT6_EEPKT4_S3_PKS5_S9_S3_SB_S6_S9_S3_SB_S9_S3_PS5_21rocsparse_index_base_SD_SD_SD_bbb,comdat
	.globl	_ZN9rocsparseL41csrgemm_numeric_fill_block_per_row_kernelILj1024ELj64ELj16384ELj137ELj32EiifEEvT5_PKS1_S3_NS_24const_host_device_scalarIT6_EEPKT4_S3_PKS5_S9_S3_SB_S6_S9_S3_SB_S9_S3_PS5_21rocsparse_index_base_SD_SD_SD_bbb ; -- Begin function _ZN9rocsparseL41csrgemm_numeric_fill_block_per_row_kernelILj1024ELj64ELj16384ELj137ELj32EiifEEvT5_PKS1_S3_NS_24const_host_device_scalarIT6_EEPKT4_S3_PKS5_S9_S3_SB_S6_S9_S3_SB_S9_S3_PS5_21rocsparse_index_base_SD_SD_SD_bbb
	.p2align	8
	.type	_ZN9rocsparseL41csrgemm_numeric_fill_block_per_row_kernelILj1024ELj64ELj16384ELj137ELj32EiifEEvT5_PKS1_S3_NS_24const_host_device_scalarIT6_EEPKT4_S3_PKS5_S9_S3_SB_S6_S9_S3_SB_S9_S3_PS5_21rocsparse_index_base_SD_SD_SD_bbb,@function
_ZN9rocsparseL41csrgemm_numeric_fill_block_per_row_kernelILj1024ELj64ELj16384ELj137ELj32EiifEEvT5_PKS1_S3_NS_24const_host_device_scalarIT6_EEPKT4_S3_PKS5_S9_S3_SB_S6_S9_S3_SB_S9_S3_PS5_21rocsparse_index_base_SD_SD_SD_bbb: ; @_ZN9rocsparseL41csrgemm_numeric_fill_block_per_row_kernelILj1024ELj64ELj16384ELj137ELj32EiifEEvT5_PKS1_S3_NS_24const_host_device_scalarIT6_EEPKT4_S3_PKS5_S9_S3_SB_S6_S9_S3_SB_S9_S3_PS5_21rocsparse_index_base_SD_SD_SD_bbb
; %bb.0:
	s_clause 0x3
	s_load_b32 s14, s[0:1], 0x98
	s_load_b64 s[2:3], s[0:1], 0x18
	s_load_b128 s[36:39], s[0:1], 0x88
	s_load_b64 s[12:13], s[0:1], 0x50
	s_wait_kmcnt 0x0
	s_and_b32 s4, 1, s14
	s_bitcmp1_b32 s14, 16
	s_cselect_b32 s15, -1, 0
	s_cmp_eq_u32 s4, 1
	s_cselect_b32 s27, -1, 0
	s_delay_alu instid0(SALU_CYCLE_1) | instskip(SKIP_2) | instid1(SALU_CYCLE_1)
	s_and_b32 s4, s27, exec_lo
	s_cselect_b32 s25, s2, 0
	s_xor_b32 s4, s27, -1
	s_or_b32 s4, s15, s4
	s_delay_alu instid0(SALU_CYCLE_1)
	s_and_b32 vcc_lo, exec_lo, s4
	s_cbranch_vccnz .LBB14_2
; %bb.1:
	s_load_b32 s25, s[2:3], 0x0
.LBB14_2:
	s_clause 0x3
	s_load_b64 s[34:35], s[0:1], 0x80
	s_load_b128 s[4:7], s[0:1], 0x60
	s_load_b128 s[8:11], s[0:1], 0x40
	;; [unrolled: 1-line block ×3, first 2 shown]
	s_wait_xcnt 0x0
	s_load_b64 s[2:3], s[0:1], 0x28
	s_bitcmp1_b32 s14, 8
	s_cselect_b32 s26, -1, 0
	s_delay_alu instid0(SALU_CYCLE_1) | instskip(SKIP_2) | instid1(SALU_CYCLE_1)
	s_and_b32 s14, s26, exec_lo
	s_cselect_b32 s24, s12, 0
	s_xor_b32 s14, s26, -1
	s_or_b32 s14, s15, s14
	s_delay_alu instid0(SALU_CYCLE_1)
	s_and_b32 vcc_lo, exec_lo, s14
	s_cbranch_vccnz .LBB14_4
; %bb.3:
	s_load_b32 s24, s[12:13], 0x0
.LBB14_4:
	s_clause 0x3
	s_load_b32 s33, s[0:1], 0x0
	s_load_b64 s[22:23], s[0:1], 0x20
	s_load_b64 s[40:41], s[0:1], 0x70
	s_load_b64 s[20:21], s[0:1], 0x58
	s_wait_xcnt 0x0
	s_load_b128 s[12:15], s[0:1], 0x30
	v_lshl_add_u32 v1, v0, 2, 0
	v_or_b32_e32 v4, 0xfffffc00, v0
	v_mov_b32_e32 v2, 0
	s_wait_xcnt 0x0
	s_mov_b32 s0, 0
	s_delay_alu instid0(VALU_DEP_2)
	v_dual_mov_b32 v3, v1 :: v_dual_mov_b32 v6, v4
	s_wait_kmcnt 0x0
	v_mov_b32_e32 v5, s33
.LBB14_5:                               ; =>This Inner Loop Header: Depth=1
	s_delay_alu instid0(VALU_DEP_2) | instskip(NEXT) | instid1(VALU_DEP_3)
	v_add_nc_u32_e32 v6, 0x400, v6
	v_add_nc_u32_e32 v7, 0x10000, v3
	ds_store_b32 v3, v5
	v_add_nc_u32_e32 v3, 0x1000, v3
	v_cmp_lt_u32_e32 vcc_lo, 0x3bff, v6
	ds_store_b32 v7, v2
	s_or_b32 s0, vcc_lo, s0
	s_delay_alu instid0(SALU_CYCLE_1)
	s_and_not1_b32 exec_lo, exec_lo, s0
	s_cbranch_execnz .LBB14_5
; %bb.6:
	s_or_b32 exec_lo, exec_lo, s0
	s_wait_dscnt 0x0
	s_barrier_signal -1
	s_barrier_wait -1
	s_load_b32 s0, s[16:17], 0x0
	s_bfe_u32 s1, ttmp6, 0x4000c
	s_wait_xcnt 0x0
	s_and_b32 s16, ttmp6, 15
	s_add_co_i32 s1, s1, 1
	s_getreg_b32 s17, hwreg(HW_REG_IB_STS2, 6, 4)
	s_mul_i32 s1, ttmp9, s1
	s_delay_alu instid0(SALU_CYCLE_1)
	s_add_co_i32 s16, s16, s1
	s_cmp_eq_u32 s17, 0
	s_cselect_b32 s1, ttmp9, s16
	s_and_b32 vcc_lo, exec_lo, s27
	s_wait_kmcnt 0x0
	s_add_co_i32 s0, s0, s1
	s_load_b32 s42, s[18:19], s0 offset:0x0 scale_offset
	s_cbranch_vccz .LBB14_24
; %bb.7:
	s_wait_kmcnt 0x0
	s_ashr_i32 s43, s42, 31
	v_lshrrev_b32_e32 v2, 6, v0
	s_lshl_b64 s[0:1], s[42:43], 2
	s_delay_alu instid0(SALU_CYCLE_1) | instskip(NEXT) | instid1(VALU_DEP_1)
	s_add_nc_u64 s[0:1], s[22:23], s[0:1]
	v_subrev_nc_u32_e32 v2, s36, v2
	s_load_b64 s[16:17], s[0:1], 0x0
	s_wait_xcnt 0x0
	s_mov_b32 s1, exec_lo
	s_wait_kmcnt 0x0
	v_add_nc_u32_e32 v2, s16, v2
	s_sub_co_i32 s0, s17, s36
	s_delay_alu instid0(VALU_DEP_1) | instid1(SALU_CYCLE_1)
	v_cmpx_gt_i32_e64 s0, v2
	s_cbranch_execz .LBB14_23
; %bb.8:
	v_and_b32_e32 v3, 63, v0
	s_mov_b32 s16, 0
	s_delay_alu instid0(VALU_DEP_1)
	v_subrev_nc_u32_e32 v5, s37, v3
	s_branch .LBB14_10
.LBB14_9:                               ;   in Loop: Header=BB14_10 Depth=1
	s_or_b32 exec_lo, exec_lo, s17
	v_add_nc_u32_e32 v2, 16, v2
	s_delay_alu instid0(VALU_DEP_1) | instskip(SKIP_1) | instid1(SALU_CYCLE_1)
	v_cmp_le_i32_e32 vcc_lo, s0, v2
	s_or_b32 s16, vcc_lo, s16
	s_and_not1_b32 exec_lo, exec_lo, s16
	s_cbranch_execz .LBB14_23
.LBB14_10:                              ; =>This Loop Header: Depth=1
                                        ;     Child Loop BB14_14 Depth 2
                                        ;       Child Loop BB14_17 Depth 3
	global_load_b32 v3, v2, s[2:3] scale_offset
	s_mov_b32 s17, exec_lo
	s_wait_loadcnt 0x0
	v_subrev_nc_u32_e32 v6, s36, v3
	s_delay_alu instid0(VALU_DEP_1) | instskip(NEXT) | instid1(VALU_DEP_1)
	v_ashrrev_i32_e32 v7, 31, v6
	v_lshl_add_u64 v[6:7], v[6:7], 2, s[14:15]
	global_load_b64 v[8:9], v[6:7], off
	s_wait_loadcnt 0x0
	s_wait_xcnt 0x0
	v_subrev_nc_u32_e32 v6, s37, v9
	v_add_nc_u32_e32 v7, v8, v5
	s_delay_alu instid0(VALU_DEP_1)
	v_cmpx_lt_i32_e64 v7, v6
	s_cbranch_execz .LBB14_9
; %bb.11:                               ;   in Loop: Header=BB14_10 Depth=1
	v_ashrrev_i32_e32 v3, 31, v2
	s_mov_b32 s18, 0
	s_delay_alu instid0(VALU_DEP_1)
	v_lshl_add_u64 v[8:9], v[2:3], 2, s[12:13]
	global_load_b32 v3, v[8:9], off
	s_wait_loadcnt 0x0
	v_mul_f32_e32 v3, s25, v3
	s_branch .LBB14_14
.LBB14_12:                              ;   in Loop: Header=BB14_14 Depth=2
	s_or_b32 exec_lo, exec_lo, s22
.LBB14_13:                              ;   in Loop: Header=BB14_14 Depth=2
	s_delay_alu instid0(SALU_CYCLE_1) | instskip(SKIP_3) | instid1(VALU_DEP_2)
	s_or_b32 exec_lo, exec_lo, s19
	s_wait_loadcnt 0x0
	v_dual_mul_f32 v8, v3, v8 :: v_dual_lshlrev_b32 v9, 2, v9
	v_add_nc_u32_e32 v7, 64, v7
	v_add3_u32 v9, 0, v9, 0x10000
	s_delay_alu instid0(VALU_DEP_2) | instskip(SKIP_2) | instid1(SALU_CYCLE_1)
	v_cmp_ge_i32_e32 vcc_lo, v7, v6
	ds_add_f32 v9, v8
	s_or_b32 s18, vcc_lo, s18
	s_and_not1_b32 exec_lo, exec_lo, s18
	s_cbranch_execz .LBB14_9
.LBB14_14:                              ;   Parent Loop BB14_10 Depth=1
                                        ; =>  This Loop Header: Depth=2
                                        ;       Child Loop BB14_17 Depth 3
	s_clause 0x1
	global_load_b32 v9, v7, s[8:9] scale_offset
	global_load_b32 v8, v7, s[10:11] scale_offset
	s_mov_b32 s19, exec_lo
	s_wait_loadcnt 0x1
	v_subrev_nc_u32_e32 v10, s37, v9
	s_delay_alu instid0(VALU_DEP_1) | instskip(NEXT) | instid1(VALU_DEP_1)
	v_mul_lo_u32 v9, 0x89, v10
	v_and_b32_e32 v9, 0x3fff, v9
	s_delay_alu instid0(VALU_DEP_1)
	v_lshl_add_u32 v11, v9, 2, 0
	ds_load_b32 v12, v11
	s_wait_dscnt 0x0
	s_wait_xcnt 0x0
	v_cmpx_ne_u32_e64 v12, v10
	s_cbranch_execz .LBB14_13
; %bb.15:                               ;   in Loop: Header=BB14_14 Depth=2
	s_mov_b32 s22, 0
	s_branch .LBB14_17
.LBB14_16:                              ;   in Loop: Header=BB14_17 Depth=3
	s_or_b32 exec_lo, exec_lo, s28
	s_delay_alu instid0(SALU_CYCLE_1) | instskip(NEXT) | instid1(SALU_CYCLE_1)
	s_and_b32 s23, exec_lo, s27
	s_or_b32 s22, s23, s22
	s_delay_alu instid0(SALU_CYCLE_1)
	s_and_not1_b32 exec_lo, exec_lo, s22
	s_cbranch_execz .LBB14_12
.LBB14_17:                              ;   Parent Loop BB14_10 Depth=1
                                        ;     Parent Loop BB14_14 Depth=2
                                        ; =>    This Inner Loop Header: Depth=3
	s_mov_b32 s23, 0
	s_mov_b32 s27, exec_lo
	v_cmpx_ne_u32_e64 s33, v12
	s_xor_b32 s27, exec_lo, s27
	s_cbranch_execz .LBB14_19
; %bb.18:                               ;   in Loop: Header=BB14_17 Depth=3
	v_add_nc_u32_e32 v9, 1, v9
	s_mov_b32 s23, exec_lo
                                        ; implicit-def: $vgpr11
	s_delay_alu instid0(VALU_DEP_1)
	v_and_b32_e32 v9, 0x3fff, v9
	s_and_not1_saveexec_b32 s27, s27
	s_cbranch_execz .LBB14_21
	s_branch .LBB14_20
.LBB14_19:                              ;   in Loop: Header=BB14_17 Depth=3
	s_and_not1_saveexec_b32 s27, s27
	s_cbranch_execz .LBB14_21
.LBB14_20:                              ;   in Loop: Header=BB14_17 Depth=3
	v_mov_b32_e32 v12, s33
	s_and_not1_b32 s23, s23, exec_lo
	ds_cmpstore_rtn_b32 v11, v11, v10, v12
	s_wait_dscnt 0x0
	v_cmp_ne_u32_e32 vcc_lo, s33, v11
	s_and_b32 s28, vcc_lo, exec_lo
	s_delay_alu instid0(SALU_CYCLE_1)
	s_or_b32 s23, s23, s28
.LBB14_21:                              ;   in Loop: Header=BB14_17 Depth=3
	s_or_b32 exec_lo, exec_lo, s27
	s_mov_b32 s27, -1
                                        ; implicit-def: $vgpr11
                                        ; implicit-def: $vgpr12
	s_and_saveexec_b32 s28, s23
	s_cbranch_execz .LBB14_16
; %bb.22:                               ;   in Loop: Header=BB14_17 Depth=3
	v_lshl_add_u32 v11, v9, 2, 0
	ds_load_b32 v12, v11
	s_wait_dscnt 0x0
	v_cmp_eq_u32_e32 vcc_lo, v12, v10
	s_or_not1_b32 s27, vcc_lo, exec_lo
	s_branch .LBB14_16
.LBB14_23:
	s_or_b32 exec_lo, exec_lo, s1
.LBB14_24:
	s_delay_alu instid0(SALU_CYCLE_1)
	s_and_not1_b32 vcc_lo, exec_lo, s26
	s_cbranch_vccnz .LBB14_39
; %bb.25:
	s_wait_kmcnt 0x0
	s_ashr_i32 s43, s42, 31
	v_subrev_nc_u32_e32 v2, s39, v0
	s_lshl_b64 s[0:1], s[42:43], 2
	s_delay_alu instid0(SALU_CYCLE_1)
	s_add_nc_u64 s[0:1], s[20:21], s[0:1]
	s_load_b64 s[2:3], s[0:1], 0x0
	s_wait_xcnt 0x0
	s_mov_b32 s1, exec_lo
	s_wait_kmcnt 0x0
	v_add_nc_u32_e32 v2, s2, v2
	s_sub_co_i32 s0, s3, s39
	s_delay_alu instid0(VALU_DEP_1) | instid1(SALU_CYCLE_1)
	v_cmpx_gt_i32_e64 s0, v2
	s_cbranch_execz .LBB14_38
; %bb.26:
	s_mov_b32 s2, 0
	s_branch .LBB14_29
.LBB14_27:                              ;   in Loop: Header=BB14_29 Depth=1
	s_or_b32 exec_lo, exec_lo, s8
.LBB14_28:                              ;   in Loop: Header=BB14_29 Depth=1
	s_delay_alu instid0(SALU_CYCLE_1) | instskip(SKIP_3) | instid1(VALU_DEP_2)
	s_or_b32 exec_lo, exec_lo, s3
	s_wait_loadcnt 0x0
	v_dual_lshlrev_b32 v5, 2, v5 :: v_dual_mul_f32 v3, s24, v3
	v_add_nc_u32_e32 v2, 0x400, v2
	v_add3_u32 v5, 0, v5, 0x10000
	s_delay_alu instid0(VALU_DEP_2) | instskip(SKIP_2) | instid1(SALU_CYCLE_1)
	v_cmp_le_i32_e32 vcc_lo, s0, v2
	ds_add_f32 v5, v3
	s_or_b32 s2, vcc_lo, s2
	s_and_not1_b32 exec_lo, exec_lo, s2
	s_cbranch_execz .LBB14_38
.LBB14_29:                              ; =>This Loop Header: Depth=1
                                        ;     Child Loop BB14_32 Depth 2
	s_clause 0x1
	global_load_b32 v5, v2, s[4:5] scale_offset
	global_load_b32 v3, v2, s[6:7] scale_offset
	s_mov_b32 s3, exec_lo
	s_wait_loadcnt 0x1
	v_subrev_nc_u32_e32 v6, s39, v5
	s_delay_alu instid0(VALU_DEP_1) | instskip(NEXT) | instid1(VALU_DEP_1)
	v_mul_lo_u32 v5, 0x89, v6
	v_and_b32_e32 v5, 0x3fff, v5
	s_delay_alu instid0(VALU_DEP_1)
	v_lshl_add_u32 v7, v5, 2, 0
	ds_load_b32 v8, v7
	s_wait_dscnt 0x0
	s_wait_xcnt 0x0
	v_cmpx_ne_u32_e64 v8, v6
	s_cbranch_execz .LBB14_28
; %bb.30:                               ;   in Loop: Header=BB14_29 Depth=1
	s_mov_b32 s8, 0
	s_branch .LBB14_32
.LBB14_31:                              ;   in Loop: Header=BB14_32 Depth=2
	s_or_b32 exec_lo, exec_lo, s11
	s_delay_alu instid0(SALU_CYCLE_1) | instskip(NEXT) | instid1(SALU_CYCLE_1)
	s_and_b32 s9, exec_lo, s10
	s_or_b32 s8, s9, s8
	s_delay_alu instid0(SALU_CYCLE_1)
	s_and_not1_b32 exec_lo, exec_lo, s8
	s_cbranch_execz .LBB14_27
.LBB14_32:                              ;   Parent Loop BB14_29 Depth=1
                                        ; =>  This Inner Loop Header: Depth=2
	s_mov_b32 s9, 0
	s_mov_b32 s10, exec_lo
	v_cmpx_ne_u32_e64 s33, v8
	s_xor_b32 s10, exec_lo, s10
	s_cbranch_execz .LBB14_34
; %bb.33:                               ;   in Loop: Header=BB14_32 Depth=2
	v_add_nc_u32_e32 v5, 1, v5
	s_mov_b32 s9, exec_lo
                                        ; implicit-def: $vgpr7
	s_delay_alu instid0(VALU_DEP_1)
	v_and_b32_e32 v5, 0x3fff, v5
	s_and_not1_saveexec_b32 s10, s10
	s_cbranch_execz .LBB14_36
	s_branch .LBB14_35
.LBB14_34:                              ;   in Loop: Header=BB14_32 Depth=2
	s_and_not1_saveexec_b32 s10, s10
	s_cbranch_execz .LBB14_36
.LBB14_35:                              ;   in Loop: Header=BB14_32 Depth=2
	v_mov_b32_e32 v8, s33
	s_and_not1_b32 s9, s9, exec_lo
	ds_cmpstore_rtn_b32 v7, v7, v6, v8
	s_wait_dscnt 0x0
	v_cmp_ne_u32_e32 vcc_lo, s33, v7
	s_and_b32 s11, vcc_lo, exec_lo
	s_delay_alu instid0(SALU_CYCLE_1)
	s_or_b32 s9, s9, s11
.LBB14_36:                              ;   in Loop: Header=BB14_32 Depth=2
	s_or_b32 exec_lo, exec_lo, s10
	s_mov_b32 s10, -1
                                        ; implicit-def: $vgpr7
                                        ; implicit-def: $vgpr8
	s_and_saveexec_b32 s11, s9
	s_cbranch_execz .LBB14_31
; %bb.37:                               ;   in Loop: Header=BB14_32 Depth=2
	v_lshl_add_u32 v7, v5, 2, 0
	ds_load_b32 v8, v7
	s_wait_dscnt 0x0
	v_cmp_eq_u32_e32 vcc_lo, v8, v6
	s_or_not1_b32 s10, vcc_lo, exec_lo
	s_branch .LBB14_31
.LBB14_38:
	s_or_b32 exec_lo, exec_lo, s1
.LBB14_39:
	v_mbcnt_lo_u32_b32 v2, -1, 0
	v_lshrrev_b32_e32 v3, 3, v0
	s_wait_xcnt 0x0
	v_cmp_lt_u32_e64 s0, 31, v0
	v_cmp_lt_u32_e64 s1, 63, v0
	;; [unrolled: 1-line block ×3, first 2 shown]
	v_xor_b32_e32 v2, 31, v2
	v_and_b32_e32 v5, 0x7c, v3
	v_mov_b32_e32 v3, 0
	v_cmp_lt_u32_e64 s3, 0x7f, v0
	v_cmp_lt_u32_e64 s4, 0x9f, v0
	v_lshrrev_b32_e64 v2, v2, -1
	v_add3_u32 v5, 0x20000, 0, v5
	v_cmp_lt_u32_e64 s5, 0xbf, v0
	v_cmp_lt_u32_e64 s6, 0xdf, v0
	;; [unrolled: 1-line block ×26, first 2 shown]
	s_mov_b32 s36, 0
	s_add_co_i32 s37, 0, 0x20000
	s_add_co_i32 s39, 0, 0x20004
	;; [unrolled: 1-line block ×32, first 2 shown]
	s_wait_dscnt 0x0
	s_barrier_signal -1
	s_barrier_wait -1
	v_cmp_eq_u32_e32 vcc_lo, 0x3ff, v0
	s_branch .LBB14_41
.LBB14_40:                              ;   in Loop: Header=BB14_41 Depth=1
	s_or_b32 exec_lo, exec_lo, s31
	v_dual_mov_b32 v6, s72 :: v_dual_add_nc_u32 v1, 0x1000, v1
	s_wait_dscnt 0x0
	s_barrier_signal -1
	s_barrier_wait -1
	ds_load_b32 v6, v6
	v_add_nc_u32_e32 v4, 0x400, v4
	s_delay_alu instid0(VALU_DEP_1)
	v_cmp_lt_u32_e64 s31, 0x3bff, v4
	s_or_b32 s36, s31, s36
	s_wait_dscnt 0x0
	v_add_nc_u32_e32 v3, v6, v3
	s_and_not1_b32 exec_lo, exec_lo, s36
	s_cbranch_execz .LBB14_107
.LBB14_41:                              ; =>This Inner Loop Header: Depth=1
	ds_load_b32 v6, v1
	v_add_nc_u32_e32 v7, 0x10000, v1
	ds_load_b32 v7, v7
	s_wait_dscnt 0x0
	s_barrier_signal -1
	s_barrier_wait -1
	v_cmp_gt_i32_e64 s31, s33, v6
	s_bcnt1_i32_b32 s73, s31
	s_delay_alu instid0(SALU_CYCLE_1) | instskip(NEXT) | instid1(VALU_DEP_1)
	v_dual_mov_b32 v9, s73 :: v_dual_bitop2_b32 v8, s31, v2 bitop3:0x40
	v_bcnt_u32_b32 v8, v8, 0
	ds_store_b32 v5, v9
	s_wait_dscnt 0x0
	s_barrier_signal -1
	s_barrier_wait -1
	s_and_saveexec_b32 s73, s0
	s_cbranch_execz .LBB14_74
; %bb.42:                               ;   in Loop: Header=BB14_41 Depth=1
	v_mov_b32_e32 v9, s37
	ds_load_b32 v9, v9
	s_wait_dscnt 0x0
	v_add_nc_u32_e32 v8, v9, v8
	s_or_b32 exec_lo, exec_lo, s73
	s_and_saveexec_b32 s73, s1
	s_cbranch_execnz .LBB14_75
.LBB14_43:                              ;   in Loop: Header=BB14_41 Depth=1
	s_or_b32 exec_lo, exec_lo, s73
	s_and_saveexec_b32 s73, s2
	s_cbranch_execz .LBB14_76
.LBB14_44:                              ;   in Loop: Header=BB14_41 Depth=1
	v_mov_b32_e32 v9, s43
	ds_load_b32 v9, v9
	s_wait_dscnt 0x0
	v_add_nc_u32_e32 v8, v9, v8
	s_or_b32 exec_lo, exec_lo, s73
	s_and_saveexec_b32 s73, s3
	s_cbranch_execnz .LBB14_77
.LBB14_45:                              ;   in Loop: Header=BB14_41 Depth=1
	s_or_b32 exec_lo, exec_lo, s73
	s_and_saveexec_b32 s73, s4
	s_cbranch_execz .LBB14_78
.LBB14_46:                              ;   in Loop: Header=BB14_41 Depth=1
	v_mov_b32_e32 v9, s45
	ds_load_b32 v9, v9
	s_wait_dscnt 0x0
	v_add_nc_u32_e32 v8, v9, v8
	s_or_b32 exec_lo, exec_lo, s73
	s_and_saveexec_b32 s73, s5
	s_cbranch_execnz .LBB14_79
.LBB14_47:                              ;   in Loop: Header=BB14_41 Depth=1
	s_or_b32 exec_lo, exec_lo, s73
	s_and_saveexec_b32 s73, s6
	s_cbranch_execz .LBB14_80
.LBB14_48:                              ;   in Loop: Header=BB14_41 Depth=1
	v_mov_b32_e32 v9, s47
	ds_load_b32 v9, v9
	s_wait_dscnt 0x0
	v_add_nc_u32_e32 v8, v9, v8
	s_or_b32 exec_lo, exec_lo, s73
	s_and_saveexec_b32 s73, s7
	s_cbranch_execnz .LBB14_81
.LBB14_49:                              ;   in Loop: Header=BB14_41 Depth=1
	s_or_b32 exec_lo, exec_lo, s73
	s_and_saveexec_b32 s73, s8
	s_cbranch_execz .LBB14_82
.LBB14_50:                              ;   in Loop: Header=BB14_41 Depth=1
	v_mov_b32_e32 v9, s49
	ds_load_b32 v9, v9
	s_wait_dscnt 0x0
	v_add_nc_u32_e32 v8, v9, v8
	s_or_b32 exec_lo, exec_lo, s73
	s_and_saveexec_b32 s73, s9
	s_cbranch_execnz .LBB14_83
.LBB14_51:                              ;   in Loop: Header=BB14_41 Depth=1
	s_or_b32 exec_lo, exec_lo, s73
	s_and_saveexec_b32 s73, s10
	s_cbranch_execz .LBB14_84
.LBB14_52:                              ;   in Loop: Header=BB14_41 Depth=1
	v_mov_b32_e32 v9, s51
	ds_load_b32 v9, v9
	s_wait_dscnt 0x0
	v_add_nc_u32_e32 v8, v9, v8
	s_or_b32 exec_lo, exec_lo, s73
	s_and_saveexec_b32 s73, s11
	s_cbranch_execnz .LBB14_85
.LBB14_53:                              ;   in Loop: Header=BB14_41 Depth=1
	s_or_b32 exec_lo, exec_lo, s73
	s_and_saveexec_b32 s73, s12
	s_cbranch_execz .LBB14_86
.LBB14_54:                              ;   in Loop: Header=BB14_41 Depth=1
	v_mov_b32_e32 v9, s53
	ds_load_b32 v9, v9
	s_wait_dscnt 0x0
	v_add_nc_u32_e32 v8, v9, v8
	s_or_b32 exec_lo, exec_lo, s73
	s_and_saveexec_b32 s73, s13
	s_cbranch_execnz .LBB14_87
.LBB14_55:                              ;   in Loop: Header=BB14_41 Depth=1
	s_or_b32 exec_lo, exec_lo, s73
	s_and_saveexec_b32 s73, s14
	s_cbranch_execz .LBB14_88
.LBB14_56:                              ;   in Loop: Header=BB14_41 Depth=1
	v_mov_b32_e32 v9, s55
	ds_load_b32 v9, v9
	s_wait_dscnt 0x0
	v_add_nc_u32_e32 v8, v9, v8
	s_or_b32 exec_lo, exec_lo, s73
	s_and_saveexec_b32 s73, s15
	s_cbranch_execnz .LBB14_89
.LBB14_57:                              ;   in Loop: Header=BB14_41 Depth=1
	s_or_b32 exec_lo, exec_lo, s73
	s_and_saveexec_b32 s73, s16
	s_cbranch_execz .LBB14_90
.LBB14_58:                              ;   in Loop: Header=BB14_41 Depth=1
	v_mov_b32_e32 v9, s57
	ds_load_b32 v9, v9
	s_wait_dscnt 0x0
	v_add_nc_u32_e32 v8, v9, v8
	s_or_b32 exec_lo, exec_lo, s73
	s_and_saveexec_b32 s73, s17
	s_cbranch_execnz .LBB14_91
.LBB14_59:                              ;   in Loop: Header=BB14_41 Depth=1
	s_or_b32 exec_lo, exec_lo, s73
	s_and_saveexec_b32 s73, s18
	s_cbranch_execz .LBB14_92
.LBB14_60:                              ;   in Loop: Header=BB14_41 Depth=1
	v_mov_b32_e32 v9, s59
	ds_load_b32 v9, v9
	s_wait_dscnt 0x0
	v_add_nc_u32_e32 v8, v9, v8
	s_or_b32 exec_lo, exec_lo, s73
	s_and_saveexec_b32 s73, s19
	s_cbranch_execnz .LBB14_93
.LBB14_61:                              ;   in Loop: Header=BB14_41 Depth=1
	s_or_b32 exec_lo, exec_lo, s73
	s_and_saveexec_b32 s73, s20
	s_cbranch_execz .LBB14_94
.LBB14_62:                              ;   in Loop: Header=BB14_41 Depth=1
	v_mov_b32_e32 v9, s61
	ds_load_b32 v9, v9
	s_wait_dscnt 0x0
	v_add_nc_u32_e32 v8, v9, v8
	s_or_b32 exec_lo, exec_lo, s73
	s_and_saveexec_b32 s73, s21
	s_cbranch_execnz .LBB14_95
.LBB14_63:                              ;   in Loop: Header=BB14_41 Depth=1
	s_or_b32 exec_lo, exec_lo, s73
	s_and_saveexec_b32 s73, s22
	s_cbranch_execz .LBB14_96
.LBB14_64:                              ;   in Loop: Header=BB14_41 Depth=1
	v_mov_b32_e32 v9, s63
	ds_load_b32 v9, v9
	s_wait_dscnt 0x0
	v_add_nc_u32_e32 v8, v9, v8
	s_or_b32 exec_lo, exec_lo, s73
	s_and_saveexec_b32 s73, s23
	s_cbranch_execnz .LBB14_97
.LBB14_65:                              ;   in Loop: Header=BB14_41 Depth=1
	s_or_b32 exec_lo, exec_lo, s73
	s_and_saveexec_b32 s73, s24
	s_cbranch_execz .LBB14_98
.LBB14_66:                              ;   in Loop: Header=BB14_41 Depth=1
	v_mov_b32_e32 v9, s65
	ds_load_b32 v9, v9
	s_wait_dscnt 0x0
	v_add_nc_u32_e32 v8, v9, v8
	s_or_b32 exec_lo, exec_lo, s73
	s_and_saveexec_b32 s73, s25
	s_cbranch_execnz .LBB14_99
.LBB14_67:                              ;   in Loop: Header=BB14_41 Depth=1
	s_or_b32 exec_lo, exec_lo, s73
	s_and_saveexec_b32 s73, s26
	s_cbranch_execz .LBB14_100
.LBB14_68:                              ;   in Loop: Header=BB14_41 Depth=1
	v_mov_b32_e32 v9, s67
	ds_load_b32 v9, v9
	s_wait_dscnt 0x0
	v_add_nc_u32_e32 v8, v9, v8
	s_or_b32 exec_lo, exec_lo, s73
	s_and_saveexec_b32 s73, s27
	s_cbranch_execnz .LBB14_101
.LBB14_69:                              ;   in Loop: Header=BB14_41 Depth=1
	s_or_b32 exec_lo, exec_lo, s73
	s_and_saveexec_b32 s73, s28
	s_cbranch_execz .LBB14_102
.LBB14_70:                              ;   in Loop: Header=BB14_41 Depth=1
	v_mov_b32_e32 v9, s69
	ds_load_b32 v9, v9
	s_wait_dscnt 0x0
	v_add_nc_u32_e32 v8, v9, v8
	s_or_b32 exec_lo, exec_lo, s73
	s_and_saveexec_b32 s73, s29
	s_cbranch_execnz .LBB14_103
.LBB14_71:                              ;   in Loop: Header=BB14_41 Depth=1
	s_or_b32 exec_lo, exec_lo, s73
	s_and_saveexec_b32 s73, s30
	s_cbranch_execz .LBB14_104
.LBB14_72:                              ;   in Loop: Header=BB14_41 Depth=1
	v_mov_b32_e32 v9, s71
	ds_load_b32 v9, v9
	s_wait_dscnt 0x0
	v_add_nc_u32_e32 v8, v9, v8
	s_or_b32 exec_lo, exec_lo, s73
	s_and_saveexec_b32 s73, s31
	s_cbranch_execnz .LBB14_105
.LBB14_73:                              ;   in Loop: Header=BB14_41 Depth=1
	s_or_b32 exec_lo, exec_lo, s73
	s_and_saveexec_b32 s31, vcc_lo
	s_cbranch_execz .LBB14_40
	s_branch .LBB14_106
.LBB14_74:                              ;   in Loop: Header=BB14_41 Depth=1
	s_or_b32 exec_lo, exec_lo, s73
	s_and_saveexec_b32 s73, s1
	s_cbranch_execz .LBB14_43
.LBB14_75:                              ;   in Loop: Header=BB14_41 Depth=1
	v_mov_b32_e32 v9, s39
	ds_load_b32 v9, v9
	s_wait_dscnt 0x0
	v_add_nc_u32_e32 v8, v9, v8
	s_or_b32 exec_lo, exec_lo, s73
	s_and_saveexec_b32 s73, s2
	s_cbranch_execnz .LBB14_44
.LBB14_76:                              ;   in Loop: Header=BB14_41 Depth=1
	s_or_b32 exec_lo, exec_lo, s73
	s_and_saveexec_b32 s73, s3
	s_cbranch_execz .LBB14_45
.LBB14_77:                              ;   in Loop: Header=BB14_41 Depth=1
	v_mov_b32_e32 v9, s44
	ds_load_b32 v9, v9
	s_wait_dscnt 0x0
	v_add_nc_u32_e32 v8, v9, v8
	s_or_b32 exec_lo, exec_lo, s73
	s_and_saveexec_b32 s73, s4
	s_cbranch_execnz .LBB14_46
.LBB14_78:                              ;   in Loop: Header=BB14_41 Depth=1
	s_or_b32 exec_lo, exec_lo, s73
	s_and_saveexec_b32 s73, s5
	s_cbranch_execz .LBB14_47
.LBB14_79:                              ;   in Loop: Header=BB14_41 Depth=1
	v_mov_b32_e32 v9, s46
	ds_load_b32 v9, v9
	s_wait_dscnt 0x0
	v_add_nc_u32_e32 v8, v9, v8
	s_or_b32 exec_lo, exec_lo, s73
	s_and_saveexec_b32 s73, s6
	s_cbranch_execnz .LBB14_48
.LBB14_80:                              ;   in Loop: Header=BB14_41 Depth=1
	s_or_b32 exec_lo, exec_lo, s73
	s_and_saveexec_b32 s73, s7
	s_cbranch_execz .LBB14_49
.LBB14_81:                              ;   in Loop: Header=BB14_41 Depth=1
	v_mov_b32_e32 v9, s48
	ds_load_b32 v9, v9
	s_wait_dscnt 0x0
	v_add_nc_u32_e32 v8, v9, v8
	s_or_b32 exec_lo, exec_lo, s73
	s_and_saveexec_b32 s73, s8
	s_cbranch_execnz .LBB14_50
.LBB14_82:                              ;   in Loop: Header=BB14_41 Depth=1
	s_or_b32 exec_lo, exec_lo, s73
	s_and_saveexec_b32 s73, s9
	s_cbranch_execz .LBB14_51
.LBB14_83:                              ;   in Loop: Header=BB14_41 Depth=1
	v_mov_b32_e32 v9, s50
	ds_load_b32 v9, v9
	s_wait_dscnt 0x0
	v_add_nc_u32_e32 v8, v9, v8
	s_or_b32 exec_lo, exec_lo, s73
	s_and_saveexec_b32 s73, s10
	s_cbranch_execnz .LBB14_52
.LBB14_84:                              ;   in Loop: Header=BB14_41 Depth=1
	s_or_b32 exec_lo, exec_lo, s73
	s_and_saveexec_b32 s73, s11
	s_cbranch_execz .LBB14_53
.LBB14_85:                              ;   in Loop: Header=BB14_41 Depth=1
	v_mov_b32_e32 v9, s52
	ds_load_b32 v9, v9
	s_wait_dscnt 0x0
	v_add_nc_u32_e32 v8, v9, v8
	s_or_b32 exec_lo, exec_lo, s73
	s_and_saveexec_b32 s73, s12
	s_cbranch_execnz .LBB14_54
.LBB14_86:                              ;   in Loop: Header=BB14_41 Depth=1
	s_or_b32 exec_lo, exec_lo, s73
	s_and_saveexec_b32 s73, s13
	s_cbranch_execz .LBB14_55
.LBB14_87:                              ;   in Loop: Header=BB14_41 Depth=1
	v_mov_b32_e32 v9, s54
	ds_load_b32 v9, v9
	s_wait_dscnt 0x0
	v_add_nc_u32_e32 v8, v9, v8
	s_or_b32 exec_lo, exec_lo, s73
	s_and_saveexec_b32 s73, s14
	s_cbranch_execnz .LBB14_56
.LBB14_88:                              ;   in Loop: Header=BB14_41 Depth=1
	s_or_b32 exec_lo, exec_lo, s73
	s_and_saveexec_b32 s73, s15
	s_cbranch_execz .LBB14_57
.LBB14_89:                              ;   in Loop: Header=BB14_41 Depth=1
	v_mov_b32_e32 v9, s56
	ds_load_b32 v9, v9
	s_wait_dscnt 0x0
	v_add_nc_u32_e32 v8, v9, v8
	s_or_b32 exec_lo, exec_lo, s73
	s_and_saveexec_b32 s73, s16
	s_cbranch_execnz .LBB14_58
.LBB14_90:                              ;   in Loop: Header=BB14_41 Depth=1
	s_or_b32 exec_lo, exec_lo, s73
	s_and_saveexec_b32 s73, s17
	s_cbranch_execz .LBB14_59
.LBB14_91:                              ;   in Loop: Header=BB14_41 Depth=1
	v_mov_b32_e32 v9, s58
	ds_load_b32 v9, v9
	s_wait_dscnt 0x0
	v_add_nc_u32_e32 v8, v9, v8
	s_or_b32 exec_lo, exec_lo, s73
	s_and_saveexec_b32 s73, s18
	s_cbranch_execnz .LBB14_60
.LBB14_92:                              ;   in Loop: Header=BB14_41 Depth=1
	s_or_b32 exec_lo, exec_lo, s73
	s_and_saveexec_b32 s73, s19
	s_cbranch_execz .LBB14_61
.LBB14_93:                              ;   in Loop: Header=BB14_41 Depth=1
	v_mov_b32_e32 v9, s60
	ds_load_b32 v9, v9
	s_wait_dscnt 0x0
	v_add_nc_u32_e32 v8, v9, v8
	s_or_b32 exec_lo, exec_lo, s73
	s_and_saveexec_b32 s73, s20
	s_cbranch_execnz .LBB14_62
.LBB14_94:                              ;   in Loop: Header=BB14_41 Depth=1
	s_or_b32 exec_lo, exec_lo, s73
	s_and_saveexec_b32 s73, s21
	s_cbranch_execz .LBB14_63
.LBB14_95:                              ;   in Loop: Header=BB14_41 Depth=1
	v_mov_b32_e32 v9, s62
	ds_load_b32 v9, v9
	s_wait_dscnt 0x0
	v_add_nc_u32_e32 v8, v9, v8
	s_or_b32 exec_lo, exec_lo, s73
	s_and_saveexec_b32 s73, s22
	s_cbranch_execnz .LBB14_64
.LBB14_96:                              ;   in Loop: Header=BB14_41 Depth=1
	s_or_b32 exec_lo, exec_lo, s73
	s_and_saveexec_b32 s73, s23
	s_cbranch_execz .LBB14_65
.LBB14_97:                              ;   in Loop: Header=BB14_41 Depth=1
	v_mov_b32_e32 v9, s64
	ds_load_b32 v9, v9
	s_wait_dscnt 0x0
	v_add_nc_u32_e32 v8, v9, v8
	s_or_b32 exec_lo, exec_lo, s73
	s_and_saveexec_b32 s73, s24
	s_cbranch_execnz .LBB14_66
.LBB14_98:                              ;   in Loop: Header=BB14_41 Depth=1
	s_or_b32 exec_lo, exec_lo, s73
	s_and_saveexec_b32 s73, s25
	s_cbranch_execz .LBB14_67
.LBB14_99:                              ;   in Loop: Header=BB14_41 Depth=1
	v_mov_b32_e32 v9, s66
	ds_load_b32 v9, v9
	s_wait_dscnt 0x0
	v_add_nc_u32_e32 v8, v9, v8
	s_or_b32 exec_lo, exec_lo, s73
	s_and_saveexec_b32 s73, s26
	s_cbranch_execnz .LBB14_68
.LBB14_100:                             ;   in Loop: Header=BB14_41 Depth=1
	s_or_b32 exec_lo, exec_lo, s73
	s_and_saveexec_b32 s73, s27
	s_cbranch_execz .LBB14_69
.LBB14_101:                             ;   in Loop: Header=BB14_41 Depth=1
	v_mov_b32_e32 v9, s68
	ds_load_b32 v9, v9
	s_wait_dscnt 0x0
	v_add_nc_u32_e32 v8, v9, v8
	s_or_b32 exec_lo, exec_lo, s73
	s_and_saveexec_b32 s73, s28
	s_cbranch_execnz .LBB14_70
.LBB14_102:                             ;   in Loop: Header=BB14_41 Depth=1
	s_or_b32 exec_lo, exec_lo, s73
	s_and_saveexec_b32 s73, s29
	s_cbranch_execz .LBB14_71
.LBB14_103:                             ;   in Loop: Header=BB14_41 Depth=1
	v_mov_b32_e32 v9, s70
	ds_load_b32 v9, v9
	s_wait_dscnt 0x0
	v_add_nc_u32_e32 v8, v9, v8
	s_or_b32 exec_lo, exec_lo, s73
	s_and_saveexec_b32 s73, s30
	s_cbranch_execnz .LBB14_72
.LBB14_104:                             ;   in Loop: Header=BB14_41 Depth=1
	s_or_b32 exec_lo, exec_lo, s73
	s_and_saveexec_b32 s73, s31
	s_cbranch_execz .LBB14_73
.LBB14_105:                             ;   in Loop: Header=BB14_41 Depth=1
	s_delay_alu instid0(VALU_DEP_1) | instskip(SKIP_1) | instid1(VALU_DEP_2)
	v_add3_u32 v9, v3, -1, v8
	v_add_nc_u32_e32 v10, v3, v8
	v_lshl_add_u32 v9, v9, 2, 0
	s_delay_alu instid0(VALU_DEP_2)
	v_lshl_add_u32 v10, v10, 2, 0
	ds_store_b32 v9, v6
	ds_store_b32 v10, v7 offset:65532
	s_or_b32 exec_lo, exec_lo, s73
	s_and_saveexec_b32 s31, vcc_lo
	s_cbranch_execz .LBB14_40
.LBB14_106:                             ;   in Loop: Header=BB14_41 Depth=1
	v_mov_b32_e32 v6, s72
	ds_store_b32 v6, v8
	s_branch .LBB14_40
.LBB14_107:
	s_or_b32 exec_lo, exec_lo, s36
	s_wait_kmcnt 0x0
	s_ashr_i32 s43, s42, 31
	s_delay_alu instid0(SALU_CYCLE_1) | instskip(NEXT) | instid1(SALU_CYCLE_1)
	s_lshl_b64 s[0:1], s[42:43], 2
	s_add_nc_u64 s[2:3], s[40:41], s[0:1]
	s_load_b64 s[0:1], s[2:3], 0x0
	s_wait_kmcnt 0x0
	s_sub_co_i32 s4, s1, s0
	s_mov_b32 s1, exec_lo
	v_cmpx_gt_i32_e64 s4, v0
	s_cbranch_execz .LBB14_121
; %bb.108:
	v_sub_co_u32 v1, s1, s4, 2
	s_sub_co_i32 s2, s0, s38
	s_xor_b32 s6, s1, -1
	s_and_b32 s5, s4, -2
	v_readfirstlane_b32 s3, v1
	s_lshr_b32 s0, s3, 1
	s_mov_b32 s3, 0
	s_add_co_i32 s0, s0, 1
	s_mov_b32 s11, s3
	s_and_b32 s1, s0, 7
	s_and_b32 s7, s0, -8
	s_cmp_lg_u32 s1, 0
	v_cmp_lt_u32_e64 s0, 13, v1
	s_cselect_b32 s8, -1, 0
	s_cmp_lg_u32 s4, s5
	s_cselect_b32 s9, -1, 0
	s_lshl_b32 s10, s1, 3
	s_branch .LBB14_110
.LBB14_109:                             ;   in Loop: Header=BB14_110 Depth=1
	v_add_nc_u32_e32 v0, 0x400, v0
	s_wait_dscnt 0x0
	global_store_b32 v2, v1, s[34:35] scale_offset
	v_cmp_le_i32_e32 vcc_lo, s4, v0
	s_or_b32 s11, vcc_lo, s11
	s_wait_xcnt 0x0
	s_and_not1_b32 exec_lo, exec_lo, s11
	s_cbranch_execz .LBB14_121
.LBB14_110:                             ; =>This Loop Header: Depth=1
                                        ;     Child Loop BB14_113 Depth 2
                                        ;     Child Loop BB14_116 Depth 2
	;; [unrolled: 1-line block ×3, first 2 shown]
	v_lshl_add_u32 v1, v0, 2, 0
	s_and_not1_b32 vcc_lo, exec_lo, s6
	s_mov_b32 s1, 0
	s_mov_b32 s12, -1
	s_delay_alu instid0(VALU_DEP_1)
	v_add_nc_u32_e32 v2, 0x10000, v1
	ds_load_b32 v4, v1
	ds_load_b32 v1, v2
	v_mov_b32_e32 v2, s2
	s_cbranch_vccnz .LBB14_118
; %bb.111:                              ;   in Loop: Header=BB14_110 Depth=1
	v_mov_b64_e32 v[2:3], s[2:3]
	s_and_not1_b32 vcc_lo, exec_lo, s0
	s_mov_b32 s12, 0
	s_cbranch_vccnz .LBB14_114
; %bb.112:                              ;   in Loop: Header=BB14_110 Depth=1
	v_dual_mov_b32 v2, s2 :: v_dual_mov_b32 v3, 0
	s_mov_b32 s13, 0
	s_mov_b32 s14, s7
.LBB14_113:                             ;   Parent Loop BB14_110 Depth=1
                                        ; =>  This Inner Loop Header: Depth=2
	v_mov_b32_e32 v5, s13
	s_add_co_i32 s14, s14, -8
	s_add_co_i32 s12, s12, 16
	s_add_co_i32 s13, s13, 64
	s_cmp_lg_u32 s14, 0
	ds_load_2addr_b32 v[6:7], v5 offset1:1
	ds_load_2addr_b32 v[8:9], v5 offset0:2 offset1:3
	ds_load_2addr_b32 v[10:11], v5 offset0:4 offset1:5
	;; [unrolled: 1-line block ×7, first 2 shown]
	s_wait_dscnt 0x7
	v_cmp_gt_i32_e32 vcc_lo, v4, v7
	s_wait_dscnt 0x5
	v_cmp_gt_i32_e64 s1, v4, v10
	v_cndmask_b32_e64 v5, 0, 1, vcc_lo
	v_cmp_gt_i32_e32 vcc_lo, v4, v6
	s_delay_alu instid0(VALU_DEP_3) | instskip(SKIP_3) | instid1(VALU_DEP_3)
	v_cndmask_b32_e64 v7, 0, 1, s1
	v_cmp_gt_i32_e64 s1, v4, v11
	v_cndmask_b32_e64 v6, 0, 1, vcc_lo
	v_cmp_gt_i32_e32 vcc_lo, v4, v8
	v_cndmask_b32_e64 v8, 0, 1, s1
	s_wait_dscnt 0x4
	v_cmp_gt_i32_e64 s1, v4, v13
	v_add_co_ci_u32_e64 v2, null, v2, v6, vcc_lo
	s_delay_alu instid0(VALU_DEP_2) | instskip(SKIP_3) | instid1(VALU_DEP_2)
	v_cndmask_b32_e64 v10, 0, 1, s1
	v_cmp_gt_i32_e64 s1, v4, v12
	s_wait_dscnt 0x2
	v_cmp_gt_i32_e32 vcc_lo, v4, v16
	v_cndmask_b32_e64 v11, 0, 1, s1
	v_cmp_gt_i32_e64 s1, v4, v14
	v_add_co_ci_u32_e64 v2, null, v2, v7, vcc_lo
	s_wait_dscnt 0x1
	v_cmp_gt_i32_e32 vcc_lo, v4, v18
	s_delay_alu instid0(VALU_DEP_3) | instskip(SKIP_4) | instid1(VALU_DEP_3)
	v_cndmask_b32_e64 v12, 0, 1, s1
	v_cmp_gt_i32_e64 s1, v4, v15
	v_add_co_ci_u32_e64 v2, null, v2, v11, vcc_lo
	s_wait_dscnt 0x0
	v_cmp_gt_i32_e32 vcc_lo, v4, v20
	v_cndmask_b32_e64 v13, 0, 1, s1
	v_cmp_gt_i32_e64 s1, v4, v9
	v_add_co_ci_u32_e64 v2, null, v2, v12, vcc_lo
	s_delay_alu instid0(VALU_DEP_2) | instskip(SKIP_1) | instid1(VALU_DEP_1)
	v_add_co_ci_u32_e64 v3, null, v3, v5, s1
	v_cmp_gt_i32_e64 s1, v4, v17
	v_add_co_ci_u32_e64 v3, null, v3, v8, s1
	v_cmp_gt_i32_e64 s1, v4, v19
	s_delay_alu instid0(VALU_DEP_1) | instskip(SKIP_1) | instid1(VALU_DEP_1)
	v_add_co_ci_u32_e64 v3, null, v3, v10, s1
	v_cmp_gt_i32_e64 s1, v4, v21
	v_add_co_ci_u32_e64 v3, null, v3, v13, s1
	s_cbranch_scc1 .LBB14_113
.LBB14_114:                             ;   in Loop: Header=BB14_110 Depth=1
	s_and_not1_b32 vcc_lo, exec_lo, s8
	s_cbranch_vccnz .LBB14_117
; %bb.115:                              ;   in Loop: Header=BB14_110 Depth=1
	s_lshl_b32 s1, s12, 2
	s_mov_b32 s12, s10
	s_add_co_i32 s1, s1, 0
.LBB14_116:                             ;   Parent Loop BB14_110 Depth=1
                                        ; =>  This Inner Loop Header: Depth=2
	s_delay_alu instid0(SALU_CYCLE_1)
	v_mov_b32_e32 v5, s1
	s_add_co_i32 s12, s12, -8
	s_add_co_i32 s1, s1, 8
	s_cmp_lg_u32 s12, 0
	ds_load_2addr_b32 v[6:7], v5 offset1:1
	s_wait_dscnt 0x0
	v_cmp_gt_i32_e32 vcc_lo, v4, v7
	v_add_co_ci_u32_e64 v3, null, 0, v3, vcc_lo
	v_cmp_gt_i32_e32 vcc_lo, v4, v6
	v_add_co_ci_u32_e64 v2, null, 0, v2, vcc_lo
	s_cbranch_scc1 .LBB14_116
.LBB14_117:                             ;   in Loop: Header=BB14_110 Depth=1
	s_delay_alu instid0(VALU_DEP_1)
	v_add_nc_u32_e32 v2, v2, v3
	s_mov_b32 s1, s5
	s_mov_b32 s12, s9
.LBB14_118:                             ;   in Loop: Header=BB14_110 Depth=1
	s_delay_alu instid0(SALU_CYCLE_1)
	s_and_b32 vcc_lo, exec_lo, s12
	s_cbranch_vccz .LBB14_109
; %bb.119:                              ;   in Loop: Header=BB14_110 Depth=1
	s_lshl_b32 s12, s1, 2
	s_delay_alu instid0(SALU_CYCLE_1)
	s_add_co_i32 s12, s12, 0
.LBB14_120:                             ;   Parent Loop BB14_110 Depth=1
                                        ; =>  This Inner Loop Header: Depth=2
	s_delay_alu instid0(SALU_CYCLE_1)
	v_mov_b32_e32 v3, s12
	s_add_co_i32 s1, s1, 1
	s_add_co_i32 s12, s12, 4
	s_cmp_ge_i32 s1, s4
	ds_load_b32 v3, v3
	s_wait_dscnt 0x0
	v_cmp_gt_i32_e32 vcc_lo, v4, v3
	v_add_co_ci_u32_e64 v2, null, 0, v2, vcc_lo
	s_cbranch_scc0 .LBB14_120
	s_branch .LBB14_109
.LBB14_121:
	s_endpgm
	.section	.rodata,"a",@progbits
	.p2align	6, 0x0
	.amdhsa_kernel _ZN9rocsparseL41csrgemm_numeric_fill_block_per_row_kernelILj1024ELj64ELj16384ELj137ELj32EiifEEvT5_PKS1_S3_NS_24const_host_device_scalarIT6_EEPKT4_S3_PKS5_S9_S3_SB_S6_S9_S3_SB_S9_S3_PS5_21rocsparse_index_base_SD_SD_SD_bbb
		.amdhsa_group_segment_fixed_size 0
		.amdhsa_private_segment_fixed_size 0
		.amdhsa_kernarg_size 156
		.amdhsa_user_sgpr_count 2
		.amdhsa_user_sgpr_dispatch_ptr 0
		.amdhsa_user_sgpr_queue_ptr 0
		.amdhsa_user_sgpr_kernarg_segment_ptr 1
		.amdhsa_user_sgpr_dispatch_id 0
		.amdhsa_user_sgpr_kernarg_preload_length 0
		.amdhsa_user_sgpr_kernarg_preload_offset 0
		.amdhsa_user_sgpr_private_segment_size 0
		.amdhsa_wavefront_size32 1
		.amdhsa_uses_dynamic_stack 0
		.amdhsa_enable_private_segment 0
		.amdhsa_system_sgpr_workgroup_id_x 1
		.amdhsa_system_sgpr_workgroup_id_y 0
		.amdhsa_system_sgpr_workgroup_id_z 0
		.amdhsa_system_sgpr_workgroup_info 0
		.amdhsa_system_vgpr_workitem_id 0
		.amdhsa_next_free_vgpr 22
		.amdhsa_next_free_sgpr 74
		.amdhsa_named_barrier_count 0
		.amdhsa_reserve_vcc 1
		.amdhsa_float_round_mode_32 0
		.amdhsa_float_round_mode_16_64 0
		.amdhsa_float_denorm_mode_32 3
		.amdhsa_float_denorm_mode_16_64 3
		.amdhsa_fp16_overflow 0
		.amdhsa_memory_ordered 1
		.amdhsa_forward_progress 1
		.amdhsa_inst_pref_size 37
		.amdhsa_round_robin_scheduling 0
		.amdhsa_exception_fp_ieee_invalid_op 0
		.amdhsa_exception_fp_denorm_src 0
		.amdhsa_exception_fp_ieee_div_zero 0
		.amdhsa_exception_fp_ieee_overflow 0
		.amdhsa_exception_fp_ieee_underflow 0
		.amdhsa_exception_fp_ieee_inexact 0
		.amdhsa_exception_int_div_zero 0
	.end_amdhsa_kernel
	.section	.text._ZN9rocsparseL41csrgemm_numeric_fill_block_per_row_kernelILj1024ELj64ELj16384ELj137ELj32EiifEEvT5_PKS1_S3_NS_24const_host_device_scalarIT6_EEPKT4_S3_PKS5_S9_S3_SB_S6_S9_S3_SB_S9_S3_PS5_21rocsparse_index_base_SD_SD_SD_bbb,"axG",@progbits,_ZN9rocsparseL41csrgemm_numeric_fill_block_per_row_kernelILj1024ELj64ELj16384ELj137ELj32EiifEEvT5_PKS1_S3_NS_24const_host_device_scalarIT6_EEPKT4_S3_PKS5_S9_S3_SB_S6_S9_S3_SB_S9_S3_PS5_21rocsparse_index_base_SD_SD_SD_bbb,comdat
.Lfunc_end14:
	.size	_ZN9rocsparseL41csrgemm_numeric_fill_block_per_row_kernelILj1024ELj64ELj16384ELj137ELj32EiifEEvT5_PKS1_S3_NS_24const_host_device_scalarIT6_EEPKT4_S3_PKS5_S9_S3_SB_S6_S9_S3_SB_S9_S3_PS5_21rocsparse_index_base_SD_SD_SD_bbb, .Lfunc_end14-_ZN9rocsparseL41csrgemm_numeric_fill_block_per_row_kernelILj1024ELj64ELj16384ELj137ELj32EiifEEvT5_PKS1_S3_NS_24const_host_device_scalarIT6_EEPKT4_S3_PKS5_S9_S3_SB_S6_S9_S3_SB_S9_S3_PS5_21rocsparse_index_base_SD_SD_SD_bbb
                                        ; -- End function
	.set _ZN9rocsparseL41csrgemm_numeric_fill_block_per_row_kernelILj1024ELj64ELj16384ELj137ELj32EiifEEvT5_PKS1_S3_NS_24const_host_device_scalarIT6_EEPKT4_S3_PKS5_S9_S3_SB_S6_S9_S3_SB_S9_S3_PS5_21rocsparse_index_base_SD_SD_SD_bbb.num_vgpr, 22
	.set _ZN9rocsparseL41csrgemm_numeric_fill_block_per_row_kernelILj1024ELj64ELj16384ELj137ELj32EiifEEvT5_PKS1_S3_NS_24const_host_device_scalarIT6_EEPKT4_S3_PKS5_S9_S3_SB_S6_S9_S3_SB_S9_S3_PS5_21rocsparse_index_base_SD_SD_SD_bbb.num_agpr, 0
	.set _ZN9rocsparseL41csrgemm_numeric_fill_block_per_row_kernelILj1024ELj64ELj16384ELj137ELj32EiifEEvT5_PKS1_S3_NS_24const_host_device_scalarIT6_EEPKT4_S3_PKS5_S9_S3_SB_S6_S9_S3_SB_S9_S3_PS5_21rocsparse_index_base_SD_SD_SD_bbb.numbered_sgpr, 74
	.set _ZN9rocsparseL41csrgemm_numeric_fill_block_per_row_kernelILj1024ELj64ELj16384ELj137ELj32EiifEEvT5_PKS1_S3_NS_24const_host_device_scalarIT6_EEPKT4_S3_PKS5_S9_S3_SB_S6_S9_S3_SB_S9_S3_PS5_21rocsparse_index_base_SD_SD_SD_bbb.num_named_barrier, 0
	.set _ZN9rocsparseL41csrgemm_numeric_fill_block_per_row_kernelILj1024ELj64ELj16384ELj137ELj32EiifEEvT5_PKS1_S3_NS_24const_host_device_scalarIT6_EEPKT4_S3_PKS5_S9_S3_SB_S6_S9_S3_SB_S9_S3_PS5_21rocsparse_index_base_SD_SD_SD_bbb.private_seg_size, 0
	.set _ZN9rocsparseL41csrgemm_numeric_fill_block_per_row_kernelILj1024ELj64ELj16384ELj137ELj32EiifEEvT5_PKS1_S3_NS_24const_host_device_scalarIT6_EEPKT4_S3_PKS5_S9_S3_SB_S6_S9_S3_SB_S9_S3_PS5_21rocsparse_index_base_SD_SD_SD_bbb.uses_vcc, 1
	.set _ZN9rocsparseL41csrgemm_numeric_fill_block_per_row_kernelILj1024ELj64ELj16384ELj137ELj32EiifEEvT5_PKS1_S3_NS_24const_host_device_scalarIT6_EEPKT4_S3_PKS5_S9_S3_SB_S6_S9_S3_SB_S9_S3_PS5_21rocsparse_index_base_SD_SD_SD_bbb.uses_flat_scratch, 0
	.set _ZN9rocsparseL41csrgemm_numeric_fill_block_per_row_kernelILj1024ELj64ELj16384ELj137ELj32EiifEEvT5_PKS1_S3_NS_24const_host_device_scalarIT6_EEPKT4_S3_PKS5_S9_S3_SB_S6_S9_S3_SB_S9_S3_PS5_21rocsparse_index_base_SD_SD_SD_bbb.has_dyn_sized_stack, 0
	.set _ZN9rocsparseL41csrgemm_numeric_fill_block_per_row_kernelILj1024ELj64ELj16384ELj137ELj32EiifEEvT5_PKS1_S3_NS_24const_host_device_scalarIT6_EEPKT4_S3_PKS5_S9_S3_SB_S6_S9_S3_SB_S9_S3_PS5_21rocsparse_index_base_SD_SD_SD_bbb.has_recursion, 0
	.set _ZN9rocsparseL41csrgemm_numeric_fill_block_per_row_kernelILj1024ELj64ELj16384ELj137ELj32EiifEEvT5_PKS1_S3_NS_24const_host_device_scalarIT6_EEPKT4_S3_PKS5_S9_S3_SB_S6_S9_S3_SB_S9_S3_PS5_21rocsparse_index_base_SD_SD_SD_bbb.has_indirect_call, 0
	.section	.AMDGPU.csdata,"",@progbits
; Kernel info:
; codeLenInByte = 4664
; TotalNumSgprs: 76
; NumVgprs: 22
; ScratchSize: 0
; MemoryBound: 0
; FloatMode: 240
; IeeeMode: 1
; LDSByteSize: 0 bytes/workgroup (compile time only)
; SGPRBlocks: 0
; VGPRBlocks: 1
; NumSGPRsForWavesPerEU: 76
; NumVGPRsForWavesPerEU: 22
; NamedBarCnt: 0
; Occupancy: 16
; WaveLimiterHint : 1
; COMPUTE_PGM_RSRC2:SCRATCH_EN: 0
; COMPUTE_PGM_RSRC2:USER_SGPR: 2
; COMPUTE_PGM_RSRC2:TRAP_HANDLER: 0
; COMPUTE_PGM_RSRC2:TGID_X_EN: 1
; COMPUTE_PGM_RSRC2:TGID_Y_EN: 0
; COMPUTE_PGM_RSRC2:TGID_Z_EN: 0
; COMPUTE_PGM_RSRC2:TIDIG_COMP_CNT: 0
	.section	.text._ZN9rocsparseL41csrgemm_numeric_fill_block_per_row_kernelILj1024ELj64ELj16384ELj137ELj64EiifEEvT5_PKS1_S3_NS_24const_host_device_scalarIT6_EEPKT4_S3_PKS5_S9_S3_SB_S6_S9_S3_SB_S9_S3_PS5_21rocsparse_index_base_SD_SD_SD_bbb,"axG",@progbits,_ZN9rocsparseL41csrgemm_numeric_fill_block_per_row_kernelILj1024ELj64ELj16384ELj137ELj64EiifEEvT5_PKS1_S3_NS_24const_host_device_scalarIT6_EEPKT4_S3_PKS5_S9_S3_SB_S6_S9_S3_SB_S9_S3_PS5_21rocsparse_index_base_SD_SD_SD_bbb,comdat
	.globl	_ZN9rocsparseL41csrgemm_numeric_fill_block_per_row_kernelILj1024ELj64ELj16384ELj137ELj64EiifEEvT5_PKS1_S3_NS_24const_host_device_scalarIT6_EEPKT4_S3_PKS5_S9_S3_SB_S6_S9_S3_SB_S9_S3_PS5_21rocsparse_index_base_SD_SD_SD_bbb ; -- Begin function _ZN9rocsparseL41csrgemm_numeric_fill_block_per_row_kernelILj1024ELj64ELj16384ELj137ELj64EiifEEvT5_PKS1_S3_NS_24const_host_device_scalarIT6_EEPKT4_S3_PKS5_S9_S3_SB_S6_S9_S3_SB_S9_S3_PS5_21rocsparse_index_base_SD_SD_SD_bbb
	.p2align	8
	.type	_ZN9rocsparseL41csrgemm_numeric_fill_block_per_row_kernelILj1024ELj64ELj16384ELj137ELj64EiifEEvT5_PKS1_S3_NS_24const_host_device_scalarIT6_EEPKT4_S3_PKS5_S9_S3_SB_S6_S9_S3_SB_S9_S3_PS5_21rocsparse_index_base_SD_SD_SD_bbb,@function
_ZN9rocsparseL41csrgemm_numeric_fill_block_per_row_kernelILj1024ELj64ELj16384ELj137ELj64EiifEEvT5_PKS1_S3_NS_24const_host_device_scalarIT6_EEPKT4_S3_PKS5_S9_S3_SB_S6_S9_S3_SB_S9_S3_PS5_21rocsparse_index_base_SD_SD_SD_bbb: ; @_ZN9rocsparseL41csrgemm_numeric_fill_block_per_row_kernelILj1024ELj64ELj16384ELj137ELj64EiifEEvT5_PKS1_S3_NS_24const_host_device_scalarIT6_EEPKT4_S3_PKS5_S9_S3_SB_S6_S9_S3_SB_S9_S3_PS5_21rocsparse_index_base_SD_SD_SD_bbb
; %bb.0:
	s_clause 0x3
	s_load_b32 s14, s[0:1], 0x98
	s_load_b64 s[2:3], s[0:1], 0x18
	s_load_b128 s[16:19], s[0:1], 0x88
	s_load_b64 s[12:13], s[0:1], 0x50
	s_wait_kmcnt 0x0
	s_and_b32 s4, 1, s14
	s_bitcmp1_b32 s14, 16
	s_cselect_b32 s15, -1, 0
	s_cmp_eq_u32 s4, 1
	s_cselect_b32 s37, -1, 0
	s_delay_alu instid0(SALU_CYCLE_1) | instskip(SKIP_2) | instid1(SALU_CYCLE_1)
	s_and_b32 s4, s37, exec_lo
	s_cselect_b32 s35, s2, 0
	s_xor_b32 s4, s37, -1
	s_or_b32 s4, s15, s4
	s_delay_alu instid0(SALU_CYCLE_1)
	s_and_b32 vcc_lo, exec_lo, s4
	s_cbranch_vccnz .LBB15_2
; %bb.1:
	s_load_b32 s35, s[2:3], 0x0
.LBB15_2:
	s_clause 0x3
	s_load_b64 s[24:25], s[0:1], 0x80
	s_load_b128 s[4:7], s[0:1], 0x60
	s_load_b128 s[8:11], s[0:1], 0x40
	;; [unrolled: 1-line block ×3, first 2 shown]
	s_wait_xcnt 0x0
	s_load_b64 s[2:3], s[0:1], 0x28
	s_bitcmp1_b32 s14, 8
	s_cselect_b32 s36, -1, 0
	s_delay_alu instid0(SALU_CYCLE_1) | instskip(SKIP_2) | instid1(SALU_CYCLE_1)
	s_and_b32 s14, s36, exec_lo
	s_cselect_b32 s34, s12, 0
	s_xor_b32 s14, s36, -1
	s_or_b32 s14, s15, s14
	s_delay_alu instid0(SALU_CYCLE_1)
	s_and_b32 vcc_lo, exec_lo, s14
	s_cbranch_vccnz .LBB15_4
; %bb.3:
	s_load_b32 s34, s[12:13], 0x0
.LBB15_4:
	s_clause 0x3
	s_load_b32 s33, s[0:1], 0x0
	s_load_b64 s[30:31], s[0:1], 0x20
	s_load_b64 s[26:27], s[0:1], 0x70
	;; [unrolled: 1-line block ×3, first 2 shown]
	s_wait_xcnt 0x0
	s_load_b128 s[12:15], s[0:1], 0x30
	v_lshl_add_u32 v1, v0, 2, 0
	v_or_b32_e32 v4, 0xfffffc00, v0
	v_mov_b32_e32 v2, 0
	s_wait_xcnt 0x0
	s_mov_b32 s0, 0
	s_delay_alu instid0(VALU_DEP_2)
	v_dual_mov_b32 v3, v1 :: v_dual_mov_b32 v6, v4
	s_wait_kmcnt 0x0
	v_mov_b32_e32 v5, s33
.LBB15_5:                               ; =>This Inner Loop Header: Depth=1
	s_delay_alu instid0(VALU_DEP_2) | instskip(NEXT) | instid1(VALU_DEP_3)
	v_add_nc_u32_e32 v6, 0x400, v6
	v_add_nc_u32_e32 v7, 0x10000, v3
	ds_store_b32 v3, v5
	v_add_nc_u32_e32 v3, 0x1000, v3
	v_cmp_lt_u32_e32 vcc_lo, 0x3bff, v6
	ds_store_b32 v7, v2
	s_or_b32 s0, vcc_lo, s0
	s_delay_alu instid0(SALU_CYCLE_1)
	s_and_not1_b32 exec_lo, exec_lo, s0
	s_cbranch_execnz .LBB15_5
; %bb.6:
	s_or_b32 exec_lo, exec_lo, s0
	s_wait_dscnt 0x0
	s_barrier_signal -1
	s_barrier_wait -1
	s_load_b32 s0, s[20:21], 0x0
	s_bfe_u32 s1, ttmp6, 0x4000c
	s_wait_xcnt 0x0
	s_and_b32 s20, ttmp6, 15
	s_add_co_i32 s1, s1, 1
	s_getreg_b32 s21, hwreg(HW_REG_IB_STS2, 6, 4)
	s_mul_i32 s1, ttmp9, s1
	v_lshrrev_b32_e32 v5, 6, v0
	s_add_co_i32 s20, s20, s1
	s_cmp_eq_u32 s21, 0
	s_cselect_b32 s1, ttmp9, s20
	s_and_b32 vcc_lo, exec_lo, s37
	s_wait_kmcnt 0x0
	s_add_co_i32 s0, s0, s1
	s_load_b32 s20, s[22:23], s0 offset:0x0 scale_offset
	s_cbranch_vccz .LBB15_24
; %bb.7:
	s_wait_kmcnt 0x0
	s_ashr_i32 s21, s20, 31
	v_subrev_nc_u32_e32 v2, s16, v5
	s_lshl_b64 s[0:1], s[20:21], 2
	s_delay_alu instid0(SALU_CYCLE_1)
	s_add_nc_u64 s[0:1], s[30:31], s[0:1]
	s_load_b64 s[22:23], s[0:1], 0x0
	s_wait_xcnt 0x0
	s_mov_b32 s1, exec_lo
	s_wait_kmcnt 0x0
	v_add_nc_u32_e32 v2, s22, v2
	s_sub_co_i32 s0, s23, s16
	s_delay_alu instid0(VALU_DEP_1) | instid1(SALU_CYCLE_1)
	v_cmpx_gt_i32_e64 s0, v2
	s_cbranch_execz .LBB15_23
; %bb.8:
	v_and_b32_e32 v3, 63, v0
	s_mov_b32 s21, 0
	s_delay_alu instid0(VALU_DEP_1)
	v_subrev_nc_u32_e32 v6, s17, v3
	s_branch .LBB15_10
.LBB15_9:                               ;   in Loop: Header=BB15_10 Depth=1
	s_or_b32 exec_lo, exec_lo, s22
	v_add_nc_u32_e32 v2, 16, v2
	s_delay_alu instid0(VALU_DEP_1) | instskip(SKIP_1) | instid1(SALU_CYCLE_1)
	v_cmp_le_i32_e32 vcc_lo, s0, v2
	s_or_b32 s21, vcc_lo, s21
	s_and_not1_b32 exec_lo, exec_lo, s21
	s_cbranch_execz .LBB15_23
.LBB15_10:                              ; =>This Loop Header: Depth=1
                                        ;     Child Loop BB15_14 Depth 2
                                        ;       Child Loop BB15_17 Depth 3
	global_load_b32 v3, v2, s[2:3] scale_offset
	s_mov_b32 s22, exec_lo
	s_wait_loadcnt 0x0
	v_subrev_nc_u32_e32 v8, s16, v3
	s_delay_alu instid0(VALU_DEP_1) | instskip(NEXT) | instid1(VALU_DEP_1)
	v_ashrrev_i32_e32 v9, 31, v8
	v_lshl_add_u64 v[8:9], v[8:9], 2, s[14:15]
	global_load_b64 v[8:9], v[8:9], off
	s_wait_loadcnt 0x0
	v_subrev_nc_u32_e32 v7, s17, v9
	s_wait_xcnt 0x0
	v_add_nc_u32_e32 v8, v8, v6
	s_delay_alu instid0(VALU_DEP_1)
	v_cmpx_lt_i32_e64 v8, v7
	s_cbranch_execz .LBB15_9
; %bb.11:                               ;   in Loop: Header=BB15_10 Depth=1
	v_ashrrev_i32_e32 v3, 31, v2
	s_mov_b32 s23, 0
	s_delay_alu instid0(VALU_DEP_1)
	v_lshl_add_u64 v[10:11], v[2:3], 2, s[12:13]
	global_load_b32 v3, v[10:11], off
	s_wait_loadcnt 0x0
	v_mul_f32_e32 v3, s35, v3
	s_branch .LBB15_14
.LBB15_12:                              ;   in Loop: Header=BB15_14 Depth=2
	s_or_b32 exec_lo, exec_lo, s31
.LBB15_13:                              ;   in Loop: Header=BB15_14 Depth=2
	s_delay_alu instid0(SALU_CYCLE_1) | instskip(SKIP_3) | instid1(VALU_DEP_2)
	s_or_b32 exec_lo, exec_lo, s30
	s_wait_loadcnt 0x0
	v_dual_mul_f32 v9, v3, v9 :: v_dual_lshlrev_b32 v10, 2, v10
	v_add_nc_u32_e32 v8, 64, v8
	v_add3_u32 v10, 0, v10, 0x10000
	s_delay_alu instid0(VALU_DEP_2) | instskip(SKIP_2) | instid1(SALU_CYCLE_1)
	v_cmp_ge_i32_e32 vcc_lo, v8, v7
	ds_add_f32 v10, v9
	s_or_b32 s23, vcc_lo, s23
	s_and_not1_b32 exec_lo, exec_lo, s23
	s_cbranch_execz .LBB15_9
.LBB15_14:                              ;   Parent Loop BB15_10 Depth=1
                                        ; =>  This Loop Header: Depth=2
                                        ;       Child Loop BB15_17 Depth 3
	s_clause 0x1
	global_load_b32 v10, v8, s[8:9] scale_offset
	global_load_b32 v9, v8, s[10:11] scale_offset
	s_mov_b32 s30, exec_lo
	s_wait_loadcnt 0x1
	v_subrev_nc_u32_e32 v11, s17, v10
	s_delay_alu instid0(VALU_DEP_1) | instskip(NEXT) | instid1(VALU_DEP_1)
	v_mul_lo_u32 v10, 0x89, v11
	v_and_b32_e32 v10, 0x3fff, v10
	s_delay_alu instid0(VALU_DEP_1)
	v_lshl_add_u32 v12, v10, 2, 0
	ds_load_b32 v13, v12
	s_wait_dscnt 0x0
	s_wait_xcnt 0x0
	v_cmpx_ne_u32_e64 v13, v11
	s_cbranch_execz .LBB15_13
; %bb.15:                               ;   in Loop: Header=BB15_14 Depth=2
	s_mov_b32 s31, 0
	s_branch .LBB15_17
.LBB15_16:                              ;   in Loop: Header=BB15_17 Depth=3
	s_or_b32 exec_lo, exec_lo, s39
	s_delay_alu instid0(SALU_CYCLE_1) | instskip(NEXT) | instid1(SALU_CYCLE_1)
	s_and_b32 s37, exec_lo, s38
	s_or_b32 s31, s37, s31
	s_delay_alu instid0(SALU_CYCLE_1)
	s_and_not1_b32 exec_lo, exec_lo, s31
	s_cbranch_execz .LBB15_12
.LBB15_17:                              ;   Parent Loop BB15_10 Depth=1
                                        ;     Parent Loop BB15_14 Depth=2
                                        ; =>    This Inner Loop Header: Depth=3
	s_mov_b32 s37, 0
	s_mov_b32 s38, exec_lo
	v_cmpx_ne_u32_e64 s33, v13
	s_xor_b32 s38, exec_lo, s38
	s_cbranch_execz .LBB15_19
; %bb.18:                               ;   in Loop: Header=BB15_17 Depth=3
	v_add_nc_u32_e32 v10, 1, v10
	s_mov_b32 s37, exec_lo
                                        ; implicit-def: $vgpr12
	s_delay_alu instid0(VALU_DEP_1)
	v_and_b32_e32 v10, 0x3fff, v10
	s_and_not1_saveexec_b32 s38, s38
	s_cbranch_execz .LBB15_21
	s_branch .LBB15_20
.LBB15_19:                              ;   in Loop: Header=BB15_17 Depth=3
	s_and_not1_saveexec_b32 s38, s38
	s_cbranch_execz .LBB15_21
.LBB15_20:                              ;   in Loop: Header=BB15_17 Depth=3
	v_mov_b32_e32 v13, s33
	s_and_not1_b32 s37, s37, exec_lo
	ds_cmpstore_rtn_b32 v12, v12, v11, v13
	s_wait_dscnt 0x0
	v_cmp_ne_u32_e32 vcc_lo, s33, v12
	s_and_b32 s39, vcc_lo, exec_lo
	s_delay_alu instid0(SALU_CYCLE_1)
	s_or_b32 s37, s37, s39
.LBB15_21:                              ;   in Loop: Header=BB15_17 Depth=3
	s_or_b32 exec_lo, exec_lo, s38
	s_mov_b32 s38, -1
                                        ; implicit-def: $vgpr12
                                        ; implicit-def: $vgpr13
	s_and_saveexec_b32 s39, s37
	s_cbranch_execz .LBB15_16
; %bb.22:                               ;   in Loop: Header=BB15_17 Depth=3
	v_lshl_add_u32 v12, v10, 2, 0
	ds_load_b32 v13, v12
	s_wait_dscnt 0x0
	v_cmp_eq_u32_e32 vcc_lo, v13, v11
	s_or_not1_b32 s38, vcc_lo, exec_lo
	s_branch .LBB15_16
.LBB15_23:
	s_or_b32 exec_lo, exec_lo, s1
.LBB15_24:
	s_delay_alu instid0(SALU_CYCLE_1)
	s_and_not1_b32 vcc_lo, exec_lo, s36
	s_cbranch_vccnz .LBB15_39
; %bb.25:
	s_wait_kmcnt 0x0
	s_ashr_i32 s21, s20, 31
	v_subrev_nc_u32_e32 v2, s19, v0
	s_lshl_b64 s[0:1], s[20:21], 2
	s_delay_alu instid0(SALU_CYCLE_1)
	s_add_nc_u64 s[0:1], s[28:29], s[0:1]
	s_load_b64 s[2:3], s[0:1], 0x0
	s_wait_xcnt 0x0
	s_mov_b32 s1, exec_lo
	s_wait_kmcnt 0x0
	v_add_nc_u32_e32 v2, s2, v2
	s_sub_co_i32 s0, s3, s19
	s_delay_alu instid0(VALU_DEP_1) | instid1(SALU_CYCLE_1)
	v_cmpx_gt_i32_e64 s0, v2
	s_cbranch_execz .LBB15_38
; %bb.26:
	s_mov_b32 s2, 0
	s_branch .LBB15_29
.LBB15_27:                              ;   in Loop: Header=BB15_29 Depth=1
	s_or_b32 exec_lo, exec_lo, s8
.LBB15_28:                              ;   in Loop: Header=BB15_29 Depth=1
	s_delay_alu instid0(SALU_CYCLE_1) | instskip(SKIP_3) | instid1(VALU_DEP_2)
	s_or_b32 exec_lo, exec_lo, s3
	s_wait_loadcnt 0x0
	v_dual_mul_f32 v3, s34, v3 :: v_dual_lshlrev_b32 v6, 2, v6
	v_add_nc_u32_e32 v2, 0x400, v2
	v_add3_u32 v6, 0, v6, 0x10000
	s_delay_alu instid0(VALU_DEP_2) | instskip(SKIP_2) | instid1(SALU_CYCLE_1)
	v_cmp_le_i32_e32 vcc_lo, s0, v2
	ds_add_f32 v6, v3
	s_or_b32 s2, vcc_lo, s2
	s_and_not1_b32 exec_lo, exec_lo, s2
	s_cbranch_execz .LBB15_38
.LBB15_29:                              ; =>This Loop Header: Depth=1
                                        ;     Child Loop BB15_32 Depth 2
	s_clause 0x1
	global_load_b32 v6, v2, s[4:5] scale_offset
	global_load_b32 v3, v2, s[6:7] scale_offset
	s_mov_b32 s3, exec_lo
	s_wait_loadcnt 0x1
	v_subrev_nc_u32_e32 v7, s19, v6
	s_delay_alu instid0(VALU_DEP_1) | instskip(NEXT) | instid1(VALU_DEP_1)
	v_mul_lo_u32 v6, 0x89, v7
	v_and_b32_e32 v6, 0x3fff, v6
	s_delay_alu instid0(VALU_DEP_1)
	v_lshl_add_u32 v8, v6, 2, 0
	ds_load_b32 v9, v8
	s_wait_dscnt 0x0
	s_wait_xcnt 0x0
	v_cmpx_ne_u32_e64 v9, v7
	s_cbranch_execz .LBB15_28
; %bb.30:                               ;   in Loop: Header=BB15_29 Depth=1
	s_mov_b32 s8, 0
	s_branch .LBB15_32
.LBB15_31:                              ;   in Loop: Header=BB15_32 Depth=2
	s_or_b32 exec_lo, exec_lo, s11
	s_delay_alu instid0(SALU_CYCLE_1) | instskip(NEXT) | instid1(SALU_CYCLE_1)
	s_and_b32 s9, exec_lo, s10
	s_or_b32 s8, s9, s8
	s_delay_alu instid0(SALU_CYCLE_1)
	s_and_not1_b32 exec_lo, exec_lo, s8
	s_cbranch_execz .LBB15_27
.LBB15_32:                              ;   Parent Loop BB15_29 Depth=1
                                        ; =>  This Inner Loop Header: Depth=2
	s_mov_b32 s9, 0
	s_mov_b32 s10, exec_lo
	v_cmpx_ne_u32_e64 s33, v9
	s_xor_b32 s10, exec_lo, s10
	s_cbranch_execz .LBB15_34
; %bb.33:                               ;   in Loop: Header=BB15_32 Depth=2
	v_add_nc_u32_e32 v6, 1, v6
	s_mov_b32 s9, exec_lo
                                        ; implicit-def: $vgpr8
	s_delay_alu instid0(VALU_DEP_1)
	v_and_b32_e32 v6, 0x3fff, v6
	s_and_not1_saveexec_b32 s10, s10
	s_cbranch_execz .LBB15_36
	s_branch .LBB15_35
.LBB15_34:                              ;   in Loop: Header=BB15_32 Depth=2
	s_and_not1_saveexec_b32 s10, s10
	s_cbranch_execz .LBB15_36
.LBB15_35:                              ;   in Loop: Header=BB15_32 Depth=2
	v_mov_b32_e32 v9, s33
	s_and_not1_b32 s9, s9, exec_lo
	ds_cmpstore_rtn_b32 v8, v8, v7, v9
	s_wait_dscnt 0x0
	v_cmp_ne_u32_e32 vcc_lo, s33, v8
	s_and_b32 s11, vcc_lo, exec_lo
	s_delay_alu instid0(SALU_CYCLE_1)
	s_or_b32 s9, s9, s11
.LBB15_36:                              ;   in Loop: Header=BB15_32 Depth=2
	s_or_b32 exec_lo, exec_lo, s10
	s_mov_b32 s10, -1
                                        ; implicit-def: $vgpr8
                                        ; implicit-def: $vgpr9
	s_and_saveexec_b32 s11, s9
	s_cbranch_execz .LBB15_31
; %bb.37:                               ;   in Loop: Header=BB15_32 Depth=2
	v_lshl_add_u32 v8, v6, 2, 0
	ds_load_b32 v9, v8
	s_wait_dscnt 0x0
	v_cmp_eq_u32_e32 vcc_lo, v9, v7
	s_or_not1_b32 s10, vcc_lo, exec_lo
	s_branch .LBB15_31
.LBB15_38:
	s_or_b32 exec_lo, exec_lo, s1
.LBB15_39:
	v_mbcnt_lo_u32_b32 v2, -1, 0
	v_lshlrev_b32_e32 v5, 2, v5
	s_add_co_i32 s36, 0, 0x2003c
	s_delay_alu instid0(SALU_CYCLE_1) | instskip(NEXT) | instid1(VALU_DEP_3)
	v_dual_mov_b32 v3, 0 :: v_dual_mov_b32 v6, s36
	v_xor_b32_e32 v2, 31, v2
	s_delay_alu instid0(VALU_DEP_3)
	v_add3_u32 v5, 0x20000, 0, v5
	s_wait_xcnt 0x0
	v_cmp_lt_u32_e64 s0, 63, v0
	v_cmp_lt_u32_e64 s1, 0x7f, v0
	;; [unrolled: 1-line block ×3, first 2 shown]
	v_lshrrev_b32_e64 v2, v2, -1
	v_cmp_lt_u32_e64 s3, 0xff, v0
	v_cmp_lt_u32_e64 s4, 0x13f, v0
	;; [unrolled: 1-line block ×12, first 2 shown]
	s_mov_b32 s16, 0
	s_add_co_i32 s17, 0, 0x20000
	s_add_co_i32 s19, 0, 0x20004
	;; [unrolled: 1-line block ×15, first 2 shown]
	s_wait_dscnt 0x0
	s_barrier_signal -1
	s_barrier_wait -1
	v_cmp_eq_u32_e32 vcc_lo, 0x3ff, v0
	s_branch .LBB15_41
.LBB15_40:                              ;   in Loop: Header=BB15_41 Depth=1
	s_or_b32 exec_lo, exec_lo, s15
	s_wait_dscnt 0x0
	s_barrier_signal -1
	s_barrier_wait -1
	ds_load_b32 v7, v6
	v_add_nc_u32_e32 v4, 0x400, v4
	v_add_nc_u32_e32 v1, 0x1000, v1
	s_delay_alu instid0(VALU_DEP_2)
	v_cmp_lt_u32_e64 s15, 0x3bff, v4
	s_or_b32 s16, s15, s16
	s_wait_dscnt 0x0
	v_add_nc_u32_e32 v3, v7, v3
	s_and_not1_b32 exec_lo, exec_lo, s16
	s_cbranch_execz .LBB15_75
.LBB15_41:                              ; =>This Inner Loop Header: Depth=1
	ds_load_b32 v7, v1
	v_add_nc_u32_e32 v8, 0x10000, v1
	ds_load_b32 v8, v8
	s_wait_dscnt 0x0
	s_barrier_signal -1
	s_barrier_wait -1
	v_cmp_gt_i32_e64 s15, s33, v7
	s_bcnt1_i32_b32 s41, s15
	s_delay_alu instid0(SALU_CYCLE_1) | instskip(NEXT) | instid1(VALU_DEP_1)
	v_dual_mov_b32 v10, s41 :: v_dual_bitop2_b32 v9, s15, v2 bitop3:0x40
	v_bcnt_u32_b32 v9, v9, 0
	ds_store_b32 v5, v10
	s_wait_dscnt 0x0
	s_barrier_signal -1
	s_barrier_wait -1
	s_and_saveexec_b32 s41, s0
	s_cbranch_execz .LBB15_58
; %bb.42:                               ;   in Loop: Header=BB15_41 Depth=1
	v_mov_b32_e32 v10, s17
	ds_load_b32 v10, v10
	s_wait_dscnt 0x0
	v_add_nc_u32_e32 v9, v10, v9
	s_or_b32 exec_lo, exec_lo, s41
	s_and_saveexec_b32 s41, s1
	s_cbranch_execnz .LBB15_59
.LBB15_43:                              ;   in Loop: Header=BB15_41 Depth=1
	s_or_b32 exec_lo, exec_lo, s41
	s_and_saveexec_b32 s41, s2
	s_cbranch_execz .LBB15_60
.LBB15_44:                              ;   in Loop: Header=BB15_41 Depth=1
	v_mov_b32_e32 v10, s21
	ds_load_b32 v10, v10
	s_wait_dscnt 0x0
	v_add_nc_u32_e32 v9, v10, v9
	s_or_b32 exec_lo, exec_lo, s41
	s_and_saveexec_b32 s41, s3
	s_cbranch_execnz .LBB15_61
.LBB15_45:                              ;   in Loop: Header=BB15_41 Depth=1
	s_or_b32 exec_lo, exec_lo, s41
	s_and_saveexec_b32 s41, s4
	s_cbranch_execz .LBB15_62
.LBB15_46:                              ;   in Loop: Header=BB15_41 Depth=1
	v_mov_b32_e32 v10, s23
	ds_load_b32 v10, v10
	s_wait_dscnt 0x0
	v_add_nc_u32_e32 v9, v10, v9
	s_or_b32 exec_lo, exec_lo, s41
	s_and_saveexec_b32 s41, s5
	s_cbranch_execnz .LBB15_63
.LBB15_47:                              ;   in Loop: Header=BB15_41 Depth=1
	s_or_b32 exec_lo, exec_lo, s41
	s_and_saveexec_b32 s41, s6
	s_cbranch_execz .LBB15_64
.LBB15_48:                              ;   in Loop: Header=BB15_41 Depth=1
	v_mov_b32_e32 v10, s29
	ds_load_b32 v10, v10
	s_wait_dscnt 0x0
	v_add_nc_u32_e32 v9, v10, v9
	s_or_b32 exec_lo, exec_lo, s41
	s_and_saveexec_b32 s41, s7
	s_cbranch_execnz .LBB15_65
.LBB15_49:                              ;   in Loop: Header=BB15_41 Depth=1
	s_or_b32 exec_lo, exec_lo, s41
	s_and_saveexec_b32 s41, s8
	s_cbranch_execz .LBB15_66
.LBB15_50:                              ;   in Loop: Header=BB15_41 Depth=1
	v_mov_b32_e32 v10, s31
	ds_load_b32 v10, v10
	s_wait_dscnt 0x0
	v_add_nc_u32_e32 v9, v10, v9
	s_or_b32 exec_lo, exec_lo, s41
	s_and_saveexec_b32 s41, s9
	s_cbranch_execnz .LBB15_67
.LBB15_51:                              ;   in Loop: Header=BB15_41 Depth=1
	s_or_b32 exec_lo, exec_lo, s41
	s_and_saveexec_b32 s41, s10
	s_cbranch_execz .LBB15_68
.LBB15_52:                              ;   in Loop: Header=BB15_41 Depth=1
	v_mov_b32_e32 v10, s35
	ds_load_b32 v10, v10
	s_wait_dscnt 0x0
	v_add_nc_u32_e32 v9, v10, v9
	s_or_b32 exec_lo, exec_lo, s41
	s_and_saveexec_b32 s41, s11
	s_cbranch_execnz .LBB15_69
.LBB15_53:                              ;   in Loop: Header=BB15_41 Depth=1
	s_or_b32 exec_lo, exec_lo, s41
	s_and_saveexec_b32 s41, s12
	s_cbranch_execz .LBB15_70
.LBB15_54:                              ;   in Loop: Header=BB15_41 Depth=1
	v_mov_b32_e32 v10, s38
	ds_load_b32 v10, v10
	s_wait_dscnt 0x0
	v_add_nc_u32_e32 v9, v10, v9
	s_or_b32 exec_lo, exec_lo, s41
	s_and_saveexec_b32 s41, s13
	s_cbranch_execnz .LBB15_71
.LBB15_55:                              ;   in Loop: Header=BB15_41 Depth=1
	s_or_b32 exec_lo, exec_lo, s41
	s_and_saveexec_b32 s41, s14
	s_cbranch_execz .LBB15_72
.LBB15_56:                              ;   in Loop: Header=BB15_41 Depth=1
	v_mov_b32_e32 v10, s40
	ds_load_b32 v10, v10
	s_wait_dscnt 0x0
	v_add_nc_u32_e32 v9, v10, v9
	s_or_b32 exec_lo, exec_lo, s41
	s_and_saveexec_b32 s41, s15
	s_cbranch_execnz .LBB15_73
.LBB15_57:                              ;   in Loop: Header=BB15_41 Depth=1
	s_or_b32 exec_lo, exec_lo, s41
	s_and_saveexec_b32 s15, vcc_lo
	s_cbranch_execz .LBB15_40
	s_branch .LBB15_74
.LBB15_58:                              ;   in Loop: Header=BB15_41 Depth=1
	s_or_b32 exec_lo, exec_lo, s41
	s_and_saveexec_b32 s41, s1
	s_cbranch_execz .LBB15_43
.LBB15_59:                              ;   in Loop: Header=BB15_41 Depth=1
	v_mov_b32_e32 v10, s19
	ds_load_b32 v10, v10
	s_wait_dscnt 0x0
	v_add_nc_u32_e32 v9, v10, v9
	s_or_b32 exec_lo, exec_lo, s41
	s_and_saveexec_b32 s41, s2
	s_cbranch_execnz .LBB15_44
.LBB15_60:                              ;   in Loop: Header=BB15_41 Depth=1
	s_or_b32 exec_lo, exec_lo, s41
	s_and_saveexec_b32 s41, s3
	s_cbranch_execz .LBB15_45
.LBB15_61:                              ;   in Loop: Header=BB15_41 Depth=1
	v_mov_b32_e32 v10, s22
	ds_load_b32 v10, v10
	s_wait_dscnt 0x0
	v_add_nc_u32_e32 v9, v10, v9
	s_or_b32 exec_lo, exec_lo, s41
	s_and_saveexec_b32 s41, s4
	s_cbranch_execnz .LBB15_46
.LBB15_62:                              ;   in Loop: Header=BB15_41 Depth=1
	s_or_b32 exec_lo, exec_lo, s41
	s_and_saveexec_b32 s41, s5
	s_cbranch_execz .LBB15_47
.LBB15_63:                              ;   in Loop: Header=BB15_41 Depth=1
	v_mov_b32_e32 v10, s28
	ds_load_b32 v10, v10
	s_wait_dscnt 0x0
	v_add_nc_u32_e32 v9, v10, v9
	s_or_b32 exec_lo, exec_lo, s41
	s_and_saveexec_b32 s41, s6
	s_cbranch_execnz .LBB15_48
.LBB15_64:                              ;   in Loop: Header=BB15_41 Depth=1
	s_or_b32 exec_lo, exec_lo, s41
	s_and_saveexec_b32 s41, s7
	s_cbranch_execz .LBB15_49
.LBB15_65:                              ;   in Loop: Header=BB15_41 Depth=1
	v_mov_b32_e32 v10, s30
	ds_load_b32 v10, v10
	s_wait_dscnt 0x0
	v_add_nc_u32_e32 v9, v10, v9
	s_or_b32 exec_lo, exec_lo, s41
	s_and_saveexec_b32 s41, s8
	s_cbranch_execnz .LBB15_50
.LBB15_66:                              ;   in Loop: Header=BB15_41 Depth=1
	s_or_b32 exec_lo, exec_lo, s41
	s_and_saveexec_b32 s41, s9
	s_cbranch_execz .LBB15_51
.LBB15_67:                              ;   in Loop: Header=BB15_41 Depth=1
	v_mov_b32_e32 v10, s34
	ds_load_b32 v10, v10
	s_wait_dscnt 0x0
	v_add_nc_u32_e32 v9, v10, v9
	s_or_b32 exec_lo, exec_lo, s41
	s_and_saveexec_b32 s41, s10
	s_cbranch_execnz .LBB15_52
.LBB15_68:                              ;   in Loop: Header=BB15_41 Depth=1
	s_or_b32 exec_lo, exec_lo, s41
	s_and_saveexec_b32 s41, s11
	s_cbranch_execz .LBB15_53
.LBB15_69:                              ;   in Loop: Header=BB15_41 Depth=1
	v_mov_b32_e32 v10, s37
	ds_load_b32 v10, v10
	s_wait_dscnt 0x0
	v_add_nc_u32_e32 v9, v10, v9
	s_or_b32 exec_lo, exec_lo, s41
	s_and_saveexec_b32 s41, s12
	s_cbranch_execnz .LBB15_54
.LBB15_70:                              ;   in Loop: Header=BB15_41 Depth=1
	s_or_b32 exec_lo, exec_lo, s41
	s_and_saveexec_b32 s41, s13
	s_cbranch_execz .LBB15_55
.LBB15_71:                              ;   in Loop: Header=BB15_41 Depth=1
	v_mov_b32_e32 v10, s39
	ds_load_b32 v10, v10
	s_wait_dscnt 0x0
	v_add_nc_u32_e32 v9, v10, v9
	s_or_b32 exec_lo, exec_lo, s41
	s_and_saveexec_b32 s41, s14
	s_cbranch_execnz .LBB15_56
.LBB15_72:                              ;   in Loop: Header=BB15_41 Depth=1
	s_or_b32 exec_lo, exec_lo, s41
	s_and_saveexec_b32 s41, s15
	s_cbranch_execz .LBB15_57
.LBB15_73:                              ;   in Loop: Header=BB15_41 Depth=1
	s_delay_alu instid0(VALU_DEP_1) | instskip(SKIP_1) | instid1(VALU_DEP_2)
	v_add3_u32 v10, v3, -1, v9
	v_add_nc_u32_e32 v11, v3, v9
	v_lshl_add_u32 v10, v10, 2, 0
	s_delay_alu instid0(VALU_DEP_2)
	v_lshl_add_u32 v11, v11, 2, 0
	ds_store_b32 v10, v7
	ds_store_b32 v11, v8 offset:65532
	s_or_b32 exec_lo, exec_lo, s41
	s_and_saveexec_b32 s15, vcc_lo
	s_cbranch_execz .LBB15_40
.LBB15_74:                              ;   in Loop: Header=BB15_41 Depth=1
	v_mov_b32_e32 v7, s36
	ds_store_b32 v7, v9
	s_branch .LBB15_40
.LBB15_75:
	s_or_b32 exec_lo, exec_lo, s16
	s_wait_kmcnt 0x0
	s_ashr_i32 s21, s20, 31
	s_delay_alu instid0(SALU_CYCLE_1) | instskip(NEXT) | instid1(SALU_CYCLE_1)
	s_lshl_b64 s[0:1], s[20:21], 2
	s_add_nc_u64 s[2:3], s[26:27], s[0:1]
	s_load_b64 s[0:1], s[2:3], 0x0
	s_wait_kmcnt 0x0
	s_sub_co_i32 s4, s1, s0
	s_mov_b32 s1, exec_lo
	v_cmpx_gt_i32_e64 s4, v0
	s_cbranch_execz .LBB15_89
; %bb.76:
	v_sub_co_u32 v1, s1, s4, 2
	s_sub_co_i32 s2, s0, s18
	s_xor_b32 s6, s1, -1
	s_and_b32 s5, s4, -2
	v_readfirstlane_b32 s3, v1
	s_lshr_b32 s0, s3, 1
	s_mov_b32 s3, 0
	s_add_co_i32 s0, s0, 1
	s_mov_b32 s11, s3
	s_and_b32 s1, s0, 7
	s_and_b32 s7, s0, -8
	s_cmp_lg_u32 s1, 0
	v_cmp_lt_u32_e64 s0, 13, v1
	s_cselect_b32 s8, -1, 0
	s_cmp_lg_u32 s4, s5
	s_cselect_b32 s9, -1, 0
	s_lshl_b32 s10, s1, 3
	s_branch .LBB15_78
.LBB15_77:                              ;   in Loop: Header=BB15_78 Depth=1
	v_add_nc_u32_e32 v0, 0x400, v0
	s_wait_dscnt 0x0
	global_store_b32 v2, v1, s[24:25] scale_offset
	v_cmp_le_i32_e32 vcc_lo, s4, v0
	s_or_b32 s11, vcc_lo, s11
	s_wait_xcnt 0x0
	s_and_not1_b32 exec_lo, exec_lo, s11
	s_cbranch_execz .LBB15_89
.LBB15_78:                              ; =>This Loop Header: Depth=1
                                        ;     Child Loop BB15_81 Depth 2
                                        ;     Child Loop BB15_84 Depth 2
	;; [unrolled: 1-line block ×3, first 2 shown]
	v_lshl_add_u32 v1, v0, 2, 0
	s_and_not1_b32 vcc_lo, exec_lo, s6
	s_mov_b32 s1, 0
	s_mov_b32 s12, -1
	s_delay_alu instid0(VALU_DEP_1)
	v_add_nc_u32_e32 v2, 0x10000, v1
	ds_load_b32 v4, v1
	ds_load_b32 v1, v2
	v_mov_b32_e32 v2, s2
	s_cbranch_vccnz .LBB15_86
; %bb.79:                               ;   in Loop: Header=BB15_78 Depth=1
	v_mov_b64_e32 v[2:3], s[2:3]
	s_and_not1_b32 vcc_lo, exec_lo, s0
	s_mov_b32 s12, 0
	s_cbranch_vccnz .LBB15_82
; %bb.80:                               ;   in Loop: Header=BB15_78 Depth=1
	v_dual_mov_b32 v2, s2 :: v_dual_mov_b32 v3, 0
	s_mov_b32 s13, 0
	s_mov_b32 s14, s7
.LBB15_81:                              ;   Parent Loop BB15_78 Depth=1
                                        ; =>  This Inner Loop Header: Depth=2
	v_mov_b32_e32 v5, s13
	s_add_co_i32 s14, s14, -8
	s_add_co_i32 s12, s12, 16
	s_add_co_i32 s13, s13, 64
	s_cmp_lg_u32 s14, 0
	ds_load_2addr_b32 v[6:7], v5 offset1:1
	ds_load_2addr_b32 v[8:9], v5 offset0:2 offset1:3
	ds_load_2addr_b32 v[10:11], v5 offset0:4 offset1:5
	;; [unrolled: 1-line block ×7, first 2 shown]
	s_wait_dscnt 0x7
	v_cmp_gt_i32_e32 vcc_lo, v4, v7
	s_wait_dscnt 0x5
	v_cmp_gt_i32_e64 s1, v4, v10
	v_cndmask_b32_e64 v5, 0, 1, vcc_lo
	v_cmp_gt_i32_e32 vcc_lo, v4, v6
	s_delay_alu instid0(VALU_DEP_3) | instskip(SKIP_3) | instid1(VALU_DEP_3)
	v_cndmask_b32_e64 v7, 0, 1, s1
	v_cmp_gt_i32_e64 s1, v4, v11
	v_cndmask_b32_e64 v6, 0, 1, vcc_lo
	v_cmp_gt_i32_e32 vcc_lo, v4, v8
	v_cndmask_b32_e64 v8, 0, 1, s1
	s_wait_dscnt 0x4
	v_cmp_gt_i32_e64 s1, v4, v13
	v_add_co_ci_u32_e64 v2, null, v2, v6, vcc_lo
	s_delay_alu instid0(VALU_DEP_2) | instskip(SKIP_3) | instid1(VALU_DEP_2)
	v_cndmask_b32_e64 v10, 0, 1, s1
	v_cmp_gt_i32_e64 s1, v4, v12
	s_wait_dscnt 0x2
	v_cmp_gt_i32_e32 vcc_lo, v4, v16
	v_cndmask_b32_e64 v11, 0, 1, s1
	v_cmp_gt_i32_e64 s1, v4, v14
	v_add_co_ci_u32_e64 v2, null, v2, v7, vcc_lo
	s_wait_dscnt 0x1
	v_cmp_gt_i32_e32 vcc_lo, v4, v18
	s_delay_alu instid0(VALU_DEP_3) | instskip(SKIP_4) | instid1(VALU_DEP_3)
	v_cndmask_b32_e64 v12, 0, 1, s1
	v_cmp_gt_i32_e64 s1, v4, v15
	v_add_co_ci_u32_e64 v2, null, v2, v11, vcc_lo
	s_wait_dscnt 0x0
	v_cmp_gt_i32_e32 vcc_lo, v4, v20
	v_cndmask_b32_e64 v13, 0, 1, s1
	v_cmp_gt_i32_e64 s1, v4, v9
	v_add_co_ci_u32_e64 v2, null, v2, v12, vcc_lo
	s_delay_alu instid0(VALU_DEP_2) | instskip(SKIP_1) | instid1(VALU_DEP_1)
	v_add_co_ci_u32_e64 v3, null, v3, v5, s1
	v_cmp_gt_i32_e64 s1, v4, v17
	v_add_co_ci_u32_e64 v3, null, v3, v8, s1
	v_cmp_gt_i32_e64 s1, v4, v19
	s_delay_alu instid0(VALU_DEP_1) | instskip(SKIP_1) | instid1(VALU_DEP_1)
	v_add_co_ci_u32_e64 v3, null, v3, v10, s1
	v_cmp_gt_i32_e64 s1, v4, v21
	v_add_co_ci_u32_e64 v3, null, v3, v13, s1
	s_cbranch_scc1 .LBB15_81
.LBB15_82:                              ;   in Loop: Header=BB15_78 Depth=1
	s_and_not1_b32 vcc_lo, exec_lo, s8
	s_cbranch_vccnz .LBB15_85
; %bb.83:                               ;   in Loop: Header=BB15_78 Depth=1
	s_lshl_b32 s1, s12, 2
	s_mov_b32 s12, s10
	s_add_co_i32 s1, s1, 0
.LBB15_84:                              ;   Parent Loop BB15_78 Depth=1
                                        ; =>  This Inner Loop Header: Depth=2
	s_delay_alu instid0(SALU_CYCLE_1)
	v_mov_b32_e32 v5, s1
	s_add_co_i32 s12, s12, -8
	s_add_co_i32 s1, s1, 8
	s_cmp_lg_u32 s12, 0
	ds_load_2addr_b32 v[6:7], v5 offset1:1
	s_wait_dscnt 0x0
	v_cmp_gt_i32_e32 vcc_lo, v4, v7
	v_add_co_ci_u32_e64 v3, null, 0, v3, vcc_lo
	v_cmp_gt_i32_e32 vcc_lo, v4, v6
	v_add_co_ci_u32_e64 v2, null, 0, v2, vcc_lo
	s_cbranch_scc1 .LBB15_84
.LBB15_85:                              ;   in Loop: Header=BB15_78 Depth=1
	s_delay_alu instid0(VALU_DEP_1)
	v_add_nc_u32_e32 v2, v2, v3
	s_mov_b32 s1, s5
	s_mov_b32 s12, s9
.LBB15_86:                              ;   in Loop: Header=BB15_78 Depth=1
	s_delay_alu instid0(SALU_CYCLE_1)
	s_and_b32 vcc_lo, exec_lo, s12
	s_cbranch_vccz .LBB15_77
; %bb.87:                               ;   in Loop: Header=BB15_78 Depth=1
	s_lshl_b32 s12, s1, 2
	s_delay_alu instid0(SALU_CYCLE_1)
	s_add_co_i32 s12, s12, 0
.LBB15_88:                              ;   Parent Loop BB15_78 Depth=1
                                        ; =>  This Inner Loop Header: Depth=2
	s_delay_alu instid0(SALU_CYCLE_1)
	v_mov_b32_e32 v3, s12
	s_add_co_i32 s1, s1, 1
	s_add_co_i32 s12, s12, 4
	s_cmp_ge_i32 s1, s4
	ds_load_b32 v3, v3
	s_wait_dscnt 0x0
	v_cmp_gt_i32_e32 vcc_lo, v4, v3
	v_add_co_ci_u32_e64 v2, null, 0, v2, vcc_lo
	s_cbranch_scc0 .LBB15_88
	s_branch .LBB15_77
.LBB15_89:
	s_endpgm
	.section	.rodata,"a",@progbits
	.p2align	6, 0x0
	.amdhsa_kernel _ZN9rocsparseL41csrgemm_numeric_fill_block_per_row_kernelILj1024ELj64ELj16384ELj137ELj64EiifEEvT5_PKS1_S3_NS_24const_host_device_scalarIT6_EEPKT4_S3_PKS5_S9_S3_SB_S6_S9_S3_SB_S9_S3_PS5_21rocsparse_index_base_SD_SD_SD_bbb
		.amdhsa_group_segment_fixed_size 0
		.amdhsa_private_segment_fixed_size 0
		.amdhsa_kernarg_size 156
		.amdhsa_user_sgpr_count 2
		.amdhsa_user_sgpr_dispatch_ptr 0
		.amdhsa_user_sgpr_queue_ptr 0
		.amdhsa_user_sgpr_kernarg_segment_ptr 1
		.amdhsa_user_sgpr_dispatch_id 0
		.amdhsa_user_sgpr_kernarg_preload_length 0
		.amdhsa_user_sgpr_kernarg_preload_offset 0
		.amdhsa_user_sgpr_private_segment_size 0
		.amdhsa_wavefront_size32 1
		.amdhsa_uses_dynamic_stack 0
		.amdhsa_enable_private_segment 0
		.amdhsa_system_sgpr_workgroup_id_x 1
		.amdhsa_system_sgpr_workgroup_id_y 0
		.amdhsa_system_sgpr_workgroup_id_z 0
		.amdhsa_system_sgpr_workgroup_info 0
		.amdhsa_system_vgpr_workitem_id 0
		.amdhsa_next_free_vgpr 22
		.amdhsa_next_free_sgpr 42
		.amdhsa_named_barrier_count 0
		.amdhsa_reserve_vcc 1
		.amdhsa_float_round_mode_32 0
		.amdhsa_float_round_mode_16_64 0
		.amdhsa_float_denorm_mode_32 3
		.amdhsa_float_denorm_mode_16_64 3
		.amdhsa_fp16_overflow 0
		.amdhsa_memory_ordered 1
		.amdhsa_forward_progress 1
		.amdhsa_inst_pref_size 29
		.amdhsa_round_robin_scheduling 0
		.amdhsa_exception_fp_ieee_invalid_op 0
		.amdhsa_exception_fp_denorm_src 0
		.amdhsa_exception_fp_ieee_div_zero 0
		.amdhsa_exception_fp_ieee_overflow 0
		.amdhsa_exception_fp_ieee_underflow 0
		.amdhsa_exception_fp_ieee_inexact 0
		.amdhsa_exception_int_div_zero 0
	.end_amdhsa_kernel
	.section	.text._ZN9rocsparseL41csrgemm_numeric_fill_block_per_row_kernelILj1024ELj64ELj16384ELj137ELj64EiifEEvT5_PKS1_S3_NS_24const_host_device_scalarIT6_EEPKT4_S3_PKS5_S9_S3_SB_S6_S9_S3_SB_S9_S3_PS5_21rocsparse_index_base_SD_SD_SD_bbb,"axG",@progbits,_ZN9rocsparseL41csrgemm_numeric_fill_block_per_row_kernelILj1024ELj64ELj16384ELj137ELj64EiifEEvT5_PKS1_S3_NS_24const_host_device_scalarIT6_EEPKT4_S3_PKS5_S9_S3_SB_S6_S9_S3_SB_S9_S3_PS5_21rocsparse_index_base_SD_SD_SD_bbb,comdat
.Lfunc_end15:
	.size	_ZN9rocsparseL41csrgemm_numeric_fill_block_per_row_kernelILj1024ELj64ELj16384ELj137ELj64EiifEEvT5_PKS1_S3_NS_24const_host_device_scalarIT6_EEPKT4_S3_PKS5_S9_S3_SB_S6_S9_S3_SB_S9_S3_PS5_21rocsparse_index_base_SD_SD_SD_bbb, .Lfunc_end15-_ZN9rocsparseL41csrgemm_numeric_fill_block_per_row_kernelILj1024ELj64ELj16384ELj137ELj64EiifEEvT5_PKS1_S3_NS_24const_host_device_scalarIT6_EEPKT4_S3_PKS5_S9_S3_SB_S6_S9_S3_SB_S9_S3_PS5_21rocsparse_index_base_SD_SD_SD_bbb
                                        ; -- End function
	.set _ZN9rocsparseL41csrgemm_numeric_fill_block_per_row_kernelILj1024ELj64ELj16384ELj137ELj64EiifEEvT5_PKS1_S3_NS_24const_host_device_scalarIT6_EEPKT4_S3_PKS5_S9_S3_SB_S6_S9_S3_SB_S9_S3_PS5_21rocsparse_index_base_SD_SD_SD_bbb.num_vgpr, 22
	.set _ZN9rocsparseL41csrgemm_numeric_fill_block_per_row_kernelILj1024ELj64ELj16384ELj137ELj64EiifEEvT5_PKS1_S3_NS_24const_host_device_scalarIT6_EEPKT4_S3_PKS5_S9_S3_SB_S6_S9_S3_SB_S9_S3_PS5_21rocsparse_index_base_SD_SD_SD_bbb.num_agpr, 0
	.set _ZN9rocsparseL41csrgemm_numeric_fill_block_per_row_kernelILj1024ELj64ELj16384ELj137ELj64EiifEEvT5_PKS1_S3_NS_24const_host_device_scalarIT6_EEPKT4_S3_PKS5_S9_S3_SB_S6_S9_S3_SB_S9_S3_PS5_21rocsparse_index_base_SD_SD_SD_bbb.numbered_sgpr, 42
	.set _ZN9rocsparseL41csrgemm_numeric_fill_block_per_row_kernelILj1024ELj64ELj16384ELj137ELj64EiifEEvT5_PKS1_S3_NS_24const_host_device_scalarIT6_EEPKT4_S3_PKS5_S9_S3_SB_S6_S9_S3_SB_S9_S3_PS5_21rocsparse_index_base_SD_SD_SD_bbb.num_named_barrier, 0
	.set _ZN9rocsparseL41csrgemm_numeric_fill_block_per_row_kernelILj1024ELj64ELj16384ELj137ELj64EiifEEvT5_PKS1_S3_NS_24const_host_device_scalarIT6_EEPKT4_S3_PKS5_S9_S3_SB_S6_S9_S3_SB_S9_S3_PS5_21rocsparse_index_base_SD_SD_SD_bbb.private_seg_size, 0
	.set _ZN9rocsparseL41csrgemm_numeric_fill_block_per_row_kernelILj1024ELj64ELj16384ELj137ELj64EiifEEvT5_PKS1_S3_NS_24const_host_device_scalarIT6_EEPKT4_S3_PKS5_S9_S3_SB_S6_S9_S3_SB_S9_S3_PS5_21rocsparse_index_base_SD_SD_SD_bbb.uses_vcc, 1
	.set _ZN9rocsparseL41csrgemm_numeric_fill_block_per_row_kernelILj1024ELj64ELj16384ELj137ELj64EiifEEvT5_PKS1_S3_NS_24const_host_device_scalarIT6_EEPKT4_S3_PKS5_S9_S3_SB_S6_S9_S3_SB_S9_S3_PS5_21rocsparse_index_base_SD_SD_SD_bbb.uses_flat_scratch, 0
	.set _ZN9rocsparseL41csrgemm_numeric_fill_block_per_row_kernelILj1024ELj64ELj16384ELj137ELj64EiifEEvT5_PKS1_S3_NS_24const_host_device_scalarIT6_EEPKT4_S3_PKS5_S9_S3_SB_S6_S9_S3_SB_S9_S3_PS5_21rocsparse_index_base_SD_SD_SD_bbb.has_dyn_sized_stack, 0
	.set _ZN9rocsparseL41csrgemm_numeric_fill_block_per_row_kernelILj1024ELj64ELj16384ELj137ELj64EiifEEvT5_PKS1_S3_NS_24const_host_device_scalarIT6_EEPKT4_S3_PKS5_S9_S3_SB_S6_S9_S3_SB_S9_S3_PS5_21rocsparse_index_base_SD_SD_SD_bbb.has_recursion, 0
	.set _ZN9rocsparseL41csrgemm_numeric_fill_block_per_row_kernelILj1024ELj64ELj16384ELj137ELj64EiifEEvT5_PKS1_S3_NS_24const_host_device_scalarIT6_EEPKT4_S3_PKS5_S9_S3_SB_S6_S9_S3_SB_S9_S3_PS5_21rocsparse_index_base_SD_SD_SD_bbb.has_indirect_call, 0
	.section	.AMDGPU.csdata,"",@progbits
; Kernel info:
; codeLenInByte = 3636
; TotalNumSgprs: 44
; NumVgprs: 22
; ScratchSize: 0
; MemoryBound: 0
; FloatMode: 240
; IeeeMode: 1
; LDSByteSize: 0 bytes/workgroup (compile time only)
; SGPRBlocks: 0
; VGPRBlocks: 1
; NumSGPRsForWavesPerEU: 44
; NumVGPRsForWavesPerEU: 22
; NamedBarCnt: 0
; Occupancy: 16
; WaveLimiterHint : 1
; COMPUTE_PGM_RSRC2:SCRATCH_EN: 0
; COMPUTE_PGM_RSRC2:USER_SGPR: 2
; COMPUTE_PGM_RSRC2:TRAP_HANDLER: 0
; COMPUTE_PGM_RSRC2:TGID_X_EN: 1
; COMPUTE_PGM_RSRC2:TGID_Y_EN: 0
; COMPUTE_PGM_RSRC2:TGID_Z_EN: 0
; COMPUTE_PGM_RSRC2:TIDIG_COMP_CNT: 0
	.section	.text._ZN9rocsparseL41csrgemm_numeric_fill_block_per_row_kernelILj1024ELj64ELj32768ELj137ELj32EiifEEvT5_PKS1_S3_NS_24const_host_device_scalarIT6_EEPKT4_S3_PKS5_S9_S3_SB_S6_S9_S3_SB_S9_S3_PS5_21rocsparse_index_base_SD_SD_SD_bbb,"axG",@progbits,_ZN9rocsparseL41csrgemm_numeric_fill_block_per_row_kernelILj1024ELj64ELj32768ELj137ELj32EiifEEvT5_PKS1_S3_NS_24const_host_device_scalarIT6_EEPKT4_S3_PKS5_S9_S3_SB_S6_S9_S3_SB_S9_S3_PS5_21rocsparse_index_base_SD_SD_SD_bbb,comdat
	.globl	_ZN9rocsparseL41csrgemm_numeric_fill_block_per_row_kernelILj1024ELj64ELj32768ELj137ELj32EiifEEvT5_PKS1_S3_NS_24const_host_device_scalarIT6_EEPKT4_S3_PKS5_S9_S3_SB_S6_S9_S3_SB_S9_S3_PS5_21rocsparse_index_base_SD_SD_SD_bbb ; -- Begin function _ZN9rocsparseL41csrgemm_numeric_fill_block_per_row_kernelILj1024ELj64ELj32768ELj137ELj32EiifEEvT5_PKS1_S3_NS_24const_host_device_scalarIT6_EEPKT4_S3_PKS5_S9_S3_SB_S6_S9_S3_SB_S9_S3_PS5_21rocsparse_index_base_SD_SD_SD_bbb
	.p2align	8
	.type	_ZN9rocsparseL41csrgemm_numeric_fill_block_per_row_kernelILj1024ELj64ELj32768ELj137ELj32EiifEEvT5_PKS1_S3_NS_24const_host_device_scalarIT6_EEPKT4_S3_PKS5_S9_S3_SB_S6_S9_S3_SB_S9_S3_PS5_21rocsparse_index_base_SD_SD_SD_bbb,@function
_ZN9rocsparseL41csrgemm_numeric_fill_block_per_row_kernelILj1024ELj64ELj32768ELj137ELj32EiifEEvT5_PKS1_S3_NS_24const_host_device_scalarIT6_EEPKT4_S3_PKS5_S9_S3_SB_S6_S9_S3_SB_S9_S3_PS5_21rocsparse_index_base_SD_SD_SD_bbb: ; @_ZN9rocsparseL41csrgemm_numeric_fill_block_per_row_kernelILj1024ELj64ELj32768ELj137ELj32EiifEEvT5_PKS1_S3_NS_24const_host_device_scalarIT6_EEPKT4_S3_PKS5_S9_S3_SB_S6_S9_S3_SB_S9_S3_PS5_21rocsparse_index_base_SD_SD_SD_bbb
; %bb.0:
	s_clause 0x3
	s_load_b32 s14, s[0:1], 0x98
	s_load_b64 s[2:3], s[0:1], 0x18
	s_load_b128 s[36:39], s[0:1], 0x88
	s_load_b64 s[12:13], s[0:1], 0x50
	s_wait_kmcnt 0x0
	s_and_b32 s4, 1, s14
	s_bitcmp1_b32 s14, 16
	s_cselect_b32 s15, -1, 0
	s_cmp_eq_u32 s4, 1
	s_cselect_b32 s27, -1, 0
	s_delay_alu instid0(SALU_CYCLE_1) | instskip(SKIP_2) | instid1(SALU_CYCLE_1)
	s_and_b32 s4, s27, exec_lo
	s_cselect_b32 s25, s2, 0
	s_xor_b32 s4, s27, -1
	s_or_b32 s4, s15, s4
	s_delay_alu instid0(SALU_CYCLE_1)
	s_and_b32 vcc_lo, exec_lo, s4
	s_cbranch_vccnz .LBB16_2
; %bb.1:
	s_load_b32 s25, s[2:3], 0x0
.LBB16_2:
	s_clause 0x3
	s_load_b64 s[34:35], s[0:1], 0x80
	s_load_b128 s[4:7], s[0:1], 0x60
	s_load_b128 s[8:11], s[0:1], 0x40
	;; [unrolled: 1-line block ×3, first 2 shown]
	s_wait_xcnt 0x0
	s_load_b64 s[2:3], s[0:1], 0x28
	s_bitcmp1_b32 s14, 8
	s_cselect_b32 s26, -1, 0
	s_delay_alu instid0(SALU_CYCLE_1) | instskip(SKIP_2) | instid1(SALU_CYCLE_1)
	s_and_b32 s14, s26, exec_lo
	s_cselect_b32 s24, s12, 0
	s_xor_b32 s14, s26, -1
	s_or_b32 s14, s15, s14
	s_delay_alu instid0(SALU_CYCLE_1)
	s_and_b32 vcc_lo, exec_lo, s14
	s_cbranch_vccnz .LBB16_4
; %bb.3:
	s_load_b32 s24, s[12:13], 0x0
.LBB16_4:
	s_clause 0x3
	s_load_b32 s33, s[0:1], 0x0
	s_load_b64 s[22:23], s[0:1], 0x20
	s_load_b64 s[40:41], s[0:1], 0x70
	;; [unrolled: 1-line block ×3, first 2 shown]
	s_wait_xcnt 0x0
	s_load_b128 s[12:15], s[0:1], 0x30
	v_lshl_add_u32 v1, v0, 2, 0
	v_or_b32_e32 v4, 0xfffffc00, v0
	v_mov_b32_e32 v2, 0
	s_wait_xcnt 0x0
	s_mov_b32 s0, 0
	s_delay_alu instid0(VALU_DEP_2)
	v_dual_mov_b32 v3, v1 :: v_dual_mov_b32 v6, v4
	s_wait_kmcnt 0x0
	v_mov_b32_e32 v5, s33
.LBB16_5:                               ; =>This Inner Loop Header: Depth=1
	s_delay_alu instid0(VALU_DEP_2) | instskip(NEXT) | instid1(VALU_DEP_3)
	v_add_nc_u32_e32 v6, 0x400, v6
	v_add_nc_u32_e32 v7, 0x20000, v3
	ds_store_b32 v3, v5
	v_add_nc_u32_e32 v3, 0x1000, v3
	v_cmp_lt_u32_e32 vcc_lo, 0x7bff, v6
	ds_store_b32 v7, v2
	s_or_b32 s0, vcc_lo, s0
	s_delay_alu instid0(SALU_CYCLE_1)
	s_and_not1_b32 exec_lo, exec_lo, s0
	s_cbranch_execnz .LBB16_5
; %bb.6:
	s_or_b32 exec_lo, exec_lo, s0
	s_wait_dscnt 0x0
	s_barrier_signal -1
	s_barrier_wait -1
	s_load_b32 s0, s[16:17], 0x0
	s_bfe_u32 s1, ttmp6, 0x4000c
	s_wait_xcnt 0x0
	s_and_b32 s16, ttmp6, 15
	s_add_co_i32 s1, s1, 1
	s_getreg_b32 s17, hwreg(HW_REG_IB_STS2, 6, 4)
	s_mul_i32 s1, ttmp9, s1
	s_delay_alu instid0(SALU_CYCLE_1)
	s_add_co_i32 s16, s16, s1
	s_cmp_eq_u32 s17, 0
	s_cselect_b32 s1, ttmp9, s16
	s_and_b32 vcc_lo, exec_lo, s27
	s_wait_kmcnt 0x0
	s_add_co_i32 s0, s0, s1
	s_load_b32 s42, s[18:19], s0 offset:0x0 scale_offset
	s_cbranch_vccz .LBB16_24
; %bb.7:
	s_wait_kmcnt 0x0
	s_ashr_i32 s43, s42, 31
	v_lshrrev_b32_e32 v2, 6, v0
	s_lshl_b64 s[0:1], s[42:43], 2
	s_delay_alu instid0(SALU_CYCLE_1) | instskip(NEXT) | instid1(VALU_DEP_1)
	s_add_nc_u64 s[0:1], s[22:23], s[0:1]
	v_subrev_nc_u32_e32 v2, s36, v2
	s_load_b64 s[16:17], s[0:1], 0x0
	s_wait_xcnt 0x0
	s_mov_b32 s1, exec_lo
	s_wait_kmcnt 0x0
	v_add_nc_u32_e32 v2, s16, v2
	s_sub_co_i32 s0, s17, s36
	s_delay_alu instid0(VALU_DEP_1) | instid1(SALU_CYCLE_1)
	v_cmpx_gt_i32_e64 s0, v2
	s_cbranch_execz .LBB16_23
; %bb.8:
	v_and_b32_e32 v3, 63, v0
	s_mov_b32 s16, 0
	s_delay_alu instid0(VALU_DEP_1)
	v_subrev_nc_u32_e32 v5, s37, v3
	s_branch .LBB16_10
.LBB16_9:                               ;   in Loop: Header=BB16_10 Depth=1
	s_or_b32 exec_lo, exec_lo, s17
	v_add_nc_u32_e32 v2, 16, v2
	s_delay_alu instid0(VALU_DEP_1) | instskip(SKIP_1) | instid1(SALU_CYCLE_1)
	v_cmp_le_i32_e32 vcc_lo, s0, v2
	s_or_b32 s16, vcc_lo, s16
	s_and_not1_b32 exec_lo, exec_lo, s16
	s_cbranch_execz .LBB16_23
.LBB16_10:                              ; =>This Loop Header: Depth=1
                                        ;     Child Loop BB16_14 Depth 2
                                        ;       Child Loop BB16_17 Depth 3
	global_load_b32 v3, v2, s[2:3] scale_offset
	s_mov_b32 s17, exec_lo
	s_wait_loadcnt 0x0
	v_subrev_nc_u32_e32 v6, s36, v3
	s_delay_alu instid0(VALU_DEP_1) | instskip(NEXT) | instid1(VALU_DEP_1)
	v_ashrrev_i32_e32 v7, 31, v6
	v_lshl_add_u64 v[6:7], v[6:7], 2, s[14:15]
	global_load_b64 v[8:9], v[6:7], off
	s_wait_loadcnt 0x0
	s_wait_xcnt 0x0
	v_subrev_nc_u32_e32 v6, s37, v9
	v_add_nc_u32_e32 v7, v8, v5
	s_delay_alu instid0(VALU_DEP_1)
	v_cmpx_lt_i32_e64 v7, v6
	s_cbranch_execz .LBB16_9
; %bb.11:                               ;   in Loop: Header=BB16_10 Depth=1
	v_ashrrev_i32_e32 v3, 31, v2
	s_mov_b32 s18, 0
	s_delay_alu instid0(VALU_DEP_1)
	v_lshl_add_u64 v[8:9], v[2:3], 2, s[12:13]
	global_load_b32 v3, v[8:9], off
	s_wait_loadcnt 0x0
	v_mul_f32_e32 v3, s25, v3
	s_branch .LBB16_14
.LBB16_12:                              ;   in Loop: Header=BB16_14 Depth=2
	s_or_b32 exec_lo, exec_lo, s22
.LBB16_13:                              ;   in Loop: Header=BB16_14 Depth=2
	s_delay_alu instid0(SALU_CYCLE_1) | instskip(SKIP_3) | instid1(VALU_DEP_2)
	s_or_b32 exec_lo, exec_lo, s19
	s_wait_loadcnt 0x0
	v_dual_mul_f32 v8, v3, v8 :: v_dual_lshlrev_b32 v9, 2, v9
	v_add_nc_u32_e32 v7, 64, v7
	v_add3_u32 v9, 0, v9, 0x20000
	s_delay_alu instid0(VALU_DEP_2) | instskip(SKIP_2) | instid1(SALU_CYCLE_1)
	v_cmp_ge_i32_e32 vcc_lo, v7, v6
	ds_add_f32 v9, v8
	s_or_b32 s18, vcc_lo, s18
	s_and_not1_b32 exec_lo, exec_lo, s18
	s_cbranch_execz .LBB16_9
.LBB16_14:                              ;   Parent Loop BB16_10 Depth=1
                                        ; =>  This Loop Header: Depth=2
                                        ;       Child Loop BB16_17 Depth 3
	s_clause 0x1
	global_load_b32 v9, v7, s[8:9] scale_offset
	global_load_b32 v8, v7, s[10:11] scale_offset
	s_mov_b32 s19, exec_lo
	s_wait_loadcnt 0x1
	v_subrev_nc_u32_e32 v10, s37, v9
	s_delay_alu instid0(VALU_DEP_1) | instskip(NEXT) | instid1(VALU_DEP_1)
	v_mul_lo_u32 v9, 0x89, v10
	v_and_b32_e32 v9, 0x7fff, v9
	s_delay_alu instid0(VALU_DEP_1)
	v_lshl_add_u32 v11, v9, 2, 0
	ds_load_b32 v12, v11
	s_wait_dscnt 0x0
	s_wait_xcnt 0x0
	v_cmpx_ne_u32_e64 v12, v10
	s_cbranch_execz .LBB16_13
; %bb.15:                               ;   in Loop: Header=BB16_14 Depth=2
	s_mov_b32 s22, 0
	s_branch .LBB16_17
.LBB16_16:                              ;   in Loop: Header=BB16_17 Depth=3
	s_or_b32 exec_lo, exec_lo, s28
	s_delay_alu instid0(SALU_CYCLE_1) | instskip(NEXT) | instid1(SALU_CYCLE_1)
	s_and_b32 s23, exec_lo, s27
	s_or_b32 s22, s23, s22
	s_delay_alu instid0(SALU_CYCLE_1)
	s_and_not1_b32 exec_lo, exec_lo, s22
	s_cbranch_execz .LBB16_12
.LBB16_17:                              ;   Parent Loop BB16_10 Depth=1
                                        ;     Parent Loop BB16_14 Depth=2
                                        ; =>    This Inner Loop Header: Depth=3
	s_mov_b32 s23, 0
	s_mov_b32 s27, exec_lo
	v_cmpx_ne_u32_e64 s33, v12
	s_xor_b32 s27, exec_lo, s27
	s_cbranch_execz .LBB16_19
; %bb.18:                               ;   in Loop: Header=BB16_17 Depth=3
	v_add_nc_u32_e32 v9, 1, v9
	s_mov_b32 s23, exec_lo
                                        ; implicit-def: $vgpr11
	s_delay_alu instid0(VALU_DEP_1)
	v_and_b32_e32 v9, 0x7fff, v9
	s_and_not1_saveexec_b32 s27, s27
	s_cbranch_execz .LBB16_21
	s_branch .LBB16_20
.LBB16_19:                              ;   in Loop: Header=BB16_17 Depth=3
	s_and_not1_saveexec_b32 s27, s27
	s_cbranch_execz .LBB16_21
.LBB16_20:                              ;   in Loop: Header=BB16_17 Depth=3
	v_mov_b32_e32 v12, s33
	s_and_not1_b32 s23, s23, exec_lo
	ds_cmpstore_rtn_b32 v11, v11, v10, v12
	s_wait_dscnt 0x0
	v_cmp_ne_u32_e32 vcc_lo, s33, v11
	s_and_b32 s28, vcc_lo, exec_lo
	s_delay_alu instid0(SALU_CYCLE_1)
	s_or_b32 s23, s23, s28
.LBB16_21:                              ;   in Loop: Header=BB16_17 Depth=3
	s_or_b32 exec_lo, exec_lo, s27
	s_mov_b32 s27, -1
                                        ; implicit-def: $vgpr11
                                        ; implicit-def: $vgpr12
	s_and_saveexec_b32 s28, s23
	s_cbranch_execz .LBB16_16
; %bb.22:                               ;   in Loop: Header=BB16_17 Depth=3
	v_lshl_add_u32 v11, v9, 2, 0
	ds_load_b32 v12, v11
	s_wait_dscnt 0x0
	v_cmp_eq_u32_e32 vcc_lo, v12, v10
	s_or_not1_b32 s27, vcc_lo, exec_lo
	s_branch .LBB16_16
.LBB16_23:
	s_or_b32 exec_lo, exec_lo, s1
.LBB16_24:
	s_delay_alu instid0(SALU_CYCLE_1)
	s_and_not1_b32 vcc_lo, exec_lo, s26
	s_cbranch_vccnz .LBB16_39
; %bb.25:
	s_wait_kmcnt 0x0
	s_ashr_i32 s43, s42, 31
	v_subrev_nc_u32_e32 v2, s39, v0
	s_lshl_b64 s[0:1], s[42:43], 2
	s_delay_alu instid0(SALU_CYCLE_1)
	s_add_nc_u64 s[0:1], s[20:21], s[0:1]
	s_load_b64 s[2:3], s[0:1], 0x0
	s_wait_xcnt 0x0
	s_mov_b32 s1, exec_lo
	s_wait_kmcnt 0x0
	v_add_nc_u32_e32 v2, s2, v2
	s_sub_co_i32 s0, s3, s39
	s_delay_alu instid0(VALU_DEP_1) | instid1(SALU_CYCLE_1)
	v_cmpx_gt_i32_e64 s0, v2
	s_cbranch_execz .LBB16_38
; %bb.26:
	s_mov_b32 s2, 0
	s_branch .LBB16_29
.LBB16_27:                              ;   in Loop: Header=BB16_29 Depth=1
	s_or_b32 exec_lo, exec_lo, s8
.LBB16_28:                              ;   in Loop: Header=BB16_29 Depth=1
	s_delay_alu instid0(SALU_CYCLE_1) | instskip(SKIP_3) | instid1(VALU_DEP_2)
	s_or_b32 exec_lo, exec_lo, s3
	s_wait_loadcnt 0x0
	v_dual_lshlrev_b32 v5, 2, v5 :: v_dual_mul_f32 v3, s24, v3
	v_add_nc_u32_e32 v2, 0x400, v2
	v_add3_u32 v5, 0, v5, 0x20000
	s_delay_alu instid0(VALU_DEP_2) | instskip(SKIP_2) | instid1(SALU_CYCLE_1)
	v_cmp_le_i32_e32 vcc_lo, s0, v2
	ds_add_f32 v5, v3
	s_or_b32 s2, vcc_lo, s2
	s_and_not1_b32 exec_lo, exec_lo, s2
	s_cbranch_execz .LBB16_38
.LBB16_29:                              ; =>This Loop Header: Depth=1
                                        ;     Child Loop BB16_32 Depth 2
	s_clause 0x1
	global_load_b32 v5, v2, s[4:5] scale_offset
	global_load_b32 v3, v2, s[6:7] scale_offset
	s_mov_b32 s3, exec_lo
	s_wait_loadcnt 0x1
	v_subrev_nc_u32_e32 v6, s39, v5
	s_delay_alu instid0(VALU_DEP_1) | instskip(NEXT) | instid1(VALU_DEP_1)
	v_mul_lo_u32 v5, 0x89, v6
	v_and_b32_e32 v5, 0x7fff, v5
	s_delay_alu instid0(VALU_DEP_1)
	v_lshl_add_u32 v7, v5, 2, 0
	ds_load_b32 v8, v7
	s_wait_dscnt 0x0
	s_wait_xcnt 0x0
	v_cmpx_ne_u32_e64 v8, v6
	s_cbranch_execz .LBB16_28
; %bb.30:                               ;   in Loop: Header=BB16_29 Depth=1
	s_mov_b32 s8, 0
	s_branch .LBB16_32
.LBB16_31:                              ;   in Loop: Header=BB16_32 Depth=2
	s_or_b32 exec_lo, exec_lo, s11
	s_delay_alu instid0(SALU_CYCLE_1) | instskip(NEXT) | instid1(SALU_CYCLE_1)
	s_and_b32 s9, exec_lo, s10
	s_or_b32 s8, s9, s8
	s_delay_alu instid0(SALU_CYCLE_1)
	s_and_not1_b32 exec_lo, exec_lo, s8
	s_cbranch_execz .LBB16_27
.LBB16_32:                              ;   Parent Loop BB16_29 Depth=1
                                        ; =>  This Inner Loop Header: Depth=2
	s_mov_b32 s9, 0
	s_mov_b32 s10, exec_lo
	v_cmpx_ne_u32_e64 s33, v8
	s_xor_b32 s10, exec_lo, s10
	s_cbranch_execz .LBB16_34
; %bb.33:                               ;   in Loop: Header=BB16_32 Depth=2
	v_add_nc_u32_e32 v5, 1, v5
	s_mov_b32 s9, exec_lo
                                        ; implicit-def: $vgpr7
	s_delay_alu instid0(VALU_DEP_1)
	v_and_b32_e32 v5, 0x7fff, v5
	s_and_not1_saveexec_b32 s10, s10
	s_cbranch_execz .LBB16_36
	s_branch .LBB16_35
.LBB16_34:                              ;   in Loop: Header=BB16_32 Depth=2
	s_and_not1_saveexec_b32 s10, s10
	s_cbranch_execz .LBB16_36
.LBB16_35:                              ;   in Loop: Header=BB16_32 Depth=2
	v_mov_b32_e32 v8, s33
	s_and_not1_b32 s9, s9, exec_lo
	ds_cmpstore_rtn_b32 v7, v7, v6, v8
	s_wait_dscnt 0x0
	v_cmp_ne_u32_e32 vcc_lo, s33, v7
	s_and_b32 s11, vcc_lo, exec_lo
	s_delay_alu instid0(SALU_CYCLE_1)
	s_or_b32 s9, s9, s11
.LBB16_36:                              ;   in Loop: Header=BB16_32 Depth=2
	s_or_b32 exec_lo, exec_lo, s10
	s_mov_b32 s10, -1
                                        ; implicit-def: $vgpr7
                                        ; implicit-def: $vgpr8
	s_and_saveexec_b32 s11, s9
	s_cbranch_execz .LBB16_31
; %bb.37:                               ;   in Loop: Header=BB16_32 Depth=2
	v_lshl_add_u32 v7, v5, 2, 0
	ds_load_b32 v8, v7
	s_wait_dscnt 0x0
	v_cmp_eq_u32_e32 vcc_lo, v8, v6
	s_or_not1_b32 s10, vcc_lo, exec_lo
	s_branch .LBB16_31
.LBB16_38:
	s_or_b32 exec_lo, exec_lo, s1
.LBB16_39:
	v_mbcnt_lo_u32_b32 v2, -1, 0
	v_lshrrev_b32_e32 v3, 3, v0
	s_wait_xcnt 0x0
	v_cmp_lt_u32_e64 s0, 31, v0
	v_cmp_lt_u32_e64 s1, 63, v0
	v_cmp_lt_u32_e64 s2, 0x5f, v0
	v_xor_b32_e32 v2, 31, v2
	v_and_b32_e32 v5, 0x7c, v3
	v_mov_b32_e32 v3, 0
	v_cmp_lt_u32_e64 s3, 0x7f, v0
	v_cmp_lt_u32_e64 s4, 0x9f, v0
	v_lshrrev_b32_e64 v2, v2, -1
	v_add3_u32 v5, 0x40000, 0, v5
	v_cmp_lt_u32_e64 s5, 0xbf, v0
	v_cmp_lt_u32_e64 s6, 0xdf, v0
	v_cmp_lt_u32_e64 s7, 0xff, v0
	v_cmp_lt_u32_e64 s8, 0x11f, v0
	v_cmp_lt_u32_e64 s9, 0x13f, v0
	v_cmp_lt_u32_e64 s10, 0x15f, v0
	v_cmp_lt_u32_e64 s11, 0x17f, v0
	v_cmp_lt_u32_e64 s12, 0x19f, v0
	v_cmp_lt_u32_e64 s13, 0x1bf, v0
	v_cmp_lt_u32_e64 s14, 0x1df, v0
	v_cmp_lt_u32_e64 s15, 0x1ff, v0
	v_cmp_lt_u32_e64 s16, 0x21f, v0
	v_cmp_lt_u32_e64 s17, 0x23f, v0
	v_cmp_lt_u32_e64 s18, 0x25f, v0
	v_cmp_lt_u32_e64 s19, 0x27f, v0
	v_cmp_lt_u32_e64 s20, 0x29f, v0
	v_cmp_lt_u32_e64 s21, 0x2bf, v0
	v_cmp_lt_u32_e64 s22, 0x2df, v0
	v_cmp_lt_u32_e64 s23, 0x2ff, v0
	v_cmp_lt_u32_e64 s24, 0x31f, v0
	v_cmp_lt_u32_e64 s25, 0x33f, v0
	v_cmp_lt_u32_e64 s26, 0x35f, v0
	v_cmp_lt_u32_e64 s27, 0x37f, v0
	v_cmp_lt_u32_e64 s28, 0x39f, v0
	v_cmp_lt_u32_e64 s29, 0x3bf, v0
	v_cmp_lt_u32_e64 s30, 0x3df, v0
	s_mov_b32 s36, 0
	s_add_co_i32 s37, 0, 0x40000
	s_add_co_i32 s39, 0, 0x40004
	;; [unrolled: 1-line block ×32, first 2 shown]
	s_wait_dscnt 0x0
	s_barrier_signal -1
	s_barrier_wait -1
	v_cmp_eq_u32_e32 vcc_lo, 0x3ff, v0
	s_branch .LBB16_41
.LBB16_40:                              ;   in Loop: Header=BB16_41 Depth=1
	s_or_b32 exec_lo, exec_lo, s31
	v_dual_mov_b32 v6, s72 :: v_dual_add_nc_u32 v1, 0x1000, v1
	s_wait_dscnt 0x0
	s_barrier_signal -1
	s_barrier_wait -1
	ds_load_b32 v6, v6
	v_add_nc_u32_e32 v4, 0x400, v4
	s_delay_alu instid0(VALU_DEP_1)
	v_cmp_lt_u32_e64 s31, 0x7bff, v4
	s_or_b32 s36, s31, s36
	s_wait_dscnt 0x0
	v_add_nc_u32_e32 v3, v6, v3
	s_and_not1_b32 exec_lo, exec_lo, s36
	s_cbranch_execz .LBB16_107
.LBB16_41:                              ; =>This Inner Loop Header: Depth=1
	ds_load_b32 v6, v1
	v_add_nc_u32_e32 v7, 0x20000, v1
	ds_load_b32 v7, v7
	s_wait_dscnt 0x0
	s_barrier_signal -1
	s_barrier_wait -1
	v_cmp_gt_i32_e64 s31, s33, v6
	s_bcnt1_i32_b32 s73, s31
	s_delay_alu instid0(SALU_CYCLE_1) | instskip(NEXT) | instid1(VALU_DEP_1)
	v_dual_mov_b32 v9, s73 :: v_dual_bitop2_b32 v8, s31, v2 bitop3:0x40
	v_bcnt_u32_b32 v8, v8, 0
	ds_store_b32 v5, v9
	s_wait_dscnt 0x0
	s_barrier_signal -1
	s_barrier_wait -1
	s_and_saveexec_b32 s73, s0
	s_cbranch_execz .LBB16_74
; %bb.42:                               ;   in Loop: Header=BB16_41 Depth=1
	v_mov_b32_e32 v9, s37
	ds_load_b32 v9, v9
	s_wait_dscnt 0x0
	v_add_nc_u32_e32 v8, v9, v8
	s_or_b32 exec_lo, exec_lo, s73
	s_and_saveexec_b32 s73, s1
	s_cbranch_execnz .LBB16_75
.LBB16_43:                              ;   in Loop: Header=BB16_41 Depth=1
	s_or_b32 exec_lo, exec_lo, s73
	s_and_saveexec_b32 s73, s2
	s_cbranch_execz .LBB16_76
.LBB16_44:                              ;   in Loop: Header=BB16_41 Depth=1
	v_mov_b32_e32 v9, s43
	ds_load_b32 v9, v9
	s_wait_dscnt 0x0
	v_add_nc_u32_e32 v8, v9, v8
	s_or_b32 exec_lo, exec_lo, s73
	s_and_saveexec_b32 s73, s3
	s_cbranch_execnz .LBB16_77
.LBB16_45:                              ;   in Loop: Header=BB16_41 Depth=1
	s_or_b32 exec_lo, exec_lo, s73
	s_and_saveexec_b32 s73, s4
	s_cbranch_execz .LBB16_78
.LBB16_46:                              ;   in Loop: Header=BB16_41 Depth=1
	v_mov_b32_e32 v9, s45
	ds_load_b32 v9, v9
	s_wait_dscnt 0x0
	v_add_nc_u32_e32 v8, v9, v8
	s_or_b32 exec_lo, exec_lo, s73
	s_and_saveexec_b32 s73, s5
	s_cbranch_execnz .LBB16_79
.LBB16_47:                              ;   in Loop: Header=BB16_41 Depth=1
	s_or_b32 exec_lo, exec_lo, s73
	s_and_saveexec_b32 s73, s6
	s_cbranch_execz .LBB16_80
.LBB16_48:                              ;   in Loop: Header=BB16_41 Depth=1
	v_mov_b32_e32 v9, s47
	ds_load_b32 v9, v9
	s_wait_dscnt 0x0
	v_add_nc_u32_e32 v8, v9, v8
	s_or_b32 exec_lo, exec_lo, s73
	s_and_saveexec_b32 s73, s7
	s_cbranch_execnz .LBB16_81
.LBB16_49:                              ;   in Loop: Header=BB16_41 Depth=1
	s_or_b32 exec_lo, exec_lo, s73
	s_and_saveexec_b32 s73, s8
	s_cbranch_execz .LBB16_82
.LBB16_50:                              ;   in Loop: Header=BB16_41 Depth=1
	v_mov_b32_e32 v9, s49
	ds_load_b32 v9, v9
	s_wait_dscnt 0x0
	v_add_nc_u32_e32 v8, v9, v8
	s_or_b32 exec_lo, exec_lo, s73
	s_and_saveexec_b32 s73, s9
	s_cbranch_execnz .LBB16_83
.LBB16_51:                              ;   in Loop: Header=BB16_41 Depth=1
	s_or_b32 exec_lo, exec_lo, s73
	s_and_saveexec_b32 s73, s10
	s_cbranch_execz .LBB16_84
.LBB16_52:                              ;   in Loop: Header=BB16_41 Depth=1
	v_mov_b32_e32 v9, s51
	ds_load_b32 v9, v9
	s_wait_dscnt 0x0
	v_add_nc_u32_e32 v8, v9, v8
	s_or_b32 exec_lo, exec_lo, s73
	s_and_saveexec_b32 s73, s11
	s_cbranch_execnz .LBB16_85
.LBB16_53:                              ;   in Loop: Header=BB16_41 Depth=1
	s_or_b32 exec_lo, exec_lo, s73
	s_and_saveexec_b32 s73, s12
	s_cbranch_execz .LBB16_86
.LBB16_54:                              ;   in Loop: Header=BB16_41 Depth=1
	v_mov_b32_e32 v9, s53
	ds_load_b32 v9, v9
	s_wait_dscnt 0x0
	v_add_nc_u32_e32 v8, v9, v8
	s_or_b32 exec_lo, exec_lo, s73
	s_and_saveexec_b32 s73, s13
	s_cbranch_execnz .LBB16_87
.LBB16_55:                              ;   in Loop: Header=BB16_41 Depth=1
	s_or_b32 exec_lo, exec_lo, s73
	s_and_saveexec_b32 s73, s14
	s_cbranch_execz .LBB16_88
.LBB16_56:                              ;   in Loop: Header=BB16_41 Depth=1
	v_mov_b32_e32 v9, s55
	ds_load_b32 v9, v9
	s_wait_dscnt 0x0
	v_add_nc_u32_e32 v8, v9, v8
	s_or_b32 exec_lo, exec_lo, s73
	s_and_saveexec_b32 s73, s15
	s_cbranch_execnz .LBB16_89
.LBB16_57:                              ;   in Loop: Header=BB16_41 Depth=1
	s_or_b32 exec_lo, exec_lo, s73
	s_and_saveexec_b32 s73, s16
	s_cbranch_execz .LBB16_90
.LBB16_58:                              ;   in Loop: Header=BB16_41 Depth=1
	v_mov_b32_e32 v9, s57
	ds_load_b32 v9, v9
	s_wait_dscnt 0x0
	v_add_nc_u32_e32 v8, v9, v8
	s_or_b32 exec_lo, exec_lo, s73
	s_and_saveexec_b32 s73, s17
	s_cbranch_execnz .LBB16_91
.LBB16_59:                              ;   in Loop: Header=BB16_41 Depth=1
	s_or_b32 exec_lo, exec_lo, s73
	s_and_saveexec_b32 s73, s18
	s_cbranch_execz .LBB16_92
.LBB16_60:                              ;   in Loop: Header=BB16_41 Depth=1
	v_mov_b32_e32 v9, s59
	ds_load_b32 v9, v9
	s_wait_dscnt 0x0
	v_add_nc_u32_e32 v8, v9, v8
	s_or_b32 exec_lo, exec_lo, s73
	s_and_saveexec_b32 s73, s19
	s_cbranch_execnz .LBB16_93
.LBB16_61:                              ;   in Loop: Header=BB16_41 Depth=1
	s_or_b32 exec_lo, exec_lo, s73
	s_and_saveexec_b32 s73, s20
	s_cbranch_execz .LBB16_94
.LBB16_62:                              ;   in Loop: Header=BB16_41 Depth=1
	v_mov_b32_e32 v9, s61
	ds_load_b32 v9, v9
	s_wait_dscnt 0x0
	v_add_nc_u32_e32 v8, v9, v8
	s_or_b32 exec_lo, exec_lo, s73
	s_and_saveexec_b32 s73, s21
	s_cbranch_execnz .LBB16_95
.LBB16_63:                              ;   in Loop: Header=BB16_41 Depth=1
	s_or_b32 exec_lo, exec_lo, s73
	s_and_saveexec_b32 s73, s22
	s_cbranch_execz .LBB16_96
.LBB16_64:                              ;   in Loop: Header=BB16_41 Depth=1
	v_mov_b32_e32 v9, s63
	ds_load_b32 v9, v9
	s_wait_dscnt 0x0
	v_add_nc_u32_e32 v8, v9, v8
	s_or_b32 exec_lo, exec_lo, s73
	s_and_saveexec_b32 s73, s23
	s_cbranch_execnz .LBB16_97
.LBB16_65:                              ;   in Loop: Header=BB16_41 Depth=1
	s_or_b32 exec_lo, exec_lo, s73
	s_and_saveexec_b32 s73, s24
	s_cbranch_execz .LBB16_98
.LBB16_66:                              ;   in Loop: Header=BB16_41 Depth=1
	v_mov_b32_e32 v9, s65
	ds_load_b32 v9, v9
	s_wait_dscnt 0x0
	v_add_nc_u32_e32 v8, v9, v8
	s_or_b32 exec_lo, exec_lo, s73
	s_and_saveexec_b32 s73, s25
	s_cbranch_execnz .LBB16_99
.LBB16_67:                              ;   in Loop: Header=BB16_41 Depth=1
	s_or_b32 exec_lo, exec_lo, s73
	s_and_saveexec_b32 s73, s26
	s_cbranch_execz .LBB16_100
.LBB16_68:                              ;   in Loop: Header=BB16_41 Depth=1
	v_mov_b32_e32 v9, s67
	ds_load_b32 v9, v9
	s_wait_dscnt 0x0
	v_add_nc_u32_e32 v8, v9, v8
	s_or_b32 exec_lo, exec_lo, s73
	s_and_saveexec_b32 s73, s27
	s_cbranch_execnz .LBB16_101
.LBB16_69:                              ;   in Loop: Header=BB16_41 Depth=1
	s_or_b32 exec_lo, exec_lo, s73
	s_and_saveexec_b32 s73, s28
	s_cbranch_execz .LBB16_102
.LBB16_70:                              ;   in Loop: Header=BB16_41 Depth=1
	v_mov_b32_e32 v9, s69
	ds_load_b32 v9, v9
	s_wait_dscnt 0x0
	v_add_nc_u32_e32 v8, v9, v8
	s_or_b32 exec_lo, exec_lo, s73
	s_and_saveexec_b32 s73, s29
	s_cbranch_execnz .LBB16_103
.LBB16_71:                              ;   in Loop: Header=BB16_41 Depth=1
	s_or_b32 exec_lo, exec_lo, s73
	s_and_saveexec_b32 s73, s30
	s_cbranch_execz .LBB16_104
.LBB16_72:                              ;   in Loop: Header=BB16_41 Depth=1
	v_mov_b32_e32 v9, s71
	ds_load_b32 v9, v9
	s_wait_dscnt 0x0
	v_add_nc_u32_e32 v8, v9, v8
	s_or_b32 exec_lo, exec_lo, s73
	s_and_saveexec_b32 s73, s31
	s_cbranch_execnz .LBB16_105
.LBB16_73:                              ;   in Loop: Header=BB16_41 Depth=1
	s_or_b32 exec_lo, exec_lo, s73
	s_and_saveexec_b32 s31, vcc_lo
	s_cbranch_execz .LBB16_40
	s_branch .LBB16_106
.LBB16_74:                              ;   in Loop: Header=BB16_41 Depth=1
	s_or_b32 exec_lo, exec_lo, s73
	s_and_saveexec_b32 s73, s1
	s_cbranch_execz .LBB16_43
.LBB16_75:                              ;   in Loop: Header=BB16_41 Depth=1
	v_mov_b32_e32 v9, s39
	ds_load_b32 v9, v9
	s_wait_dscnt 0x0
	v_add_nc_u32_e32 v8, v9, v8
	s_or_b32 exec_lo, exec_lo, s73
	s_and_saveexec_b32 s73, s2
	s_cbranch_execnz .LBB16_44
.LBB16_76:                              ;   in Loop: Header=BB16_41 Depth=1
	s_or_b32 exec_lo, exec_lo, s73
	s_and_saveexec_b32 s73, s3
	s_cbranch_execz .LBB16_45
.LBB16_77:                              ;   in Loop: Header=BB16_41 Depth=1
	v_mov_b32_e32 v9, s44
	ds_load_b32 v9, v9
	s_wait_dscnt 0x0
	v_add_nc_u32_e32 v8, v9, v8
	s_or_b32 exec_lo, exec_lo, s73
	s_and_saveexec_b32 s73, s4
	s_cbranch_execnz .LBB16_46
.LBB16_78:                              ;   in Loop: Header=BB16_41 Depth=1
	s_or_b32 exec_lo, exec_lo, s73
	s_and_saveexec_b32 s73, s5
	s_cbranch_execz .LBB16_47
.LBB16_79:                              ;   in Loop: Header=BB16_41 Depth=1
	v_mov_b32_e32 v9, s46
	ds_load_b32 v9, v9
	s_wait_dscnt 0x0
	v_add_nc_u32_e32 v8, v9, v8
	s_or_b32 exec_lo, exec_lo, s73
	s_and_saveexec_b32 s73, s6
	s_cbranch_execnz .LBB16_48
.LBB16_80:                              ;   in Loop: Header=BB16_41 Depth=1
	s_or_b32 exec_lo, exec_lo, s73
	s_and_saveexec_b32 s73, s7
	s_cbranch_execz .LBB16_49
.LBB16_81:                              ;   in Loop: Header=BB16_41 Depth=1
	v_mov_b32_e32 v9, s48
	ds_load_b32 v9, v9
	s_wait_dscnt 0x0
	v_add_nc_u32_e32 v8, v9, v8
	s_or_b32 exec_lo, exec_lo, s73
	s_and_saveexec_b32 s73, s8
	s_cbranch_execnz .LBB16_50
.LBB16_82:                              ;   in Loop: Header=BB16_41 Depth=1
	s_or_b32 exec_lo, exec_lo, s73
	s_and_saveexec_b32 s73, s9
	s_cbranch_execz .LBB16_51
.LBB16_83:                              ;   in Loop: Header=BB16_41 Depth=1
	v_mov_b32_e32 v9, s50
	ds_load_b32 v9, v9
	s_wait_dscnt 0x0
	v_add_nc_u32_e32 v8, v9, v8
	s_or_b32 exec_lo, exec_lo, s73
	s_and_saveexec_b32 s73, s10
	s_cbranch_execnz .LBB16_52
.LBB16_84:                              ;   in Loop: Header=BB16_41 Depth=1
	s_or_b32 exec_lo, exec_lo, s73
	s_and_saveexec_b32 s73, s11
	s_cbranch_execz .LBB16_53
.LBB16_85:                              ;   in Loop: Header=BB16_41 Depth=1
	v_mov_b32_e32 v9, s52
	ds_load_b32 v9, v9
	s_wait_dscnt 0x0
	v_add_nc_u32_e32 v8, v9, v8
	s_or_b32 exec_lo, exec_lo, s73
	s_and_saveexec_b32 s73, s12
	s_cbranch_execnz .LBB16_54
.LBB16_86:                              ;   in Loop: Header=BB16_41 Depth=1
	s_or_b32 exec_lo, exec_lo, s73
	s_and_saveexec_b32 s73, s13
	s_cbranch_execz .LBB16_55
.LBB16_87:                              ;   in Loop: Header=BB16_41 Depth=1
	v_mov_b32_e32 v9, s54
	ds_load_b32 v9, v9
	s_wait_dscnt 0x0
	v_add_nc_u32_e32 v8, v9, v8
	s_or_b32 exec_lo, exec_lo, s73
	s_and_saveexec_b32 s73, s14
	s_cbranch_execnz .LBB16_56
.LBB16_88:                              ;   in Loop: Header=BB16_41 Depth=1
	s_or_b32 exec_lo, exec_lo, s73
	s_and_saveexec_b32 s73, s15
	s_cbranch_execz .LBB16_57
.LBB16_89:                              ;   in Loop: Header=BB16_41 Depth=1
	v_mov_b32_e32 v9, s56
	ds_load_b32 v9, v9
	s_wait_dscnt 0x0
	v_add_nc_u32_e32 v8, v9, v8
	s_or_b32 exec_lo, exec_lo, s73
	s_and_saveexec_b32 s73, s16
	s_cbranch_execnz .LBB16_58
.LBB16_90:                              ;   in Loop: Header=BB16_41 Depth=1
	s_or_b32 exec_lo, exec_lo, s73
	s_and_saveexec_b32 s73, s17
	s_cbranch_execz .LBB16_59
.LBB16_91:                              ;   in Loop: Header=BB16_41 Depth=1
	v_mov_b32_e32 v9, s58
	ds_load_b32 v9, v9
	s_wait_dscnt 0x0
	v_add_nc_u32_e32 v8, v9, v8
	s_or_b32 exec_lo, exec_lo, s73
	s_and_saveexec_b32 s73, s18
	s_cbranch_execnz .LBB16_60
.LBB16_92:                              ;   in Loop: Header=BB16_41 Depth=1
	s_or_b32 exec_lo, exec_lo, s73
	s_and_saveexec_b32 s73, s19
	s_cbranch_execz .LBB16_61
.LBB16_93:                              ;   in Loop: Header=BB16_41 Depth=1
	v_mov_b32_e32 v9, s60
	ds_load_b32 v9, v9
	s_wait_dscnt 0x0
	v_add_nc_u32_e32 v8, v9, v8
	s_or_b32 exec_lo, exec_lo, s73
	s_and_saveexec_b32 s73, s20
	s_cbranch_execnz .LBB16_62
.LBB16_94:                              ;   in Loop: Header=BB16_41 Depth=1
	s_or_b32 exec_lo, exec_lo, s73
	s_and_saveexec_b32 s73, s21
	s_cbranch_execz .LBB16_63
.LBB16_95:                              ;   in Loop: Header=BB16_41 Depth=1
	v_mov_b32_e32 v9, s62
	ds_load_b32 v9, v9
	s_wait_dscnt 0x0
	v_add_nc_u32_e32 v8, v9, v8
	s_or_b32 exec_lo, exec_lo, s73
	s_and_saveexec_b32 s73, s22
	s_cbranch_execnz .LBB16_64
.LBB16_96:                              ;   in Loop: Header=BB16_41 Depth=1
	s_or_b32 exec_lo, exec_lo, s73
	s_and_saveexec_b32 s73, s23
	s_cbranch_execz .LBB16_65
.LBB16_97:                              ;   in Loop: Header=BB16_41 Depth=1
	v_mov_b32_e32 v9, s64
	ds_load_b32 v9, v9
	s_wait_dscnt 0x0
	v_add_nc_u32_e32 v8, v9, v8
	s_or_b32 exec_lo, exec_lo, s73
	s_and_saveexec_b32 s73, s24
	s_cbranch_execnz .LBB16_66
.LBB16_98:                              ;   in Loop: Header=BB16_41 Depth=1
	s_or_b32 exec_lo, exec_lo, s73
	s_and_saveexec_b32 s73, s25
	s_cbranch_execz .LBB16_67
.LBB16_99:                              ;   in Loop: Header=BB16_41 Depth=1
	v_mov_b32_e32 v9, s66
	ds_load_b32 v9, v9
	s_wait_dscnt 0x0
	v_add_nc_u32_e32 v8, v9, v8
	s_or_b32 exec_lo, exec_lo, s73
	s_and_saveexec_b32 s73, s26
	s_cbranch_execnz .LBB16_68
.LBB16_100:                             ;   in Loop: Header=BB16_41 Depth=1
	s_or_b32 exec_lo, exec_lo, s73
	s_and_saveexec_b32 s73, s27
	s_cbranch_execz .LBB16_69
.LBB16_101:                             ;   in Loop: Header=BB16_41 Depth=1
	v_mov_b32_e32 v9, s68
	ds_load_b32 v9, v9
	s_wait_dscnt 0x0
	v_add_nc_u32_e32 v8, v9, v8
	s_or_b32 exec_lo, exec_lo, s73
	s_and_saveexec_b32 s73, s28
	s_cbranch_execnz .LBB16_70
.LBB16_102:                             ;   in Loop: Header=BB16_41 Depth=1
	s_or_b32 exec_lo, exec_lo, s73
	s_and_saveexec_b32 s73, s29
	s_cbranch_execz .LBB16_71
.LBB16_103:                             ;   in Loop: Header=BB16_41 Depth=1
	v_mov_b32_e32 v9, s70
	ds_load_b32 v9, v9
	s_wait_dscnt 0x0
	v_add_nc_u32_e32 v8, v9, v8
	s_or_b32 exec_lo, exec_lo, s73
	s_and_saveexec_b32 s73, s30
	s_cbranch_execnz .LBB16_72
.LBB16_104:                             ;   in Loop: Header=BB16_41 Depth=1
	s_or_b32 exec_lo, exec_lo, s73
	s_and_saveexec_b32 s73, s31
	s_cbranch_execz .LBB16_73
.LBB16_105:                             ;   in Loop: Header=BB16_41 Depth=1
	s_delay_alu instid0(VALU_DEP_1) | instskip(NEXT) | instid1(VALU_DEP_1)
	v_add3_u32 v9, v3, -1, v8
	v_lshl_add_u32 v9, v9, 2, 0
	s_delay_alu instid0(VALU_DEP_1)
	v_add_nc_u32_e32 v10, 0x20000, v9
	ds_store_b32 v9, v6
	ds_store_b32 v10, v7
	s_or_b32 exec_lo, exec_lo, s73
	s_and_saveexec_b32 s31, vcc_lo
	s_cbranch_execz .LBB16_40
.LBB16_106:                             ;   in Loop: Header=BB16_41 Depth=1
	v_mov_b32_e32 v6, s72
	ds_store_b32 v6, v8
	s_branch .LBB16_40
.LBB16_107:
	s_or_b32 exec_lo, exec_lo, s36
	s_wait_kmcnt 0x0
	s_ashr_i32 s43, s42, 31
	s_delay_alu instid0(SALU_CYCLE_1) | instskip(NEXT) | instid1(SALU_CYCLE_1)
	s_lshl_b64 s[0:1], s[42:43], 2
	s_add_nc_u64 s[2:3], s[40:41], s[0:1]
	s_load_b64 s[0:1], s[2:3], 0x0
	s_wait_kmcnt 0x0
	s_sub_co_i32 s4, s1, s0
	s_mov_b32 s1, exec_lo
	v_cmpx_gt_i32_e64 s4, v0
	s_cbranch_execz .LBB16_121
; %bb.108:
	v_sub_co_u32 v1, s1, s4, 2
	s_sub_co_i32 s2, s0, s38
	s_xor_b32 s6, s1, -1
	s_and_b32 s5, s4, -2
	v_readfirstlane_b32 s3, v1
	s_lshr_b32 s0, s3, 1
	s_mov_b32 s3, 0
	s_add_co_i32 s0, s0, 1
	s_mov_b32 s11, s3
	s_and_b32 s1, s0, 7
	s_and_b32 s7, s0, -8
	s_cmp_lg_u32 s1, 0
	v_cmp_lt_u32_e64 s0, 13, v1
	s_cselect_b32 s8, -1, 0
	s_cmp_lg_u32 s4, s5
	s_cselect_b32 s9, -1, 0
	s_lshl_b32 s10, s1, 3
	s_branch .LBB16_110
.LBB16_109:                             ;   in Loop: Header=BB16_110 Depth=1
	v_add_nc_u32_e32 v0, 0x400, v0
	s_wait_dscnt 0x0
	global_store_b32 v2, v1, s[34:35] scale_offset
	v_cmp_le_i32_e32 vcc_lo, s4, v0
	s_or_b32 s11, vcc_lo, s11
	s_wait_xcnt 0x0
	s_and_not1_b32 exec_lo, exec_lo, s11
	s_cbranch_execz .LBB16_121
.LBB16_110:                             ; =>This Loop Header: Depth=1
                                        ;     Child Loop BB16_113 Depth 2
                                        ;     Child Loop BB16_116 Depth 2
	;; [unrolled: 1-line block ×3, first 2 shown]
	v_lshl_add_u32 v1, v0, 2, 0
	s_and_not1_b32 vcc_lo, exec_lo, s6
	s_mov_b32 s1, 0
	s_mov_b32 s12, -1
	s_delay_alu instid0(VALU_DEP_1)
	v_add_nc_u32_e32 v2, 0x20000, v1
	ds_load_b32 v4, v1
	ds_load_b32 v1, v2
	v_mov_b32_e32 v2, s2
	s_cbranch_vccnz .LBB16_118
; %bb.111:                              ;   in Loop: Header=BB16_110 Depth=1
	v_mov_b64_e32 v[2:3], s[2:3]
	s_and_not1_b32 vcc_lo, exec_lo, s0
	s_mov_b32 s12, 0
	s_cbranch_vccnz .LBB16_114
; %bb.112:                              ;   in Loop: Header=BB16_110 Depth=1
	v_dual_mov_b32 v2, s2 :: v_dual_mov_b32 v3, 0
	s_mov_b32 s13, 0
	s_mov_b32 s14, s7
.LBB16_113:                             ;   Parent Loop BB16_110 Depth=1
                                        ; =>  This Inner Loop Header: Depth=2
	v_mov_b32_e32 v5, s13
	s_add_co_i32 s14, s14, -8
	s_add_co_i32 s12, s12, 16
	s_add_co_i32 s13, s13, 64
	s_cmp_lg_u32 s14, 0
	ds_load_2addr_b32 v[6:7], v5 offset1:1
	ds_load_2addr_b32 v[8:9], v5 offset0:2 offset1:3
	ds_load_2addr_b32 v[10:11], v5 offset0:4 offset1:5
	;; [unrolled: 1-line block ×7, first 2 shown]
	s_wait_dscnt 0x7
	v_cmp_gt_i32_e32 vcc_lo, v4, v7
	s_wait_dscnt 0x5
	v_cmp_gt_i32_e64 s1, v4, v10
	v_cndmask_b32_e64 v5, 0, 1, vcc_lo
	v_cmp_gt_i32_e32 vcc_lo, v4, v6
	s_delay_alu instid0(VALU_DEP_3) | instskip(SKIP_3) | instid1(VALU_DEP_3)
	v_cndmask_b32_e64 v7, 0, 1, s1
	v_cmp_gt_i32_e64 s1, v4, v11
	v_cndmask_b32_e64 v6, 0, 1, vcc_lo
	v_cmp_gt_i32_e32 vcc_lo, v4, v8
	v_cndmask_b32_e64 v8, 0, 1, s1
	s_wait_dscnt 0x4
	v_cmp_gt_i32_e64 s1, v4, v13
	v_add_co_ci_u32_e64 v2, null, v2, v6, vcc_lo
	s_delay_alu instid0(VALU_DEP_2) | instskip(SKIP_3) | instid1(VALU_DEP_2)
	v_cndmask_b32_e64 v10, 0, 1, s1
	v_cmp_gt_i32_e64 s1, v4, v12
	s_wait_dscnt 0x2
	v_cmp_gt_i32_e32 vcc_lo, v4, v16
	v_cndmask_b32_e64 v11, 0, 1, s1
	v_cmp_gt_i32_e64 s1, v4, v14
	v_add_co_ci_u32_e64 v2, null, v2, v7, vcc_lo
	s_wait_dscnt 0x1
	v_cmp_gt_i32_e32 vcc_lo, v4, v18
	s_delay_alu instid0(VALU_DEP_3) | instskip(SKIP_4) | instid1(VALU_DEP_3)
	v_cndmask_b32_e64 v12, 0, 1, s1
	v_cmp_gt_i32_e64 s1, v4, v15
	v_add_co_ci_u32_e64 v2, null, v2, v11, vcc_lo
	s_wait_dscnt 0x0
	v_cmp_gt_i32_e32 vcc_lo, v4, v20
	v_cndmask_b32_e64 v13, 0, 1, s1
	v_cmp_gt_i32_e64 s1, v4, v9
	v_add_co_ci_u32_e64 v2, null, v2, v12, vcc_lo
	s_delay_alu instid0(VALU_DEP_2) | instskip(SKIP_1) | instid1(VALU_DEP_1)
	v_add_co_ci_u32_e64 v3, null, v3, v5, s1
	v_cmp_gt_i32_e64 s1, v4, v17
	v_add_co_ci_u32_e64 v3, null, v3, v8, s1
	v_cmp_gt_i32_e64 s1, v4, v19
	s_delay_alu instid0(VALU_DEP_1) | instskip(SKIP_1) | instid1(VALU_DEP_1)
	v_add_co_ci_u32_e64 v3, null, v3, v10, s1
	v_cmp_gt_i32_e64 s1, v4, v21
	v_add_co_ci_u32_e64 v3, null, v3, v13, s1
	s_cbranch_scc1 .LBB16_113
.LBB16_114:                             ;   in Loop: Header=BB16_110 Depth=1
	s_and_not1_b32 vcc_lo, exec_lo, s8
	s_cbranch_vccnz .LBB16_117
; %bb.115:                              ;   in Loop: Header=BB16_110 Depth=1
	s_lshl_b32 s1, s12, 2
	s_mov_b32 s12, s10
	s_add_co_i32 s1, s1, 0
.LBB16_116:                             ;   Parent Loop BB16_110 Depth=1
                                        ; =>  This Inner Loop Header: Depth=2
	s_delay_alu instid0(SALU_CYCLE_1)
	v_mov_b32_e32 v5, s1
	s_add_co_i32 s12, s12, -8
	s_add_co_i32 s1, s1, 8
	s_cmp_lg_u32 s12, 0
	ds_load_2addr_b32 v[6:7], v5 offset1:1
	s_wait_dscnt 0x0
	v_cmp_gt_i32_e32 vcc_lo, v4, v7
	v_add_co_ci_u32_e64 v3, null, 0, v3, vcc_lo
	v_cmp_gt_i32_e32 vcc_lo, v4, v6
	v_add_co_ci_u32_e64 v2, null, 0, v2, vcc_lo
	s_cbranch_scc1 .LBB16_116
.LBB16_117:                             ;   in Loop: Header=BB16_110 Depth=1
	s_delay_alu instid0(VALU_DEP_1)
	v_add_nc_u32_e32 v2, v2, v3
	s_mov_b32 s1, s5
	s_mov_b32 s12, s9
.LBB16_118:                             ;   in Loop: Header=BB16_110 Depth=1
	s_delay_alu instid0(SALU_CYCLE_1)
	s_and_b32 vcc_lo, exec_lo, s12
	s_cbranch_vccz .LBB16_109
; %bb.119:                              ;   in Loop: Header=BB16_110 Depth=1
	s_lshl_b32 s12, s1, 2
	s_delay_alu instid0(SALU_CYCLE_1)
	s_add_co_i32 s12, s12, 0
.LBB16_120:                             ;   Parent Loop BB16_110 Depth=1
                                        ; =>  This Inner Loop Header: Depth=2
	s_delay_alu instid0(SALU_CYCLE_1)
	v_mov_b32_e32 v3, s12
	s_add_co_i32 s1, s1, 1
	s_add_co_i32 s12, s12, 4
	s_cmp_ge_i32 s1, s4
	ds_load_b32 v3, v3
	s_wait_dscnt 0x0
	v_cmp_gt_i32_e32 vcc_lo, v4, v3
	v_add_co_ci_u32_e64 v2, null, 0, v2, vcc_lo
	s_cbranch_scc0 .LBB16_120
	s_branch .LBB16_109
.LBB16_121:
	s_endpgm
	.section	.rodata,"a",@progbits
	.p2align	6, 0x0
	.amdhsa_kernel _ZN9rocsparseL41csrgemm_numeric_fill_block_per_row_kernelILj1024ELj64ELj32768ELj137ELj32EiifEEvT5_PKS1_S3_NS_24const_host_device_scalarIT6_EEPKT4_S3_PKS5_S9_S3_SB_S6_S9_S3_SB_S9_S3_PS5_21rocsparse_index_base_SD_SD_SD_bbb
		.amdhsa_group_segment_fixed_size 0
		.amdhsa_private_segment_fixed_size 0
		.amdhsa_kernarg_size 156
		.amdhsa_user_sgpr_count 2
		.amdhsa_user_sgpr_dispatch_ptr 0
		.amdhsa_user_sgpr_queue_ptr 0
		.amdhsa_user_sgpr_kernarg_segment_ptr 1
		.amdhsa_user_sgpr_dispatch_id 0
		.amdhsa_user_sgpr_kernarg_preload_length 0
		.amdhsa_user_sgpr_kernarg_preload_offset 0
		.amdhsa_user_sgpr_private_segment_size 0
		.amdhsa_wavefront_size32 1
		.amdhsa_uses_dynamic_stack 0
		.amdhsa_enable_private_segment 0
		.amdhsa_system_sgpr_workgroup_id_x 1
		.amdhsa_system_sgpr_workgroup_id_y 0
		.amdhsa_system_sgpr_workgroup_id_z 0
		.amdhsa_system_sgpr_workgroup_info 0
		.amdhsa_system_vgpr_workitem_id 0
		.amdhsa_next_free_vgpr 22
		.amdhsa_next_free_sgpr 74
		.amdhsa_named_barrier_count 0
		.amdhsa_reserve_vcc 1
		.amdhsa_float_round_mode_32 0
		.amdhsa_float_round_mode_16_64 0
		.amdhsa_float_denorm_mode_32 3
		.amdhsa_float_denorm_mode_16_64 3
		.amdhsa_fp16_overflow 0
		.amdhsa_memory_ordered 1
		.amdhsa_forward_progress 1
		.amdhsa_inst_pref_size 37
		.amdhsa_round_robin_scheduling 0
		.amdhsa_exception_fp_ieee_invalid_op 0
		.amdhsa_exception_fp_denorm_src 0
		.amdhsa_exception_fp_ieee_div_zero 0
		.amdhsa_exception_fp_ieee_overflow 0
		.amdhsa_exception_fp_ieee_underflow 0
		.amdhsa_exception_fp_ieee_inexact 0
		.amdhsa_exception_int_div_zero 0
	.end_amdhsa_kernel
	.section	.text._ZN9rocsparseL41csrgemm_numeric_fill_block_per_row_kernelILj1024ELj64ELj32768ELj137ELj32EiifEEvT5_PKS1_S3_NS_24const_host_device_scalarIT6_EEPKT4_S3_PKS5_S9_S3_SB_S6_S9_S3_SB_S9_S3_PS5_21rocsparse_index_base_SD_SD_SD_bbb,"axG",@progbits,_ZN9rocsparseL41csrgemm_numeric_fill_block_per_row_kernelILj1024ELj64ELj32768ELj137ELj32EiifEEvT5_PKS1_S3_NS_24const_host_device_scalarIT6_EEPKT4_S3_PKS5_S9_S3_SB_S6_S9_S3_SB_S9_S3_PS5_21rocsparse_index_base_SD_SD_SD_bbb,comdat
.Lfunc_end16:
	.size	_ZN9rocsparseL41csrgemm_numeric_fill_block_per_row_kernelILj1024ELj64ELj32768ELj137ELj32EiifEEvT5_PKS1_S3_NS_24const_host_device_scalarIT6_EEPKT4_S3_PKS5_S9_S3_SB_S6_S9_S3_SB_S9_S3_PS5_21rocsparse_index_base_SD_SD_SD_bbb, .Lfunc_end16-_ZN9rocsparseL41csrgemm_numeric_fill_block_per_row_kernelILj1024ELj64ELj32768ELj137ELj32EiifEEvT5_PKS1_S3_NS_24const_host_device_scalarIT6_EEPKT4_S3_PKS5_S9_S3_SB_S6_S9_S3_SB_S9_S3_PS5_21rocsparse_index_base_SD_SD_SD_bbb
                                        ; -- End function
	.set _ZN9rocsparseL41csrgemm_numeric_fill_block_per_row_kernelILj1024ELj64ELj32768ELj137ELj32EiifEEvT5_PKS1_S3_NS_24const_host_device_scalarIT6_EEPKT4_S3_PKS5_S9_S3_SB_S6_S9_S3_SB_S9_S3_PS5_21rocsparse_index_base_SD_SD_SD_bbb.num_vgpr, 22
	.set _ZN9rocsparseL41csrgemm_numeric_fill_block_per_row_kernelILj1024ELj64ELj32768ELj137ELj32EiifEEvT5_PKS1_S3_NS_24const_host_device_scalarIT6_EEPKT4_S3_PKS5_S9_S3_SB_S6_S9_S3_SB_S9_S3_PS5_21rocsparse_index_base_SD_SD_SD_bbb.num_agpr, 0
	.set _ZN9rocsparseL41csrgemm_numeric_fill_block_per_row_kernelILj1024ELj64ELj32768ELj137ELj32EiifEEvT5_PKS1_S3_NS_24const_host_device_scalarIT6_EEPKT4_S3_PKS5_S9_S3_SB_S6_S9_S3_SB_S9_S3_PS5_21rocsparse_index_base_SD_SD_SD_bbb.numbered_sgpr, 74
	.set _ZN9rocsparseL41csrgemm_numeric_fill_block_per_row_kernelILj1024ELj64ELj32768ELj137ELj32EiifEEvT5_PKS1_S3_NS_24const_host_device_scalarIT6_EEPKT4_S3_PKS5_S9_S3_SB_S6_S9_S3_SB_S9_S3_PS5_21rocsparse_index_base_SD_SD_SD_bbb.num_named_barrier, 0
	.set _ZN9rocsparseL41csrgemm_numeric_fill_block_per_row_kernelILj1024ELj64ELj32768ELj137ELj32EiifEEvT5_PKS1_S3_NS_24const_host_device_scalarIT6_EEPKT4_S3_PKS5_S9_S3_SB_S6_S9_S3_SB_S9_S3_PS5_21rocsparse_index_base_SD_SD_SD_bbb.private_seg_size, 0
	.set _ZN9rocsparseL41csrgemm_numeric_fill_block_per_row_kernelILj1024ELj64ELj32768ELj137ELj32EiifEEvT5_PKS1_S3_NS_24const_host_device_scalarIT6_EEPKT4_S3_PKS5_S9_S3_SB_S6_S9_S3_SB_S9_S3_PS5_21rocsparse_index_base_SD_SD_SD_bbb.uses_vcc, 1
	.set _ZN9rocsparseL41csrgemm_numeric_fill_block_per_row_kernelILj1024ELj64ELj32768ELj137ELj32EiifEEvT5_PKS1_S3_NS_24const_host_device_scalarIT6_EEPKT4_S3_PKS5_S9_S3_SB_S6_S9_S3_SB_S9_S3_PS5_21rocsparse_index_base_SD_SD_SD_bbb.uses_flat_scratch, 0
	.set _ZN9rocsparseL41csrgemm_numeric_fill_block_per_row_kernelILj1024ELj64ELj32768ELj137ELj32EiifEEvT5_PKS1_S3_NS_24const_host_device_scalarIT6_EEPKT4_S3_PKS5_S9_S3_SB_S6_S9_S3_SB_S9_S3_PS5_21rocsparse_index_base_SD_SD_SD_bbb.has_dyn_sized_stack, 0
	.set _ZN9rocsparseL41csrgemm_numeric_fill_block_per_row_kernelILj1024ELj64ELj32768ELj137ELj32EiifEEvT5_PKS1_S3_NS_24const_host_device_scalarIT6_EEPKT4_S3_PKS5_S9_S3_SB_S6_S9_S3_SB_S9_S3_PS5_21rocsparse_index_base_SD_SD_SD_bbb.has_recursion, 0
	.set _ZN9rocsparseL41csrgemm_numeric_fill_block_per_row_kernelILj1024ELj64ELj32768ELj137ELj32EiifEEvT5_PKS1_S3_NS_24const_host_device_scalarIT6_EEPKT4_S3_PKS5_S9_S3_SB_S6_S9_S3_SB_S9_S3_PS5_21rocsparse_index_base_SD_SD_SD_bbb.has_indirect_call, 0
	.section	.AMDGPU.csdata,"",@progbits
; Kernel info:
; codeLenInByte = 4660
; TotalNumSgprs: 76
; NumVgprs: 22
; ScratchSize: 0
; MemoryBound: 0
; FloatMode: 240
; IeeeMode: 1
; LDSByteSize: 0 bytes/workgroup (compile time only)
; SGPRBlocks: 0
; VGPRBlocks: 1
; NumSGPRsForWavesPerEU: 76
; NumVGPRsForWavesPerEU: 22
; NamedBarCnt: 0
; Occupancy: 16
; WaveLimiterHint : 1
; COMPUTE_PGM_RSRC2:SCRATCH_EN: 0
; COMPUTE_PGM_RSRC2:USER_SGPR: 2
; COMPUTE_PGM_RSRC2:TRAP_HANDLER: 0
; COMPUTE_PGM_RSRC2:TGID_X_EN: 1
; COMPUTE_PGM_RSRC2:TGID_Y_EN: 0
; COMPUTE_PGM_RSRC2:TGID_Z_EN: 0
; COMPUTE_PGM_RSRC2:TIDIG_COMP_CNT: 0
	.section	.text._ZN9rocsparseL41csrgemm_numeric_fill_block_per_row_kernelILj1024ELj64ELj32768ELj137ELj64EiifEEvT5_PKS1_S3_NS_24const_host_device_scalarIT6_EEPKT4_S3_PKS5_S9_S3_SB_S6_S9_S3_SB_S9_S3_PS5_21rocsparse_index_base_SD_SD_SD_bbb,"axG",@progbits,_ZN9rocsparseL41csrgemm_numeric_fill_block_per_row_kernelILj1024ELj64ELj32768ELj137ELj64EiifEEvT5_PKS1_S3_NS_24const_host_device_scalarIT6_EEPKT4_S3_PKS5_S9_S3_SB_S6_S9_S3_SB_S9_S3_PS5_21rocsparse_index_base_SD_SD_SD_bbb,comdat
	.globl	_ZN9rocsparseL41csrgemm_numeric_fill_block_per_row_kernelILj1024ELj64ELj32768ELj137ELj64EiifEEvT5_PKS1_S3_NS_24const_host_device_scalarIT6_EEPKT4_S3_PKS5_S9_S3_SB_S6_S9_S3_SB_S9_S3_PS5_21rocsparse_index_base_SD_SD_SD_bbb ; -- Begin function _ZN9rocsparseL41csrgemm_numeric_fill_block_per_row_kernelILj1024ELj64ELj32768ELj137ELj64EiifEEvT5_PKS1_S3_NS_24const_host_device_scalarIT6_EEPKT4_S3_PKS5_S9_S3_SB_S6_S9_S3_SB_S9_S3_PS5_21rocsparse_index_base_SD_SD_SD_bbb
	.p2align	8
	.type	_ZN9rocsparseL41csrgemm_numeric_fill_block_per_row_kernelILj1024ELj64ELj32768ELj137ELj64EiifEEvT5_PKS1_S3_NS_24const_host_device_scalarIT6_EEPKT4_S3_PKS5_S9_S3_SB_S6_S9_S3_SB_S9_S3_PS5_21rocsparse_index_base_SD_SD_SD_bbb,@function
_ZN9rocsparseL41csrgemm_numeric_fill_block_per_row_kernelILj1024ELj64ELj32768ELj137ELj64EiifEEvT5_PKS1_S3_NS_24const_host_device_scalarIT6_EEPKT4_S3_PKS5_S9_S3_SB_S6_S9_S3_SB_S9_S3_PS5_21rocsparse_index_base_SD_SD_SD_bbb: ; @_ZN9rocsparseL41csrgemm_numeric_fill_block_per_row_kernelILj1024ELj64ELj32768ELj137ELj64EiifEEvT5_PKS1_S3_NS_24const_host_device_scalarIT6_EEPKT4_S3_PKS5_S9_S3_SB_S6_S9_S3_SB_S9_S3_PS5_21rocsparse_index_base_SD_SD_SD_bbb
; %bb.0:
	s_clause 0x3
	s_load_b32 s14, s[0:1], 0x98
	s_load_b64 s[2:3], s[0:1], 0x18
	s_load_b128 s[16:19], s[0:1], 0x88
	s_load_b64 s[12:13], s[0:1], 0x50
	s_wait_kmcnt 0x0
	s_and_b32 s4, 1, s14
	s_bitcmp1_b32 s14, 16
	s_cselect_b32 s15, -1, 0
	s_cmp_eq_u32 s4, 1
	s_cselect_b32 s37, -1, 0
	s_delay_alu instid0(SALU_CYCLE_1) | instskip(SKIP_2) | instid1(SALU_CYCLE_1)
	s_and_b32 s4, s37, exec_lo
	s_cselect_b32 s35, s2, 0
	s_xor_b32 s4, s37, -1
	s_or_b32 s4, s15, s4
	s_delay_alu instid0(SALU_CYCLE_1)
	s_and_b32 vcc_lo, exec_lo, s4
	s_cbranch_vccnz .LBB17_2
; %bb.1:
	s_load_b32 s35, s[2:3], 0x0
.LBB17_2:
	s_clause 0x3
	s_load_b64 s[24:25], s[0:1], 0x80
	s_load_b128 s[4:7], s[0:1], 0x60
	s_load_b128 s[8:11], s[0:1], 0x40
	;; [unrolled: 1-line block ×3, first 2 shown]
	s_wait_xcnt 0x0
	s_load_b64 s[2:3], s[0:1], 0x28
	s_bitcmp1_b32 s14, 8
	s_cselect_b32 s36, -1, 0
	s_delay_alu instid0(SALU_CYCLE_1) | instskip(SKIP_2) | instid1(SALU_CYCLE_1)
	s_and_b32 s14, s36, exec_lo
	s_cselect_b32 s34, s12, 0
	s_xor_b32 s14, s36, -1
	s_or_b32 s14, s15, s14
	s_delay_alu instid0(SALU_CYCLE_1)
	s_and_b32 vcc_lo, exec_lo, s14
	s_cbranch_vccnz .LBB17_4
; %bb.3:
	s_load_b32 s34, s[12:13], 0x0
.LBB17_4:
	s_clause 0x3
	s_load_b32 s33, s[0:1], 0x0
	s_load_b64 s[30:31], s[0:1], 0x20
	s_load_b64 s[26:27], s[0:1], 0x70
	;; [unrolled: 1-line block ×3, first 2 shown]
	s_wait_xcnt 0x0
	s_load_b128 s[12:15], s[0:1], 0x30
	v_lshl_add_u32 v1, v0, 2, 0
	v_or_b32_e32 v4, 0xfffffc00, v0
	v_mov_b32_e32 v2, 0
	s_wait_xcnt 0x0
	s_mov_b32 s0, 0
	s_delay_alu instid0(VALU_DEP_2)
	v_dual_mov_b32 v3, v1 :: v_dual_mov_b32 v6, v4
	s_wait_kmcnt 0x0
	v_mov_b32_e32 v5, s33
.LBB17_5:                               ; =>This Inner Loop Header: Depth=1
	s_delay_alu instid0(VALU_DEP_2) | instskip(NEXT) | instid1(VALU_DEP_3)
	v_add_nc_u32_e32 v6, 0x400, v6
	v_add_nc_u32_e32 v7, 0x20000, v3
	ds_store_b32 v3, v5
	v_add_nc_u32_e32 v3, 0x1000, v3
	v_cmp_lt_u32_e32 vcc_lo, 0x7bff, v6
	ds_store_b32 v7, v2
	s_or_b32 s0, vcc_lo, s0
	s_delay_alu instid0(SALU_CYCLE_1)
	s_and_not1_b32 exec_lo, exec_lo, s0
	s_cbranch_execnz .LBB17_5
; %bb.6:
	s_or_b32 exec_lo, exec_lo, s0
	s_wait_dscnt 0x0
	s_barrier_signal -1
	s_barrier_wait -1
	s_load_b32 s0, s[20:21], 0x0
	s_bfe_u32 s1, ttmp6, 0x4000c
	s_wait_xcnt 0x0
	s_and_b32 s20, ttmp6, 15
	s_add_co_i32 s1, s1, 1
	s_getreg_b32 s21, hwreg(HW_REG_IB_STS2, 6, 4)
	s_mul_i32 s1, ttmp9, s1
	v_lshrrev_b32_e32 v5, 6, v0
	s_add_co_i32 s20, s20, s1
	s_cmp_eq_u32 s21, 0
	s_cselect_b32 s1, ttmp9, s20
	s_and_b32 vcc_lo, exec_lo, s37
	s_wait_kmcnt 0x0
	s_add_co_i32 s0, s0, s1
	s_load_b32 s20, s[22:23], s0 offset:0x0 scale_offset
	s_cbranch_vccz .LBB17_24
; %bb.7:
	s_wait_kmcnt 0x0
	s_ashr_i32 s21, s20, 31
	v_subrev_nc_u32_e32 v2, s16, v5
	s_lshl_b64 s[0:1], s[20:21], 2
	s_delay_alu instid0(SALU_CYCLE_1)
	s_add_nc_u64 s[0:1], s[30:31], s[0:1]
	s_load_b64 s[22:23], s[0:1], 0x0
	s_wait_xcnt 0x0
	s_mov_b32 s1, exec_lo
	s_wait_kmcnt 0x0
	v_add_nc_u32_e32 v2, s22, v2
	s_sub_co_i32 s0, s23, s16
	s_delay_alu instid0(VALU_DEP_1) | instid1(SALU_CYCLE_1)
	v_cmpx_gt_i32_e64 s0, v2
	s_cbranch_execz .LBB17_23
; %bb.8:
	v_and_b32_e32 v3, 63, v0
	s_mov_b32 s21, 0
	s_delay_alu instid0(VALU_DEP_1)
	v_subrev_nc_u32_e32 v6, s17, v3
	s_branch .LBB17_10
.LBB17_9:                               ;   in Loop: Header=BB17_10 Depth=1
	s_or_b32 exec_lo, exec_lo, s22
	v_add_nc_u32_e32 v2, 16, v2
	s_delay_alu instid0(VALU_DEP_1) | instskip(SKIP_1) | instid1(SALU_CYCLE_1)
	v_cmp_le_i32_e32 vcc_lo, s0, v2
	s_or_b32 s21, vcc_lo, s21
	s_and_not1_b32 exec_lo, exec_lo, s21
	s_cbranch_execz .LBB17_23
.LBB17_10:                              ; =>This Loop Header: Depth=1
                                        ;     Child Loop BB17_14 Depth 2
                                        ;       Child Loop BB17_17 Depth 3
	global_load_b32 v3, v2, s[2:3] scale_offset
	s_mov_b32 s22, exec_lo
	s_wait_loadcnt 0x0
	v_subrev_nc_u32_e32 v8, s16, v3
	s_delay_alu instid0(VALU_DEP_1) | instskip(NEXT) | instid1(VALU_DEP_1)
	v_ashrrev_i32_e32 v9, 31, v8
	v_lshl_add_u64 v[8:9], v[8:9], 2, s[14:15]
	global_load_b64 v[8:9], v[8:9], off
	s_wait_loadcnt 0x0
	v_subrev_nc_u32_e32 v7, s17, v9
	s_wait_xcnt 0x0
	v_add_nc_u32_e32 v8, v8, v6
	s_delay_alu instid0(VALU_DEP_1)
	v_cmpx_lt_i32_e64 v8, v7
	s_cbranch_execz .LBB17_9
; %bb.11:                               ;   in Loop: Header=BB17_10 Depth=1
	v_ashrrev_i32_e32 v3, 31, v2
	s_mov_b32 s23, 0
	s_delay_alu instid0(VALU_DEP_1)
	v_lshl_add_u64 v[10:11], v[2:3], 2, s[12:13]
	global_load_b32 v3, v[10:11], off
	s_wait_loadcnt 0x0
	v_mul_f32_e32 v3, s35, v3
	s_branch .LBB17_14
.LBB17_12:                              ;   in Loop: Header=BB17_14 Depth=2
	s_or_b32 exec_lo, exec_lo, s31
.LBB17_13:                              ;   in Loop: Header=BB17_14 Depth=2
	s_delay_alu instid0(SALU_CYCLE_1) | instskip(SKIP_3) | instid1(VALU_DEP_2)
	s_or_b32 exec_lo, exec_lo, s30
	s_wait_loadcnt 0x0
	v_dual_mul_f32 v9, v3, v9 :: v_dual_lshlrev_b32 v10, 2, v10
	v_add_nc_u32_e32 v8, 64, v8
	v_add3_u32 v10, 0, v10, 0x20000
	s_delay_alu instid0(VALU_DEP_2) | instskip(SKIP_2) | instid1(SALU_CYCLE_1)
	v_cmp_ge_i32_e32 vcc_lo, v8, v7
	ds_add_f32 v10, v9
	s_or_b32 s23, vcc_lo, s23
	s_and_not1_b32 exec_lo, exec_lo, s23
	s_cbranch_execz .LBB17_9
.LBB17_14:                              ;   Parent Loop BB17_10 Depth=1
                                        ; =>  This Loop Header: Depth=2
                                        ;       Child Loop BB17_17 Depth 3
	s_clause 0x1
	global_load_b32 v10, v8, s[8:9] scale_offset
	global_load_b32 v9, v8, s[10:11] scale_offset
	s_mov_b32 s30, exec_lo
	s_wait_loadcnt 0x1
	v_subrev_nc_u32_e32 v11, s17, v10
	s_delay_alu instid0(VALU_DEP_1) | instskip(NEXT) | instid1(VALU_DEP_1)
	v_mul_lo_u32 v10, 0x89, v11
	v_and_b32_e32 v10, 0x7fff, v10
	s_delay_alu instid0(VALU_DEP_1)
	v_lshl_add_u32 v12, v10, 2, 0
	ds_load_b32 v13, v12
	s_wait_dscnt 0x0
	s_wait_xcnt 0x0
	v_cmpx_ne_u32_e64 v13, v11
	s_cbranch_execz .LBB17_13
; %bb.15:                               ;   in Loop: Header=BB17_14 Depth=2
	s_mov_b32 s31, 0
	s_branch .LBB17_17
.LBB17_16:                              ;   in Loop: Header=BB17_17 Depth=3
	s_or_b32 exec_lo, exec_lo, s39
	s_delay_alu instid0(SALU_CYCLE_1) | instskip(NEXT) | instid1(SALU_CYCLE_1)
	s_and_b32 s37, exec_lo, s38
	s_or_b32 s31, s37, s31
	s_delay_alu instid0(SALU_CYCLE_1)
	s_and_not1_b32 exec_lo, exec_lo, s31
	s_cbranch_execz .LBB17_12
.LBB17_17:                              ;   Parent Loop BB17_10 Depth=1
                                        ;     Parent Loop BB17_14 Depth=2
                                        ; =>    This Inner Loop Header: Depth=3
	s_mov_b32 s37, 0
	s_mov_b32 s38, exec_lo
	v_cmpx_ne_u32_e64 s33, v13
	s_xor_b32 s38, exec_lo, s38
	s_cbranch_execz .LBB17_19
; %bb.18:                               ;   in Loop: Header=BB17_17 Depth=3
	v_add_nc_u32_e32 v10, 1, v10
	s_mov_b32 s37, exec_lo
                                        ; implicit-def: $vgpr12
	s_delay_alu instid0(VALU_DEP_1)
	v_and_b32_e32 v10, 0x7fff, v10
	s_and_not1_saveexec_b32 s38, s38
	s_cbranch_execz .LBB17_21
	s_branch .LBB17_20
.LBB17_19:                              ;   in Loop: Header=BB17_17 Depth=3
	s_and_not1_saveexec_b32 s38, s38
	s_cbranch_execz .LBB17_21
.LBB17_20:                              ;   in Loop: Header=BB17_17 Depth=3
	v_mov_b32_e32 v13, s33
	s_and_not1_b32 s37, s37, exec_lo
	ds_cmpstore_rtn_b32 v12, v12, v11, v13
	s_wait_dscnt 0x0
	v_cmp_ne_u32_e32 vcc_lo, s33, v12
	s_and_b32 s39, vcc_lo, exec_lo
	s_delay_alu instid0(SALU_CYCLE_1)
	s_or_b32 s37, s37, s39
.LBB17_21:                              ;   in Loop: Header=BB17_17 Depth=3
	s_or_b32 exec_lo, exec_lo, s38
	s_mov_b32 s38, -1
                                        ; implicit-def: $vgpr12
                                        ; implicit-def: $vgpr13
	s_and_saveexec_b32 s39, s37
	s_cbranch_execz .LBB17_16
; %bb.22:                               ;   in Loop: Header=BB17_17 Depth=3
	v_lshl_add_u32 v12, v10, 2, 0
	ds_load_b32 v13, v12
	s_wait_dscnt 0x0
	v_cmp_eq_u32_e32 vcc_lo, v13, v11
	s_or_not1_b32 s38, vcc_lo, exec_lo
	s_branch .LBB17_16
.LBB17_23:
	s_or_b32 exec_lo, exec_lo, s1
.LBB17_24:
	s_delay_alu instid0(SALU_CYCLE_1)
	s_and_not1_b32 vcc_lo, exec_lo, s36
	s_cbranch_vccnz .LBB17_39
; %bb.25:
	s_wait_kmcnt 0x0
	s_ashr_i32 s21, s20, 31
	v_subrev_nc_u32_e32 v2, s19, v0
	s_lshl_b64 s[0:1], s[20:21], 2
	s_delay_alu instid0(SALU_CYCLE_1)
	s_add_nc_u64 s[0:1], s[28:29], s[0:1]
	s_load_b64 s[2:3], s[0:1], 0x0
	s_wait_xcnt 0x0
	s_mov_b32 s1, exec_lo
	s_wait_kmcnt 0x0
	v_add_nc_u32_e32 v2, s2, v2
	s_sub_co_i32 s0, s3, s19
	s_delay_alu instid0(VALU_DEP_1) | instid1(SALU_CYCLE_1)
	v_cmpx_gt_i32_e64 s0, v2
	s_cbranch_execz .LBB17_38
; %bb.26:
	s_mov_b32 s2, 0
	s_branch .LBB17_29
.LBB17_27:                              ;   in Loop: Header=BB17_29 Depth=1
	s_or_b32 exec_lo, exec_lo, s8
.LBB17_28:                              ;   in Loop: Header=BB17_29 Depth=1
	s_delay_alu instid0(SALU_CYCLE_1) | instskip(SKIP_3) | instid1(VALU_DEP_2)
	s_or_b32 exec_lo, exec_lo, s3
	s_wait_loadcnt 0x0
	v_dual_mul_f32 v3, s34, v3 :: v_dual_lshlrev_b32 v6, 2, v6
	v_add_nc_u32_e32 v2, 0x400, v2
	v_add3_u32 v6, 0, v6, 0x20000
	s_delay_alu instid0(VALU_DEP_2) | instskip(SKIP_2) | instid1(SALU_CYCLE_1)
	v_cmp_le_i32_e32 vcc_lo, s0, v2
	ds_add_f32 v6, v3
	s_or_b32 s2, vcc_lo, s2
	s_and_not1_b32 exec_lo, exec_lo, s2
	s_cbranch_execz .LBB17_38
.LBB17_29:                              ; =>This Loop Header: Depth=1
                                        ;     Child Loop BB17_32 Depth 2
	s_clause 0x1
	global_load_b32 v6, v2, s[4:5] scale_offset
	global_load_b32 v3, v2, s[6:7] scale_offset
	s_mov_b32 s3, exec_lo
	s_wait_loadcnt 0x1
	v_subrev_nc_u32_e32 v7, s19, v6
	s_delay_alu instid0(VALU_DEP_1) | instskip(NEXT) | instid1(VALU_DEP_1)
	v_mul_lo_u32 v6, 0x89, v7
	v_and_b32_e32 v6, 0x7fff, v6
	s_delay_alu instid0(VALU_DEP_1)
	v_lshl_add_u32 v8, v6, 2, 0
	ds_load_b32 v9, v8
	s_wait_dscnt 0x0
	s_wait_xcnt 0x0
	v_cmpx_ne_u32_e64 v9, v7
	s_cbranch_execz .LBB17_28
; %bb.30:                               ;   in Loop: Header=BB17_29 Depth=1
	s_mov_b32 s8, 0
	s_branch .LBB17_32
.LBB17_31:                              ;   in Loop: Header=BB17_32 Depth=2
	s_or_b32 exec_lo, exec_lo, s11
	s_delay_alu instid0(SALU_CYCLE_1) | instskip(NEXT) | instid1(SALU_CYCLE_1)
	s_and_b32 s9, exec_lo, s10
	s_or_b32 s8, s9, s8
	s_delay_alu instid0(SALU_CYCLE_1)
	s_and_not1_b32 exec_lo, exec_lo, s8
	s_cbranch_execz .LBB17_27
.LBB17_32:                              ;   Parent Loop BB17_29 Depth=1
                                        ; =>  This Inner Loop Header: Depth=2
	s_mov_b32 s9, 0
	s_mov_b32 s10, exec_lo
	v_cmpx_ne_u32_e64 s33, v9
	s_xor_b32 s10, exec_lo, s10
	s_cbranch_execz .LBB17_34
; %bb.33:                               ;   in Loop: Header=BB17_32 Depth=2
	v_add_nc_u32_e32 v6, 1, v6
	s_mov_b32 s9, exec_lo
                                        ; implicit-def: $vgpr8
	s_delay_alu instid0(VALU_DEP_1)
	v_and_b32_e32 v6, 0x7fff, v6
	s_and_not1_saveexec_b32 s10, s10
	s_cbranch_execz .LBB17_36
	s_branch .LBB17_35
.LBB17_34:                              ;   in Loop: Header=BB17_32 Depth=2
	s_and_not1_saveexec_b32 s10, s10
	s_cbranch_execz .LBB17_36
.LBB17_35:                              ;   in Loop: Header=BB17_32 Depth=2
	v_mov_b32_e32 v9, s33
	s_and_not1_b32 s9, s9, exec_lo
	ds_cmpstore_rtn_b32 v8, v8, v7, v9
	s_wait_dscnt 0x0
	v_cmp_ne_u32_e32 vcc_lo, s33, v8
	s_and_b32 s11, vcc_lo, exec_lo
	s_delay_alu instid0(SALU_CYCLE_1)
	s_or_b32 s9, s9, s11
.LBB17_36:                              ;   in Loop: Header=BB17_32 Depth=2
	s_or_b32 exec_lo, exec_lo, s10
	s_mov_b32 s10, -1
                                        ; implicit-def: $vgpr8
                                        ; implicit-def: $vgpr9
	s_and_saveexec_b32 s11, s9
	s_cbranch_execz .LBB17_31
; %bb.37:                               ;   in Loop: Header=BB17_32 Depth=2
	v_lshl_add_u32 v8, v6, 2, 0
	ds_load_b32 v9, v8
	s_wait_dscnt 0x0
	v_cmp_eq_u32_e32 vcc_lo, v9, v7
	s_or_not1_b32 s10, vcc_lo, exec_lo
	s_branch .LBB17_31
.LBB17_38:
	s_or_b32 exec_lo, exec_lo, s1
.LBB17_39:
	v_mbcnt_lo_u32_b32 v2, -1, 0
	v_lshlrev_b32_e32 v5, 2, v5
	s_add_co_i32 s36, 0, 0x4003c
	s_delay_alu instid0(SALU_CYCLE_1) | instskip(NEXT) | instid1(VALU_DEP_3)
	v_dual_mov_b32 v3, 0 :: v_dual_mov_b32 v6, s36
	v_xor_b32_e32 v2, 31, v2
	s_delay_alu instid0(VALU_DEP_3)
	v_add3_u32 v5, 0x40000, 0, v5
	s_wait_xcnt 0x0
	v_cmp_lt_u32_e64 s0, 63, v0
	v_cmp_lt_u32_e64 s1, 0x7f, v0
	;; [unrolled: 1-line block ×3, first 2 shown]
	v_lshrrev_b32_e64 v2, v2, -1
	v_cmp_lt_u32_e64 s3, 0xff, v0
	v_cmp_lt_u32_e64 s4, 0x13f, v0
	;; [unrolled: 1-line block ×12, first 2 shown]
	s_mov_b32 s16, 0
	s_add_co_i32 s17, 0, 0x40000
	s_add_co_i32 s19, 0, 0x40004
	;; [unrolled: 1-line block ×15, first 2 shown]
	s_wait_dscnt 0x0
	s_barrier_signal -1
	s_barrier_wait -1
	v_cmp_eq_u32_e32 vcc_lo, 0x3ff, v0
	s_branch .LBB17_41
.LBB17_40:                              ;   in Loop: Header=BB17_41 Depth=1
	s_or_b32 exec_lo, exec_lo, s15
	s_wait_dscnt 0x0
	s_barrier_signal -1
	s_barrier_wait -1
	ds_load_b32 v7, v6
	v_add_nc_u32_e32 v4, 0x400, v4
	v_add_nc_u32_e32 v1, 0x1000, v1
	s_delay_alu instid0(VALU_DEP_2)
	v_cmp_lt_u32_e64 s15, 0x7bff, v4
	s_or_b32 s16, s15, s16
	s_wait_dscnt 0x0
	v_add_nc_u32_e32 v3, v7, v3
	s_and_not1_b32 exec_lo, exec_lo, s16
	s_cbranch_execz .LBB17_75
.LBB17_41:                              ; =>This Inner Loop Header: Depth=1
	ds_load_b32 v7, v1
	v_add_nc_u32_e32 v8, 0x20000, v1
	ds_load_b32 v8, v8
	s_wait_dscnt 0x0
	s_barrier_signal -1
	s_barrier_wait -1
	v_cmp_gt_i32_e64 s15, s33, v7
	s_bcnt1_i32_b32 s41, s15
	s_delay_alu instid0(SALU_CYCLE_1) | instskip(NEXT) | instid1(VALU_DEP_1)
	v_dual_mov_b32 v10, s41 :: v_dual_bitop2_b32 v9, s15, v2 bitop3:0x40
	v_bcnt_u32_b32 v9, v9, 0
	ds_store_b32 v5, v10
	s_wait_dscnt 0x0
	s_barrier_signal -1
	s_barrier_wait -1
	s_and_saveexec_b32 s41, s0
	s_cbranch_execz .LBB17_58
; %bb.42:                               ;   in Loop: Header=BB17_41 Depth=1
	v_mov_b32_e32 v10, s17
	ds_load_b32 v10, v10
	s_wait_dscnt 0x0
	v_add_nc_u32_e32 v9, v10, v9
	s_or_b32 exec_lo, exec_lo, s41
	s_and_saveexec_b32 s41, s1
	s_cbranch_execnz .LBB17_59
.LBB17_43:                              ;   in Loop: Header=BB17_41 Depth=1
	s_or_b32 exec_lo, exec_lo, s41
	s_and_saveexec_b32 s41, s2
	s_cbranch_execz .LBB17_60
.LBB17_44:                              ;   in Loop: Header=BB17_41 Depth=1
	v_mov_b32_e32 v10, s21
	ds_load_b32 v10, v10
	s_wait_dscnt 0x0
	v_add_nc_u32_e32 v9, v10, v9
	s_or_b32 exec_lo, exec_lo, s41
	s_and_saveexec_b32 s41, s3
	s_cbranch_execnz .LBB17_61
.LBB17_45:                              ;   in Loop: Header=BB17_41 Depth=1
	s_or_b32 exec_lo, exec_lo, s41
	s_and_saveexec_b32 s41, s4
	s_cbranch_execz .LBB17_62
.LBB17_46:                              ;   in Loop: Header=BB17_41 Depth=1
	v_mov_b32_e32 v10, s23
	ds_load_b32 v10, v10
	s_wait_dscnt 0x0
	v_add_nc_u32_e32 v9, v10, v9
	s_or_b32 exec_lo, exec_lo, s41
	s_and_saveexec_b32 s41, s5
	s_cbranch_execnz .LBB17_63
.LBB17_47:                              ;   in Loop: Header=BB17_41 Depth=1
	s_or_b32 exec_lo, exec_lo, s41
	s_and_saveexec_b32 s41, s6
	s_cbranch_execz .LBB17_64
.LBB17_48:                              ;   in Loop: Header=BB17_41 Depth=1
	v_mov_b32_e32 v10, s29
	ds_load_b32 v10, v10
	s_wait_dscnt 0x0
	v_add_nc_u32_e32 v9, v10, v9
	s_or_b32 exec_lo, exec_lo, s41
	s_and_saveexec_b32 s41, s7
	s_cbranch_execnz .LBB17_65
.LBB17_49:                              ;   in Loop: Header=BB17_41 Depth=1
	s_or_b32 exec_lo, exec_lo, s41
	s_and_saveexec_b32 s41, s8
	s_cbranch_execz .LBB17_66
.LBB17_50:                              ;   in Loop: Header=BB17_41 Depth=1
	v_mov_b32_e32 v10, s31
	ds_load_b32 v10, v10
	s_wait_dscnt 0x0
	v_add_nc_u32_e32 v9, v10, v9
	s_or_b32 exec_lo, exec_lo, s41
	s_and_saveexec_b32 s41, s9
	s_cbranch_execnz .LBB17_67
.LBB17_51:                              ;   in Loop: Header=BB17_41 Depth=1
	s_or_b32 exec_lo, exec_lo, s41
	s_and_saveexec_b32 s41, s10
	s_cbranch_execz .LBB17_68
.LBB17_52:                              ;   in Loop: Header=BB17_41 Depth=1
	v_mov_b32_e32 v10, s35
	ds_load_b32 v10, v10
	s_wait_dscnt 0x0
	v_add_nc_u32_e32 v9, v10, v9
	s_or_b32 exec_lo, exec_lo, s41
	s_and_saveexec_b32 s41, s11
	s_cbranch_execnz .LBB17_69
.LBB17_53:                              ;   in Loop: Header=BB17_41 Depth=1
	s_or_b32 exec_lo, exec_lo, s41
	s_and_saveexec_b32 s41, s12
	s_cbranch_execz .LBB17_70
.LBB17_54:                              ;   in Loop: Header=BB17_41 Depth=1
	v_mov_b32_e32 v10, s38
	ds_load_b32 v10, v10
	s_wait_dscnt 0x0
	v_add_nc_u32_e32 v9, v10, v9
	s_or_b32 exec_lo, exec_lo, s41
	s_and_saveexec_b32 s41, s13
	s_cbranch_execnz .LBB17_71
.LBB17_55:                              ;   in Loop: Header=BB17_41 Depth=1
	s_or_b32 exec_lo, exec_lo, s41
	s_and_saveexec_b32 s41, s14
	s_cbranch_execz .LBB17_72
.LBB17_56:                              ;   in Loop: Header=BB17_41 Depth=1
	v_mov_b32_e32 v10, s40
	ds_load_b32 v10, v10
	s_wait_dscnt 0x0
	v_add_nc_u32_e32 v9, v10, v9
	s_or_b32 exec_lo, exec_lo, s41
	s_and_saveexec_b32 s41, s15
	s_cbranch_execnz .LBB17_73
.LBB17_57:                              ;   in Loop: Header=BB17_41 Depth=1
	s_or_b32 exec_lo, exec_lo, s41
	s_and_saveexec_b32 s15, vcc_lo
	s_cbranch_execz .LBB17_40
	s_branch .LBB17_74
.LBB17_58:                              ;   in Loop: Header=BB17_41 Depth=1
	s_or_b32 exec_lo, exec_lo, s41
	s_and_saveexec_b32 s41, s1
	s_cbranch_execz .LBB17_43
.LBB17_59:                              ;   in Loop: Header=BB17_41 Depth=1
	v_mov_b32_e32 v10, s19
	ds_load_b32 v10, v10
	s_wait_dscnt 0x0
	v_add_nc_u32_e32 v9, v10, v9
	s_or_b32 exec_lo, exec_lo, s41
	s_and_saveexec_b32 s41, s2
	s_cbranch_execnz .LBB17_44
.LBB17_60:                              ;   in Loop: Header=BB17_41 Depth=1
	s_or_b32 exec_lo, exec_lo, s41
	s_and_saveexec_b32 s41, s3
	s_cbranch_execz .LBB17_45
.LBB17_61:                              ;   in Loop: Header=BB17_41 Depth=1
	v_mov_b32_e32 v10, s22
	ds_load_b32 v10, v10
	s_wait_dscnt 0x0
	v_add_nc_u32_e32 v9, v10, v9
	s_or_b32 exec_lo, exec_lo, s41
	s_and_saveexec_b32 s41, s4
	s_cbranch_execnz .LBB17_46
.LBB17_62:                              ;   in Loop: Header=BB17_41 Depth=1
	s_or_b32 exec_lo, exec_lo, s41
	s_and_saveexec_b32 s41, s5
	s_cbranch_execz .LBB17_47
.LBB17_63:                              ;   in Loop: Header=BB17_41 Depth=1
	v_mov_b32_e32 v10, s28
	ds_load_b32 v10, v10
	s_wait_dscnt 0x0
	v_add_nc_u32_e32 v9, v10, v9
	s_or_b32 exec_lo, exec_lo, s41
	s_and_saveexec_b32 s41, s6
	s_cbranch_execnz .LBB17_48
.LBB17_64:                              ;   in Loop: Header=BB17_41 Depth=1
	s_or_b32 exec_lo, exec_lo, s41
	s_and_saveexec_b32 s41, s7
	s_cbranch_execz .LBB17_49
.LBB17_65:                              ;   in Loop: Header=BB17_41 Depth=1
	v_mov_b32_e32 v10, s30
	ds_load_b32 v10, v10
	s_wait_dscnt 0x0
	v_add_nc_u32_e32 v9, v10, v9
	s_or_b32 exec_lo, exec_lo, s41
	s_and_saveexec_b32 s41, s8
	s_cbranch_execnz .LBB17_50
.LBB17_66:                              ;   in Loop: Header=BB17_41 Depth=1
	s_or_b32 exec_lo, exec_lo, s41
	s_and_saveexec_b32 s41, s9
	s_cbranch_execz .LBB17_51
.LBB17_67:                              ;   in Loop: Header=BB17_41 Depth=1
	v_mov_b32_e32 v10, s34
	ds_load_b32 v10, v10
	s_wait_dscnt 0x0
	v_add_nc_u32_e32 v9, v10, v9
	s_or_b32 exec_lo, exec_lo, s41
	s_and_saveexec_b32 s41, s10
	s_cbranch_execnz .LBB17_52
.LBB17_68:                              ;   in Loop: Header=BB17_41 Depth=1
	s_or_b32 exec_lo, exec_lo, s41
	s_and_saveexec_b32 s41, s11
	s_cbranch_execz .LBB17_53
.LBB17_69:                              ;   in Loop: Header=BB17_41 Depth=1
	v_mov_b32_e32 v10, s37
	ds_load_b32 v10, v10
	s_wait_dscnt 0x0
	v_add_nc_u32_e32 v9, v10, v9
	s_or_b32 exec_lo, exec_lo, s41
	s_and_saveexec_b32 s41, s12
	s_cbranch_execnz .LBB17_54
.LBB17_70:                              ;   in Loop: Header=BB17_41 Depth=1
	s_or_b32 exec_lo, exec_lo, s41
	s_and_saveexec_b32 s41, s13
	s_cbranch_execz .LBB17_55
.LBB17_71:                              ;   in Loop: Header=BB17_41 Depth=1
	v_mov_b32_e32 v10, s39
	ds_load_b32 v10, v10
	s_wait_dscnt 0x0
	v_add_nc_u32_e32 v9, v10, v9
	s_or_b32 exec_lo, exec_lo, s41
	s_and_saveexec_b32 s41, s14
	s_cbranch_execnz .LBB17_56
.LBB17_72:                              ;   in Loop: Header=BB17_41 Depth=1
	s_or_b32 exec_lo, exec_lo, s41
	s_and_saveexec_b32 s41, s15
	s_cbranch_execz .LBB17_57
.LBB17_73:                              ;   in Loop: Header=BB17_41 Depth=1
	s_delay_alu instid0(VALU_DEP_1) | instskip(NEXT) | instid1(VALU_DEP_1)
	v_add3_u32 v10, v3, -1, v9
	v_lshl_add_u32 v10, v10, 2, 0
	s_delay_alu instid0(VALU_DEP_1)
	v_add_nc_u32_e32 v11, 0x20000, v10
	ds_store_b32 v10, v7
	ds_store_b32 v11, v8
	s_or_b32 exec_lo, exec_lo, s41
	s_and_saveexec_b32 s15, vcc_lo
	s_cbranch_execz .LBB17_40
.LBB17_74:                              ;   in Loop: Header=BB17_41 Depth=1
	v_mov_b32_e32 v7, s36
	ds_store_b32 v7, v9
	s_branch .LBB17_40
.LBB17_75:
	s_or_b32 exec_lo, exec_lo, s16
	s_wait_kmcnt 0x0
	s_ashr_i32 s21, s20, 31
	s_delay_alu instid0(SALU_CYCLE_1) | instskip(NEXT) | instid1(SALU_CYCLE_1)
	s_lshl_b64 s[0:1], s[20:21], 2
	s_add_nc_u64 s[2:3], s[26:27], s[0:1]
	s_load_b64 s[0:1], s[2:3], 0x0
	s_wait_kmcnt 0x0
	s_sub_co_i32 s4, s1, s0
	s_mov_b32 s1, exec_lo
	v_cmpx_gt_i32_e64 s4, v0
	s_cbranch_execz .LBB17_89
; %bb.76:
	v_sub_co_u32 v1, s1, s4, 2
	s_sub_co_i32 s2, s0, s18
	s_xor_b32 s6, s1, -1
	s_and_b32 s5, s4, -2
	v_readfirstlane_b32 s3, v1
	s_lshr_b32 s0, s3, 1
	s_mov_b32 s3, 0
	s_add_co_i32 s0, s0, 1
	s_mov_b32 s11, s3
	s_and_b32 s1, s0, 7
	s_and_b32 s7, s0, -8
	s_cmp_lg_u32 s1, 0
	v_cmp_lt_u32_e64 s0, 13, v1
	s_cselect_b32 s8, -1, 0
	s_cmp_lg_u32 s4, s5
	s_cselect_b32 s9, -1, 0
	s_lshl_b32 s10, s1, 3
	s_branch .LBB17_78
.LBB17_77:                              ;   in Loop: Header=BB17_78 Depth=1
	v_add_nc_u32_e32 v0, 0x400, v0
	s_wait_dscnt 0x0
	global_store_b32 v2, v1, s[24:25] scale_offset
	v_cmp_le_i32_e32 vcc_lo, s4, v0
	s_or_b32 s11, vcc_lo, s11
	s_wait_xcnt 0x0
	s_and_not1_b32 exec_lo, exec_lo, s11
	s_cbranch_execz .LBB17_89
.LBB17_78:                              ; =>This Loop Header: Depth=1
                                        ;     Child Loop BB17_81 Depth 2
                                        ;     Child Loop BB17_84 Depth 2
	;; [unrolled: 1-line block ×3, first 2 shown]
	v_lshl_add_u32 v1, v0, 2, 0
	s_and_not1_b32 vcc_lo, exec_lo, s6
	s_mov_b32 s1, 0
	s_mov_b32 s12, -1
	s_delay_alu instid0(VALU_DEP_1)
	v_add_nc_u32_e32 v2, 0x20000, v1
	ds_load_b32 v4, v1
	ds_load_b32 v1, v2
	v_mov_b32_e32 v2, s2
	s_cbranch_vccnz .LBB17_86
; %bb.79:                               ;   in Loop: Header=BB17_78 Depth=1
	v_mov_b64_e32 v[2:3], s[2:3]
	s_and_not1_b32 vcc_lo, exec_lo, s0
	s_mov_b32 s12, 0
	s_cbranch_vccnz .LBB17_82
; %bb.80:                               ;   in Loop: Header=BB17_78 Depth=1
	v_dual_mov_b32 v2, s2 :: v_dual_mov_b32 v3, 0
	s_mov_b32 s13, 0
	s_mov_b32 s14, s7
.LBB17_81:                              ;   Parent Loop BB17_78 Depth=1
                                        ; =>  This Inner Loop Header: Depth=2
	v_mov_b32_e32 v5, s13
	s_add_co_i32 s14, s14, -8
	s_add_co_i32 s12, s12, 16
	s_add_co_i32 s13, s13, 64
	s_cmp_lg_u32 s14, 0
	ds_load_2addr_b32 v[6:7], v5 offset1:1
	ds_load_2addr_b32 v[8:9], v5 offset0:2 offset1:3
	ds_load_2addr_b32 v[10:11], v5 offset0:4 offset1:5
	;; [unrolled: 1-line block ×7, first 2 shown]
	s_wait_dscnt 0x7
	v_cmp_gt_i32_e32 vcc_lo, v4, v7
	s_wait_dscnt 0x5
	v_cmp_gt_i32_e64 s1, v4, v10
	v_cndmask_b32_e64 v5, 0, 1, vcc_lo
	v_cmp_gt_i32_e32 vcc_lo, v4, v6
	s_delay_alu instid0(VALU_DEP_3) | instskip(SKIP_3) | instid1(VALU_DEP_3)
	v_cndmask_b32_e64 v7, 0, 1, s1
	v_cmp_gt_i32_e64 s1, v4, v11
	v_cndmask_b32_e64 v6, 0, 1, vcc_lo
	v_cmp_gt_i32_e32 vcc_lo, v4, v8
	v_cndmask_b32_e64 v8, 0, 1, s1
	s_wait_dscnt 0x4
	v_cmp_gt_i32_e64 s1, v4, v13
	v_add_co_ci_u32_e64 v2, null, v2, v6, vcc_lo
	s_delay_alu instid0(VALU_DEP_2) | instskip(SKIP_3) | instid1(VALU_DEP_2)
	v_cndmask_b32_e64 v10, 0, 1, s1
	v_cmp_gt_i32_e64 s1, v4, v12
	s_wait_dscnt 0x2
	v_cmp_gt_i32_e32 vcc_lo, v4, v16
	v_cndmask_b32_e64 v11, 0, 1, s1
	v_cmp_gt_i32_e64 s1, v4, v14
	v_add_co_ci_u32_e64 v2, null, v2, v7, vcc_lo
	s_wait_dscnt 0x1
	v_cmp_gt_i32_e32 vcc_lo, v4, v18
	s_delay_alu instid0(VALU_DEP_3) | instskip(SKIP_4) | instid1(VALU_DEP_3)
	v_cndmask_b32_e64 v12, 0, 1, s1
	v_cmp_gt_i32_e64 s1, v4, v15
	v_add_co_ci_u32_e64 v2, null, v2, v11, vcc_lo
	s_wait_dscnt 0x0
	v_cmp_gt_i32_e32 vcc_lo, v4, v20
	v_cndmask_b32_e64 v13, 0, 1, s1
	v_cmp_gt_i32_e64 s1, v4, v9
	v_add_co_ci_u32_e64 v2, null, v2, v12, vcc_lo
	s_delay_alu instid0(VALU_DEP_2) | instskip(SKIP_1) | instid1(VALU_DEP_1)
	v_add_co_ci_u32_e64 v3, null, v3, v5, s1
	v_cmp_gt_i32_e64 s1, v4, v17
	v_add_co_ci_u32_e64 v3, null, v3, v8, s1
	v_cmp_gt_i32_e64 s1, v4, v19
	s_delay_alu instid0(VALU_DEP_1) | instskip(SKIP_1) | instid1(VALU_DEP_1)
	v_add_co_ci_u32_e64 v3, null, v3, v10, s1
	v_cmp_gt_i32_e64 s1, v4, v21
	v_add_co_ci_u32_e64 v3, null, v3, v13, s1
	s_cbranch_scc1 .LBB17_81
.LBB17_82:                              ;   in Loop: Header=BB17_78 Depth=1
	s_and_not1_b32 vcc_lo, exec_lo, s8
	s_cbranch_vccnz .LBB17_85
; %bb.83:                               ;   in Loop: Header=BB17_78 Depth=1
	s_lshl_b32 s1, s12, 2
	s_mov_b32 s12, s10
	s_add_co_i32 s1, s1, 0
.LBB17_84:                              ;   Parent Loop BB17_78 Depth=1
                                        ; =>  This Inner Loop Header: Depth=2
	s_delay_alu instid0(SALU_CYCLE_1)
	v_mov_b32_e32 v5, s1
	s_add_co_i32 s12, s12, -8
	s_add_co_i32 s1, s1, 8
	s_cmp_lg_u32 s12, 0
	ds_load_2addr_b32 v[6:7], v5 offset1:1
	s_wait_dscnt 0x0
	v_cmp_gt_i32_e32 vcc_lo, v4, v7
	v_add_co_ci_u32_e64 v3, null, 0, v3, vcc_lo
	v_cmp_gt_i32_e32 vcc_lo, v4, v6
	v_add_co_ci_u32_e64 v2, null, 0, v2, vcc_lo
	s_cbranch_scc1 .LBB17_84
.LBB17_85:                              ;   in Loop: Header=BB17_78 Depth=1
	s_delay_alu instid0(VALU_DEP_1)
	v_add_nc_u32_e32 v2, v2, v3
	s_mov_b32 s1, s5
	s_mov_b32 s12, s9
.LBB17_86:                              ;   in Loop: Header=BB17_78 Depth=1
	s_delay_alu instid0(SALU_CYCLE_1)
	s_and_b32 vcc_lo, exec_lo, s12
	s_cbranch_vccz .LBB17_77
; %bb.87:                               ;   in Loop: Header=BB17_78 Depth=1
	s_lshl_b32 s12, s1, 2
	s_delay_alu instid0(SALU_CYCLE_1)
	s_add_co_i32 s12, s12, 0
.LBB17_88:                              ;   Parent Loop BB17_78 Depth=1
                                        ; =>  This Inner Loop Header: Depth=2
	s_delay_alu instid0(SALU_CYCLE_1)
	v_mov_b32_e32 v3, s12
	s_add_co_i32 s1, s1, 1
	s_add_co_i32 s12, s12, 4
	s_cmp_ge_i32 s1, s4
	ds_load_b32 v3, v3
	s_wait_dscnt 0x0
	v_cmp_gt_i32_e32 vcc_lo, v4, v3
	v_add_co_ci_u32_e64 v2, null, 0, v2, vcc_lo
	s_cbranch_scc0 .LBB17_88
	s_branch .LBB17_77
.LBB17_89:
	s_endpgm
	.section	.rodata,"a",@progbits
	.p2align	6, 0x0
	.amdhsa_kernel _ZN9rocsparseL41csrgemm_numeric_fill_block_per_row_kernelILj1024ELj64ELj32768ELj137ELj64EiifEEvT5_PKS1_S3_NS_24const_host_device_scalarIT6_EEPKT4_S3_PKS5_S9_S3_SB_S6_S9_S3_SB_S9_S3_PS5_21rocsparse_index_base_SD_SD_SD_bbb
		.amdhsa_group_segment_fixed_size 0
		.amdhsa_private_segment_fixed_size 0
		.amdhsa_kernarg_size 156
		.amdhsa_user_sgpr_count 2
		.amdhsa_user_sgpr_dispatch_ptr 0
		.amdhsa_user_sgpr_queue_ptr 0
		.amdhsa_user_sgpr_kernarg_segment_ptr 1
		.amdhsa_user_sgpr_dispatch_id 0
		.amdhsa_user_sgpr_kernarg_preload_length 0
		.amdhsa_user_sgpr_kernarg_preload_offset 0
		.amdhsa_user_sgpr_private_segment_size 0
		.amdhsa_wavefront_size32 1
		.amdhsa_uses_dynamic_stack 0
		.amdhsa_enable_private_segment 0
		.amdhsa_system_sgpr_workgroup_id_x 1
		.amdhsa_system_sgpr_workgroup_id_y 0
		.amdhsa_system_sgpr_workgroup_id_z 0
		.amdhsa_system_sgpr_workgroup_info 0
		.amdhsa_system_vgpr_workitem_id 0
		.amdhsa_next_free_vgpr 22
		.amdhsa_next_free_sgpr 42
		.amdhsa_named_barrier_count 0
		.amdhsa_reserve_vcc 1
		.amdhsa_float_round_mode_32 0
		.amdhsa_float_round_mode_16_64 0
		.amdhsa_float_denorm_mode_32 3
		.amdhsa_float_denorm_mode_16_64 3
		.amdhsa_fp16_overflow 0
		.amdhsa_memory_ordered 1
		.amdhsa_forward_progress 1
		.amdhsa_inst_pref_size 29
		.amdhsa_round_robin_scheduling 0
		.amdhsa_exception_fp_ieee_invalid_op 0
		.amdhsa_exception_fp_denorm_src 0
		.amdhsa_exception_fp_ieee_div_zero 0
		.amdhsa_exception_fp_ieee_overflow 0
		.amdhsa_exception_fp_ieee_underflow 0
		.amdhsa_exception_fp_ieee_inexact 0
		.amdhsa_exception_int_div_zero 0
	.end_amdhsa_kernel
	.section	.text._ZN9rocsparseL41csrgemm_numeric_fill_block_per_row_kernelILj1024ELj64ELj32768ELj137ELj64EiifEEvT5_PKS1_S3_NS_24const_host_device_scalarIT6_EEPKT4_S3_PKS5_S9_S3_SB_S6_S9_S3_SB_S9_S3_PS5_21rocsparse_index_base_SD_SD_SD_bbb,"axG",@progbits,_ZN9rocsparseL41csrgemm_numeric_fill_block_per_row_kernelILj1024ELj64ELj32768ELj137ELj64EiifEEvT5_PKS1_S3_NS_24const_host_device_scalarIT6_EEPKT4_S3_PKS5_S9_S3_SB_S6_S9_S3_SB_S9_S3_PS5_21rocsparse_index_base_SD_SD_SD_bbb,comdat
.Lfunc_end17:
	.size	_ZN9rocsparseL41csrgemm_numeric_fill_block_per_row_kernelILj1024ELj64ELj32768ELj137ELj64EiifEEvT5_PKS1_S3_NS_24const_host_device_scalarIT6_EEPKT4_S3_PKS5_S9_S3_SB_S6_S9_S3_SB_S9_S3_PS5_21rocsparse_index_base_SD_SD_SD_bbb, .Lfunc_end17-_ZN9rocsparseL41csrgemm_numeric_fill_block_per_row_kernelILj1024ELj64ELj32768ELj137ELj64EiifEEvT5_PKS1_S3_NS_24const_host_device_scalarIT6_EEPKT4_S3_PKS5_S9_S3_SB_S6_S9_S3_SB_S9_S3_PS5_21rocsparse_index_base_SD_SD_SD_bbb
                                        ; -- End function
	.set _ZN9rocsparseL41csrgemm_numeric_fill_block_per_row_kernelILj1024ELj64ELj32768ELj137ELj64EiifEEvT5_PKS1_S3_NS_24const_host_device_scalarIT6_EEPKT4_S3_PKS5_S9_S3_SB_S6_S9_S3_SB_S9_S3_PS5_21rocsparse_index_base_SD_SD_SD_bbb.num_vgpr, 22
	.set _ZN9rocsparseL41csrgemm_numeric_fill_block_per_row_kernelILj1024ELj64ELj32768ELj137ELj64EiifEEvT5_PKS1_S3_NS_24const_host_device_scalarIT6_EEPKT4_S3_PKS5_S9_S3_SB_S6_S9_S3_SB_S9_S3_PS5_21rocsparse_index_base_SD_SD_SD_bbb.num_agpr, 0
	.set _ZN9rocsparseL41csrgemm_numeric_fill_block_per_row_kernelILj1024ELj64ELj32768ELj137ELj64EiifEEvT5_PKS1_S3_NS_24const_host_device_scalarIT6_EEPKT4_S3_PKS5_S9_S3_SB_S6_S9_S3_SB_S9_S3_PS5_21rocsparse_index_base_SD_SD_SD_bbb.numbered_sgpr, 42
	.set _ZN9rocsparseL41csrgemm_numeric_fill_block_per_row_kernelILj1024ELj64ELj32768ELj137ELj64EiifEEvT5_PKS1_S3_NS_24const_host_device_scalarIT6_EEPKT4_S3_PKS5_S9_S3_SB_S6_S9_S3_SB_S9_S3_PS5_21rocsparse_index_base_SD_SD_SD_bbb.num_named_barrier, 0
	.set _ZN9rocsparseL41csrgemm_numeric_fill_block_per_row_kernelILj1024ELj64ELj32768ELj137ELj64EiifEEvT5_PKS1_S3_NS_24const_host_device_scalarIT6_EEPKT4_S3_PKS5_S9_S3_SB_S6_S9_S3_SB_S9_S3_PS5_21rocsparse_index_base_SD_SD_SD_bbb.private_seg_size, 0
	.set _ZN9rocsparseL41csrgemm_numeric_fill_block_per_row_kernelILj1024ELj64ELj32768ELj137ELj64EiifEEvT5_PKS1_S3_NS_24const_host_device_scalarIT6_EEPKT4_S3_PKS5_S9_S3_SB_S6_S9_S3_SB_S9_S3_PS5_21rocsparse_index_base_SD_SD_SD_bbb.uses_vcc, 1
	.set _ZN9rocsparseL41csrgemm_numeric_fill_block_per_row_kernelILj1024ELj64ELj32768ELj137ELj64EiifEEvT5_PKS1_S3_NS_24const_host_device_scalarIT6_EEPKT4_S3_PKS5_S9_S3_SB_S6_S9_S3_SB_S9_S3_PS5_21rocsparse_index_base_SD_SD_SD_bbb.uses_flat_scratch, 0
	.set _ZN9rocsparseL41csrgemm_numeric_fill_block_per_row_kernelILj1024ELj64ELj32768ELj137ELj64EiifEEvT5_PKS1_S3_NS_24const_host_device_scalarIT6_EEPKT4_S3_PKS5_S9_S3_SB_S6_S9_S3_SB_S9_S3_PS5_21rocsparse_index_base_SD_SD_SD_bbb.has_dyn_sized_stack, 0
	.set _ZN9rocsparseL41csrgemm_numeric_fill_block_per_row_kernelILj1024ELj64ELj32768ELj137ELj64EiifEEvT5_PKS1_S3_NS_24const_host_device_scalarIT6_EEPKT4_S3_PKS5_S9_S3_SB_S6_S9_S3_SB_S9_S3_PS5_21rocsparse_index_base_SD_SD_SD_bbb.has_recursion, 0
	.set _ZN9rocsparseL41csrgemm_numeric_fill_block_per_row_kernelILj1024ELj64ELj32768ELj137ELj64EiifEEvT5_PKS1_S3_NS_24const_host_device_scalarIT6_EEPKT4_S3_PKS5_S9_S3_SB_S6_S9_S3_SB_S9_S3_PS5_21rocsparse_index_base_SD_SD_SD_bbb.has_indirect_call, 0
	.section	.AMDGPU.csdata,"",@progbits
; Kernel info:
; codeLenInByte = 3632
; TotalNumSgprs: 44
; NumVgprs: 22
; ScratchSize: 0
; MemoryBound: 0
; FloatMode: 240
; IeeeMode: 1
; LDSByteSize: 0 bytes/workgroup (compile time only)
; SGPRBlocks: 0
; VGPRBlocks: 1
; NumSGPRsForWavesPerEU: 44
; NumVGPRsForWavesPerEU: 22
; NamedBarCnt: 0
; Occupancy: 16
; WaveLimiterHint : 1
; COMPUTE_PGM_RSRC2:SCRATCH_EN: 0
; COMPUTE_PGM_RSRC2:USER_SGPR: 2
; COMPUTE_PGM_RSRC2:TRAP_HANDLER: 0
; COMPUTE_PGM_RSRC2:TGID_X_EN: 1
; COMPUTE_PGM_RSRC2:TGID_Y_EN: 0
; COMPUTE_PGM_RSRC2:TGID_Z_EN: 0
; COMPUTE_PGM_RSRC2:TIDIG_COMP_CNT: 0
	.section	.text._ZN9rocsparseL51csrgemm_numeric_fill_block_per_row_multipass_kernelILj512ELj16ELj2048ELj32EiifEEvT4_PKS1_S3_NS_24const_host_device_scalarIT5_EEPKT3_S3_PKS5_S9_S3_SB_S6_S9_S3_SB_S9_S3_PS5_PS7_21rocsparse_index_base_SE_SE_SE_bbb,"axG",@progbits,_ZN9rocsparseL51csrgemm_numeric_fill_block_per_row_multipass_kernelILj512ELj16ELj2048ELj32EiifEEvT4_PKS1_S3_NS_24const_host_device_scalarIT5_EEPKT3_S3_PKS5_S9_S3_SB_S6_S9_S3_SB_S9_S3_PS5_PS7_21rocsparse_index_base_SE_SE_SE_bbb,comdat
	.globl	_ZN9rocsparseL51csrgemm_numeric_fill_block_per_row_multipass_kernelILj512ELj16ELj2048ELj32EiifEEvT4_PKS1_S3_NS_24const_host_device_scalarIT5_EEPKT3_S3_PKS5_S9_S3_SB_S6_S9_S3_SB_S9_S3_PS5_PS7_21rocsparse_index_base_SE_SE_SE_bbb ; -- Begin function _ZN9rocsparseL51csrgemm_numeric_fill_block_per_row_multipass_kernelILj512ELj16ELj2048ELj32EiifEEvT4_PKS1_S3_NS_24const_host_device_scalarIT5_EEPKT3_S3_PKS5_S9_S3_SB_S6_S9_S3_SB_S9_S3_PS5_PS7_21rocsparse_index_base_SE_SE_SE_bbb
	.p2align	8
	.type	_ZN9rocsparseL51csrgemm_numeric_fill_block_per_row_multipass_kernelILj512ELj16ELj2048ELj32EiifEEvT4_PKS1_S3_NS_24const_host_device_scalarIT5_EEPKT3_S3_PKS5_S9_S3_SB_S6_S9_S3_SB_S9_S3_PS5_PS7_21rocsparse_index_base_SE_SE_SE_bbb,@function
_ZN9rocsparseL51csrgemm_numeric_fill_block_per_row_multipass_kernelILj512ELj16ELj2048ELj32EiifEEvT4_PKS1_S3_NS_24const_host_device_scalarIT5_EEPKT3_S3_PKS5_S9_S3_SB_S6_S9_S3_SB_S9_S3_PS5_PS7_21rocsparse_index_base_SE_SE_SE_bbb: ; @_ZN9rocsparseL51csrgemm_numeric_fill_block_per_row_multipass_kernelILj512ELj16ELj2048ELj32EiifEEvT4_PKS1_S3_NS_24const_host_device_scalarIT5_EEPKT3_S3_PKS5_S9_S3_SB_S6_S9_S3_SB_S9_S3_PS5_PS7_21rocsparse_index_base_SE_SE_SE_bbb
; %bb.0:
	s_clause 0x4
	s_load_b32 s10, s[0:1], 0xa0
	s_load_b64 s[8:9], s[0:1], 0x18
	s_load_b128 s[4:7], s[0:1], 0x8
	s_load_b128 s[28:31], s[0:1], 0x90
	s_load_b64 s[2:3], s[0:1], 0x50
	s_wait_kmcnt 0x0
	s_and_b32 s12, 1, s10
	s_bitcmp1_b32 s10, 16
	s_cselect_b32 s11, -1, 0
	s_cmp_eq_u32 s12, 1
	s_cselect_b32 s18, -1, 0
	s_delay_alu instid0(SALU_CYCLE_1) | instskip(SKIP_2) | instid1(SALU_CYCLE_1)
	s_and_b32 s12, s18, exec_lo
	s_cselect_b32 s33, s8, 0
	s_xor_b32 s12, s18, -1
	s_or_b32 s12, s11, s12
	s_delay_alu instid0(SALU_CYCLE_1)
	s_and_b32 vcc_lo, exec_lo, s12
	s_cbranch_vccnz .LBB18_2
; %bb.1:
	s_load_b32 s33, s[8:9], 0x0
.LBB18_2:
	s_bitcmp1_b32 s10, 8
	s_cselect_b32 s48, -1, 0
	s_wait_xcnt 0x0
	s_and_b32 s8, s48, exec_lo
	s_cselect_b32 s49, s2, 0
	s_xor_b32 s8, s48, -1
	s_delay_alu instid0(SALU_CYCLE_1) | instskip(NEXT) | instid1(SALU_CYCLE_1)
	s_or_b32 s8, s11, s8
	s_and_b32 vcc_lo, exec_lo, s8
	s_cbranch_vccnz .LBB18_4
; %bb.3:
	s_load_b32 s49, s[2:3], 0x0
.LBB18_4:
	s_wait_xcnt 0x0
	s_load_b32 s2, s[4:5], 0x0
	s_bfe_u32 s3, ttmp6, 0x4000c
	s_wait_xcnt 0x0
	s_and_b32 s4, ttmp6, 15
	s_add_co_i32 s3, s3, 1
	s_getreg_b32 s5, hwreg(HW_REG_IB_STS2, 6, 4)
	s_mul_i32 s3, ttmp9, s3
	s_mov_b32 s50, 0
	s_add_co_i32 s4, s4, s3
	s_cmp_eq_u32 s5, 0
	s_cselect_b32 s3, ttmp9, s4
	s_and_not1_b32 vcc_lo, exec_lo, s18
	s_wait_kmcnt 0x0
	s_add_co_i32 s4, s2, s3
	s_load_b64 s[2:3], s[0:1], 0x20
	s_load_b32 s8, s[6:7], s4 offset:0x0 scale_offset
	s_wait_xcnt 0x0
	s_mov_b32 s6, 0
	s_cbranch_vccz .LBB18_7
; %bb.5:
	s_and_not1_b32 vcc_lo, exec_lo, s18
	s_cbranch_vccz .LBB18_8
.LBB18_6:
	s_load_b32 s51, s[0:1], 0x0
	s_wait_kmcnt 0x0
	s_cmp_lt_i32 s51, 1
	s_cbranch_scc0 .LBB18_9
	s_branch .LBB18_62
.LBB18_7:
	s_wait_kmcnt 0x0
	s_ashr_i32 s9, s8, 31
	s_delay_alu instid0(SALU_CYCLE_1) | instskip(NEXT) | instid1(SALU_CYCLE_1)
	s_lshl_b64 s[4:5], s[8:9], 2
	s_add_nc_u64 s[4:5], s[2:3], s[4:5]
	s_load_b32 s4, s[4:5], 0x0
	s_wait_kmcnt 0x0
	s_sub_co_i32 s6, s4, s28
	s_and_not1_b32 vcc_lo, exec_lo, s18
	s_cbranch_vccnz .LBB18_6
.LBB18_8:
	s_wait_kmcnt 0x0
	s_ashr_i32 s9, s8, 31
	s_delay_alu instid0(SALU_CYCLE_1) | instskip(NEXT) | instid1(SALU_CYCLE_1)
	s_lshl_b64 s[4:5], s[8:9], 2
	s_add_nc_u64 s[2:3], s[2:3], s[4:5]
	s_load_b32 s2, s[2:3], 0x4
	s_wait_kmcnt 0x0
	s_sub_co_i32 s50, s2, s28
	s_load_b32 s51, s[0:1], 0x0
	s_wait_kmcnt 0x0
	s_cmp_lt_i32 s51, 1
	s_cbranch_scc1 .LBB18_62
.LBB18_9:
	s_clause 0x3
	s_load_b256 s[20:27], s[0:1], 0x58
	s_load_b128 s[44:47], s[0:1], 0x80
	s_load_b256 s[36:43], s[0:1], 0x28
	s_load_b64 s[34:35], s[0:1], 0x48
	v_dual_lshrrev_b32 v1, 4, v0 :: v_dual_bitop2_b32 v3, 15, v0 bitop3:0x40
	v_mbcnt_lo_u32_b32 v2, -1, 0
	s_ashr_i32 s9, s8, 31
	v_dual_mov_b32 v9, 0 :: v_dual_lshrrev_b32 v4, 3, v0
	s_delay_alu instid0(VALU_DEP_2)
	v_dual_add_nc_u32 v10, s6, v1 :: v_dual_bitop2_b32 v1, 8, v2 bitop3:0x14
	s_lshl_b64 s[52:53], s[8:9], 2
	s_wait_xcnt 0x0
	v_cmp_eq_u32_e64 s0, 0, v0
	v_subrev_nc_u32_e32 v8, s31, v0
	v_cmp_gt_i32_e32 vcc_lo, s50, v10
	v_cmp_gt_i32_e64 s7, 32, v1
	v_xor_b32_e32 v5, 4, v2
	v_cmp_eq_u32_e64 s1, 0x1ff, v0
	v_cmp_gt_u32_e64 s2, 32, v0
	s_wait_kmcnt 0x0
	s_add_nc_u64 s[8:9], s[26:27], s[52:53]
	v_cndmask_b32_e64 v1, v2, v1, s7
	s_load_b32 s8, s[8:9], 0x0
	v_cmp_gt_i32_e64 s7, 32, v5
	v_xor_b32_e32 v6, 2, v2
	v_xor_b32_e32 v7, 1, v2
	v_and_b32_e32 v11, 60, v4
	v_cmp_gt_u32_e64 s3, 64, v0
	v_cndmask_b32_e64 v4, v2, v5, s7
	v_cmp_gt_i32_e64 s7, 32, v6
	v_cmp_gt_u32_e64 s4, 0x60, v0
	v_cmp_gt_u32_e64 s5, 0x80, v0
	v_cmp_eq_u32_e64 s6, 15, v3
	s_wait_xcnt 0x0
	v_cmp_gt_u32_e64 s9, 0xe0, v0
	v_cndmask_b32_e64 v5, v2, v6, s7
	v_cmp_gt_i32_e64 s7, 32, v7
	v_dual_lshlrev_b32 v13, 2, v4 :: v_dual_bitop2_b32 v12, 31, v2 bitop3:0x14
	v_cmp_gt_u32_e64 s10, 0x100, v0
	s_delay_alu instid0(VALU_DEP_3) | instskip(NEXT) | instid1(VALU_DEP_3)
	v_dual_lshlrev_b32 v14, 2, v5 :: v_dual_cndmask_b32 v6, v2, v7, s7
	v_lshrrev_b32_e64 v2, v12, -1
	s_wait_kmcnt 0x0
	s_sub_co_i32 s19, s8, s30
	v_lshlrev_b32_e32 v12, 2, v1
	v_cmp_gt_u32_e64 s7, 0xa0, v0
	v_dual_lshlrev_b32 v15, 2, v6 :: v_dual_lshlrev_b32 v17, 2, v0
	v_cmp_gt_u32_e64 s8, 0xc0, v0
	v_cmp_gt_u32_e64 s11, 0x120, v0
	;; [unrolled: 1-line block ×8, first 2 shown]
	v_or_b32_e32 v16, 0xfffffe00, v0
	v_dual_mov_b32 v21, 0x800 :: v_dual_mov_b32 v18, s19
	v_dual_mov_b32 v19, 1 :: v_dual_mov_b32 v20, 0
	s_add_nc_u64 s[26:27], s[20:21], s[52:53]
	s_and_b32 s21, s18, vcc_lo
	s_branch .LBB18_11
.LBB18_10:                              ;   in Loop: Header=BB18_11 Depth=1
	s_or_b32 exec_lo, exec_lo, s18
	ds_load_b32 v20, v9 offset:10240
	s_wait_dscnt 0x0
	s_barrier_signal -1
	s_barrier_wait -1
	v_cmp_le_i32_e32 vcc_lo, s51, v20
	v_add_nc_u32_e32 v21, 0x800, v20
	s_cbranch_vccnz .LBB18_62
.LBB18_11:                              ; =>This Loop Header: Depth=1
                                        ;     Child Loop BB18_12 Depth 2
                                        ;     Child Loop BB18_18 Depth 2
                                        ;       Child Loop BB18_24 Depth 3
                                        ;     Child Loop BB18_41 Depth 2
                                        ;     Child Loop BB18_53 Depth 2
	;; [unrolled: 1-line block ×3, first 2 shown]
	v_dual_mov_b32 v0, v17 :: v_dual_mov_b32 v1, v16
	s_mov_b32 s18, 0
.LBB18_12:                              ;   Parent Loop BB18_11 Depth=1
                                        ; =>  This Inner Loop Header: Depth=2
	ds_store_b8 v1, v9 offset:8704
	v_add_nc_u32_e32 v1, 0x200, v1
	ds_store_b32 v0, v9
	v_add_nc_u32_e32 v0, 0x800, v0
	v_cmp_lt_u32_e32 vcc_lo, 0x5ff, v1
	s_or_b32 s18, vcc_lo, s18
	s_delay_alu instid0(SALU_CYCLE_1)
	s_and_not1_b32 exec_lo, exec_lo, s18
	s_cbranch_execnz .LBB18_12
; %bb.13:                               ;   in Loop: Header=BB18_11 Depth=1
	s_or_b32 exec_lo, exec_lo, s18
	s_and_saveexec_b32 s18, s0
; %bb.14:                               ;   in Loop: Header=BB18_11 Depth=1
	v_mov_b32_e32 v0, s51
	ds_store_b32 v9, v0 offset:10240
; %bb.15:                               ;   in Loop: Header=BB18_11 Depth=1
	s_or_b32 exec_lo, exec_lo, s18
	v_mov_b32_e32 v22, s51
	s_wait_dscnt 0x0
	s_barrier_signal -1
	s_barrier_wait -1
	s_and_saveexec_b32 s30, s21
	s_cbranch_execz .LBB18_37
; %bb.16:                               ;   in Loop: Header=BB18_11 Depth=1
	v_cmp_ne_u32_e64 s18, 0, v20
	v_dual_mov_b32 v22, s51 :: v_dual_mov_b32 v0, v10
	s_mov_b32 s52, 0
	s_branch .LBB18_18
.LBB18_17:                              ;   in Loop: Header=BB18_18 Depth=2
	s_wait_xcnt 0x0
	s_or_b32 exec_lo, exec_lo, s19
	v_add_nc_u32_e32 v0, 32, v0
	s_delay_alu instid0(VALU_DEP_1) | instskip(SKIP_1) | instid1(SALU_CYCLE_1)
	v_cmp_le_i32_e32 vcc_lo, s50, v0
	s_or_b32 s52, vcc_lo, s52
	s_and_not1_b32 exec_lo, exec_lo, s52
	s_cbranch_execz .LBB18_36
.LBB18_18:                              ;   Parent Loop BB18_11 Depth=1
                                        ; =>  This Loop Header: Depth=2
                                        ;       Child Loop BB18_24 Depth 3
	s_clause 0x1
	global_load_b32 v4, v0, s[36:37] scale_offset
	global_load_b32 v24, v0, s[38:39] scale_offset
	s_and_b32 vcc_lo, exec_lo, s18
	s_wait_loadcnt_dscnt 0x100
	v_subrev_nc_u32_e32 v6, s28, v4
	s_delay_alu instid0(VALU_DEP_1) | instskip(NEXT) | instid1(VALU_DEP_1)
	v_dual_ashrrev_i32 v1, 31, v0 :: v_dual_ashrrev_i32 v7, 31, v6
	v_lshl_add_u64 v[4:5], v[0:1], 2, s[46:47]
	s_cbranch_vccz .LBB18_35
; %bb.19:                               ;   in Loop: Header=BB18_18 Depth=2
	global_load_b32 v1, v[4:5], off
	s_cbranch_execnz .LBB18_21
.LBB18_20:                              ;   in Loop: Header=BB18_18 Depth=2
	s_wait_loadcnt 0x0
	global_load_b32 v1, v6, s[40:41] scale_offset
	s_wait_loadcnt 0x0
	v_subrev_nc_u32_e32 v1, s29, v1
.LBB18_21:                              ;   in Loop: Header=BB18_18 Depth=2
	s_wait_xcnt 0x0
	v_lshl_add_u64 v[6:7], v[6:7], 2, s[40:41]
	s_wait_loadcnt 0x0
	s_delay_alu instid0(VALU_DEP_2)
	v_add_nc_u32_e32 v1, v1, v3
	s_mov_b32 s53, exec_lo
	global_load_b32 v6, v[6:7], off offset:4
	s_wait_loadcnt 0x0
	v_subrev_nc_u32_e32 v23, s29, v6
	s_wait_xcnt 0x0
	s_delay_alu instid0(VALU_DEP_1)
	v_cmpx_lt_i32_e64 v1, v23
	s_cbranch_execz .LBB18_33
; %bb.22:                               ;   in Loop: Header=BB18_18 Depth=2
	v_dual_mul_f32 v24, s33, v24 :: v_dual_mov_b32 v7, v1
	s_mov_b32 s55, 0
                                        ; implicit-def: $sgpr54
                                        ; implicit-def: $sgpr56
	s_branch .LBB18_24
.LBB18_23:                              ;   in Loop: Header=BB18_24 Depth=3
	s_or_b32 exec_lo, exec_lo, s57
	s_delay_alu instid0(SALU_CYCLE_1) | instskip(NEXT) | instid1(SALU_CYCLE_1)
	s_and_b32 s19, exec_lo, s20
	s_or_b32 s55, s19, s55
	s_and_not1_b32 s19, s54, exec_lo
	s_and_b32 s20, s56, exec_lo
	s_delay_alu instid0(SALU_CYCLE_1)
	s_or_b32 s54, s19, s20
	s_and_not1_b32 exec_lo, exec_lo, s55
	s_cbranch_execz .LBB18_30
.LBB18_24:                              ;   Parent Loop BB18_11 Depth=1
                                        ;     Parent Loop BB18_18 Depth=2
                                        ; =>    This Inner Loop Header: Depth=3
	s_delay_alu instid0(VALU_DEP_1) | instskip(SKIP_3) | instid1(VALU_DEP_1)
	v_mov_b32_e32 v6, v7
	global_load_b32 v7, v7, s[42:43] scale_offset
	s_wait_loadcnt 0x0
	v_subrev_nc_u32_e32 v25, s29, v7
	v_cmp_lt_i32_e64 s19, v25, v20
	v_cmp_ge_i32_e64 s20, v25, v21
	v_cmp_lt_i32_e32 vcc_lo, v25, v21
	s_or_b32 s20, s19, s20
	s_mov_b32 s19, 0
	s_wait_xcnt 0x0
	s_and_saveexec_b32 s57, s20
	s_delay_alu instid0(SALU_CYCLE_1)
	s_xor_b32 s20, exec_lo, s57
; %bb.25:                               ;   in Loop: Header=BB18_24 Depth=3
	s_and_b32 s19, vcc_lo, exec_lo
; %bb.26:                               ;   in Loop: Header=BB18_24 Depth=3
	s_and_not1_saveexec_b32 s20, s20
	s_cbranch_execz .LBB18_28
; %bb.27:                               ;   in Loop: Header=BB18_24 Depth=3
	v_ashrrev_i32_e32 v7, 31, v6
	s_or_b32 s19, s19, exec_lo
	s_delay_alu instid0(VALU_DEP_1) | instskip(SKIP_3) | instid1(VALU_DEP_1)
	v_lshl_add_u64 v[26:27], v[6:7], 2, s[34:35]
	global_load_b32 v7, v[26:27], off
	s_wait_xcnt 0x0
	v_sub_nc_u32_e32 v26, v25, v20
	v_lshlrev_b32_e32 v27, 2, v26
	ds_store_b8 v26, v19 offset:8192
	s_wait_loadcnt 0x0
	v_mul_f32_e32 v7, v24, v7
	ds_add_f32 v27, v7
.LBB18_28:                              ;   in Loop: Header=BB18_24 Depth=3
	s_or_b32 exec_lo, exec_lo, s20
	s_mov_b32 s20, -1
	s_or_b32 s56, s56, exec_lo
                                        ; implicit-def: $vgpr7
	s_and_saveexec_b32 s57, s19
	s_cbranch_execz .LBB18_23
; %bb.29:                               ;   in Loop: Header=BB18_24 Depth=3
	v_add_nc_u32_e32 v7, 16, v6
	s_and_not1_b32 s56, s56, exec_lo
	s_delay_alu instid0(VALU_DEP_1)
	v_cmp_ge_i32_e32 vcc_lo, v7, v23
	s_or_not1_b32 s20, vcc_lo, exec_lo
	s_branch .LBB18_23
.LBB18_30:                              ;   in Loop: Header=BB18_18 Depth=2
	s_or_b32 exec_lo, exec_lo, s55
	s_and_saveexec_b32 s19, s54
	s_delay_alu instid0(SALU_CYCLE_1)
	s_xor_b32 s19, exec_lo, s19
; %bb.31:                               ;   in Loop: Header=BB18_18 Depth=2
	v_dual_mov_b32 v1, v6 :: v_dual_min_i32 v22, v25, v22
; %bb.32:                               ;   in Loop: Header=BB18_18 Depth=2
	s_or_b32 exec_lo, exec_lo, s19
.LBB18_33:                              ;   in Loop: Header=BB18_18 Depth=2
	s_delay_alu instid0(SALU_CYCLE_1)
	s_or_b32 exec_lo, exec_lo, s53
	ds_bpermute_b32 v6, v12, v1
	s_wait_dscnt 0x0
	v_min_i32_e32 v1, v6, v1
	ds_bpermute_b32 v6, v13, v1
	s_wait_dscnt 0x0
	v_min_i32_e32 v1, v6, v1
	;; [unrolled: 3-line block ×3, first 2 shown]
	ds_bpermute_b32 v6, v15, v1
	s_and_saveexec_b32 s19, s6
	s_cbranch_execz .LBB18_17
; %bb.34:                               ;   in Loop: Header=BB18_18 Depth=2
	s_wait_dscnt 0x0
	v_min_i32_e32 v1, v6, v1
	global_store_b32 v[4:5], v1, off
	s_branch .LBB18_17
.LBB18_35:                              ;   in Loop: Header=BB18_18 Depth=2
                                        ; implicit-def: $vgpr1
	s_branch .LBB18_20
.LBB18_36:                              ;   in Loop: Header=BB18_11 Depth=1
	s_or_b32 exec_lo, exec_lo, s52
.LBB18_37:                              ;   in Loop: Header=BB18_11 Depth=1
	s_delay_alu instid0(SALU_CYCLE_1) | instskip(NEXT) | instid1(SALU_CYCLE_1)
	s_or_b32 exec_lo, exec_lo, s30
	s_and_not1_b32 vcc_lo, exec_lo, s48
	s_cbranch_vccnz .LBB18_51
; %bb.38:                               ;   in Loop: Header=BB18_11 Depth=1
	s_load_b64 s[18:19], s[26:27], 0x0
	s_mov_b32 s20, exec_lo
	s_wait_kmcnt 0x0
	v_add_nc_u32_e32 v0, s18, v8
	s_sub_co_i32 s30, s19, s31
	s_delay_alu instid0(VALU_DEP_1) | instid1(SALU_CYCLE_1)
	v_cmpx_gt_i32_e64 s30, v0
	s_cbranch_execz .LBB18_50
; %bb.39:                               ;   in Loop: Header=BB18_11 Depth=1
	s_mov_b32 s52, 0
                                        ; implicit-def: $sgpr53
                                        ; implicit-def: $sgpr54
	s_branch .LBB18_41
.LBB18_40:                              ;   in Loop: Header=BB18_41 Depth=2
	s_or_b32 exec_lo, exec_lo, s55
	s_delay_alu instid0(SALU_CYCLE_1) | instskip(NEXT) | instid1(SALU_CYCLE_1)
	s_and_b32 s18, exec_lo, s19
	s_or_b32 s52, s18, s52
	s_and_not1_b32 s18, s53, exec_lo
	s_and_b32 s19, s54, exec_lo
	s_delay_alu instid0(SALU_CYCLE_1)
	s_or_b32 s53, s18, s19
	s_and_not1_b32 exec_lo, exec_lo, s52
	s_cbranch_execz .LBB18_47
.LBB18_41:                              ;   Parent Loop BB18_11 Depth=1
                                        ; =>  This Inner Loop Header: Depth=2
	global_load_b32 v1, v0, s[22:23] scale_offset
	s_wait_loadcnt 0x0
	v_subrev_nc_u32_e32 v4, s31, v1
	s_delay_alu instid0(VALU_DEP_1)
	v_cmp_lt_i32_e64 s18, v4, v20
	v_cmp_ge_i32_e64 s19, v4, v21
	v_cmp_lt_i32_e32 vcc_lo, v4, v21
	s_or_b32 s19, s18, s19
	s_mov_b32 s18, 0
	s_wait_xcnt 0x0
	s_and_saveexec_b32 s55, s19
	s_delay_alu instid0(SALU_CYCLE_1)
	s_xor_b32 s19, exec_lo, s55
; %bb.42:                               ;   in Loop: Header=BB18_41 Depth=2
	s_and_b32 s18, vcc_lo, exec_lo
; %bb.43:                               ;   in Loop: Header=BB18_41 Depth=2
	s_or_saveexec_b32 s19, s19
	v_ashrrev_i32_e32 v1, 31, v0
	s_xor_b32 exec_lo, exec_lo, s19
	s_cbranch_execz .LBB18_45
; %bb.44:                               ;   in Loop: Header=BB18_41 Depth=2
	s_wait_dscnt 0x0
	s_delay_alu instid0(VALU_DEP_1)
	v_lshl_add_u64 v[6:7], v[0:1], 2, s[24:25]
	s_or_b32 s18, s18, exec_lo
	global_load_b32 v1, v[6:7], off
	s_wait_loadcnt 0x0
	v_dual_sub_nc_u32 v5, v4, v20 :: v_dual_mul_f32 v1, s49, v1
	s_wait_xcnt 0x0
	s_delay_alu instid0(VALU_DEP_1)
	v_lshlrev_b32_e32 v6, 2, v5
	ds_store_b8 v5, v19 offset:8192
	ds_add_f32 v6, v1
.LBB18_45:                              ;   in Loop: Header=BB18_41 Depth=2
	s_or_b32 exec_lo, exec_lo, s19
	s_mov_b32 s19, -1
	s_or_b32 s54, s54, exec_lo
	s_and_saveexec_b32 s55, s18
	s_cbranch_execz .LBB18_40
; %bb.46:                               ;   in Loop: Header=BB18_41 Depth=2
	v_add_nc_u32_e32 v0, 0x200, v0
	s_and_not1_b32 s54, s54, exec_lo
	s_delay_alu instid0(VALU_DEP_1)
	v_cmp_le_i32_e32 vcc_lo, s30, v0
	s_or_not1_b32 s19, vcc_lo, exec_lo
	s_branch .LBB18_40
.LBB18_47:                              ;   in Loop: Header=BB18_11 Depth=1
	s_or_b32 exec_lo, exec_lo, s52
	s_and_saveexec_b32 s18, s53
	s_delay_alu instid0(SALU_CYCLE_1)
	s_xor_b32 s18, exec_lo, s18
; %bb.48:                               ;   in Loop: Header=BB18_11 Depth=1
	v_min_i32_e32 v22, v4, v22
; %bb.49:                               ;   in Loop: Header=BB18_11 Depth=1
	s_or_b32 exec_lo, exec_lo, s18
.LBB18_50:                              ;   in Loop: Header=BB18_11 Depth=1
	s_delay_alu instid0(SALU_CYCLE_1)
	s_or_b32 exec_lo, exec_lo, s20
.LBB18_51:                              ;   in Loop: Header=BB18_11 Depth=1
	ds_bpermute_b32 v0, v12, v22
	s_wait_dscnt 0x0
	v_min_i32_e32 v0, v0, v22
	ds_bpermute_b32 v1, v13, v0
	s_wait_dscnt 0x0
	v_min_i32_e32 v0, v1, v0
	;; [unrolled: 3-line block ×3, first 2 shown]
	ds_bpermute_b32 v1, v15, v0
	s_and_saveexec_b32 s18, s6
	s_cbranch_execz .LBB18_56
; %bb.52:                               ;   in Loop: Header=BB18_11 Depth=1
	s_wait_dscnt 0x0
	v_min_i32_e32 v0, v1, v0
	s_mov_b32 s20, exec_lo
	s_brev_b32 s19, -2
.LBB18_53:                              ;   Parent Loop BB18_11 Depth=1
                                        ; =>  This Inner Loop Header: Depth=2
	s_ctz_i32_b32 s30, s20
	s_delay_alu instid0(VALU_DEP_1) | instid1(SALU_CYCLE_1)
	v_readlane_b32 s52, v0, s30
	s_lshl_b32 s30, 1, s30
	s_delay_alu instid0(SALU_CYCLE_1)
	s_and_not1_b32 s20, s20, s30
	s_min_i32 s19, s19, s52
	s_cmp_lg_u32 s20, 0
	s_cbranch_scc1 .LBB18_53
; %bb.54:                               ;   in Loop: Header=BB18_11 Depth=1
	v_mbcnt_lo_u32_b32 v0, exec_lo, 0
	s_mov_b32 s20, exec_lo
	s_delay_alu instid0(VALU_DEP_1)
	v_cmpx_eq_u32_e32 0, v0
	s_xor_b32 s20, exec_lo, s20
; %bb.55:                               ;   in Loop: Header=BB18_11 Depth=1
	v_mov_b32_e32 v0, s19
	ds_min_i32 v9, v0 offset:10240
.LBB18_56:                              ;   in Loop: Header=BB18_11 Depth=1
	s_or_b32 exec_lo, exec_lo, s18
	s_wait_dscnt 0x0
	v_dual_mov_b32 v0, v17 :: v_dual_mov_b32 v1, v16
	s_mov_b32 s18, 0
	s_wait_storecnt 0x0
	s_barrier_signal -1
	s_barrier_wait -1
	s_branch .LBB18_58
.LBB18_57:                              ;   in Loop: Header=BB18_58 Depth=2
	s_or_b32 exec_lo, exec_lo, s19
	s_wait_storecnt_dscnt 0x0
	s_barrier_signal -1
	s_barrier_wait -1
	ds_load_b32 v4, v9 offset:60
	v_add_nc_u32_e32 v1, 0x200, v1
	v_add_nc_u32_e32 v0, 0x800, v0
	s_delay_alu instid0(VALU_DEP_2)
	v_cmp_lt_u32_e32 vcc_lo, 0x5ff, v1
	s_or_b32 s18, vcc_lo, s18
	s_wait_dscnt 0x0
	v_add_nc_u32_e32 v18, v4, v18
	s_and_not1_b32 exec_lo, exec_lo, s18
	s_cbranch_execz .LBB18_10
.LBB18_58:                              ;   Parent Loop BB18_11 Depth=1
                                        ; =>  This Inner Loop Header: Depth=2
	ds_load_u8 v5, v1 offset:8704
	ds_load_b32 v4, v0
	s_wait_dscnt 0x0
	s_barrier_signal -1
	s_barrier_wait -1
	v_cmp_ne_u16_e32 vcc_lo, 0, v5
	s_bcnt1_i32_b32 s19, vcc_lo
	s_delay_alu instid0(SALU_CYCLE_1)
	v_mov_b32_e32 v6, s19
	s_mov_b32 s19, exec_lo
	ds_store_b32 v11, v6
	s_wait_dscnt 0x0
	s_barrier_signal -1
	s_barrier_wait -1
	ds_load_b128 v[20:23], v9
	ds_load_b128 v[24:27], v9 offset:16
	v_and_b32_e32 v6, vcc_lo, v2
	ds_load_b128 v[28:31], v9 offset:32
	s_wait_dscnt 0x2
	v_cndmask_b32_e64 v7, v20, 0, s2
	v_cndmask_b32_e64 v32, v21, 0, s3
	;; [unrolled: 1-line block ×3, first 2 shown]
	ds_load_b96 v[20:22], v9 offset:48
	v_bcnt_u32_b32 v6, v6, v7
	v_cndmask_b32_e64 v7, v23, 0, s5
	s_wait_dscnt 0x2
	v_cndmask_b32_e64 v23, v24, 0, s7
	v_cndmask_b32_e64 v24, v25, 0, s8
	;; [unrolled: 1-line block ×3, first 2 shown]
	v_add3_u32 v6, v6, v32, v33
	s_delay_alu instid0(VALU_DEP_1) | instskip(SKIP_3) | instid1(VALU_DEP_3)
	v_add3_u32 v6, v6, v7, v23
	v_cndmask_b32_e64 v7, v27, 0, s10
	s_wait_dscnt 0x1
	v_cndmask_b32_e64 v23, v28, 0, s11
	v_add3_u32 v6, v6, v24, v25
	v_cndmask_b32_e64 v24, v29, 0, s12
	v_cndmask_b32_e64 v25, v30, 0, s13
	s_wait_dscnt 0x0
	v_cndmask_b32_e64 v20, v20, 0, s15
	v_cndmask_b32_e64 v21, v21, 0, s16
	v_add3_u32 v6, v6, v7, v23
	v_cndmask_b32_e64 v7, v31, 0, s14
	v_cndmask_b32_e64 v22, v22, 0, s17
	s_delay_alu instid0(VALU_DEP_3) | instskip(NEXT) | instid1(VALU_DEP_1)
	v_add3_u32 v6, v6, v24, v25
	v_add3_u32 v6, v6, v7, v20
	v_and_b32_e32 v7, 1, v5
	s_delay_alu instid0(VALU_DEP_2) | instskip(NEXT) | instid1(VALU_DEP_2)
	v_add3_u32 v5, v6, v21, v22
	v_cmpx_eq_u32_e32 1, v7
	s_cbranch_execz .LBB18_60
; %bb.59:                               ;   in Loop: Header=BB18_58 Depth=2
	s_delay_alu instid0(VALU_DEP_2)
	v_add_nc_u32_e32 v6, v5, v18
	global_store_b32 v6, v4, s[44:45] offset:-4 scale_offset
.LBB18_60:                              ;   in Loop: Header=BB18_58 Depth=2
	s_wait_xcnt 0x0
	s_or_b32 exec_lo, exec_lo, s19
	s_and_saveexec_b32 s19, s1
	s_cbranch_execz .LBB18_57
; %bb.61:                               ;   in Loop: Header=BB18_58 Depth=2
	ds_store_b32 v9, v5 offset:60
	s_branch .LBB18_57
.LBB18_62:
	s_endpgm
	.section	.rodata,"a",@progbits
	.p2align	6, 0x0
	.amdhsa_kernel _ZN9rocsparseL51csrgemm_numeric_fill_block_per_row_multipass_kernelILj512ELj16ELj2048ELj32EiifEEvT4_PKS1_S3_NS_24const_host_device_scalarIT5_EEPKT3_S3_PKS5_S9_S3_SB_S6_S9_S3_SB_S9_S3_PS5_PS7_21rocsparse_index_base_SE_SE_SE_bbb
		.amdhsa_group_segment_fixed_size 10244
		.amdhsa_private_segment_fixed_size 0
		.amdhsa_kernarg_size 164
		.amdhsa_user_sgpr_count 2
		.amdhsa_user_sgpr_dispatch_ptr 0
		.amdhsa_user_sgpr_queue_ptr 0
		.amdhsa_user_sgpr_kernarg_segment_ptr 1
		.amdhsa_user_sgpr_dispatch_id 0
		.amdhsa_user_sgpr_kernarg_preload_length 0
		.amdhsa_user_sgpr_kernarg_preload_offset 0
		.amdhsa_user_sgpr_private_segment_size 0
		.amdhsa_wavefront_size32 1
		.amdhsa_uses_dynamic_stack 0
		.amdhsa_enable_private_segment 0
		.amdhsa_system_sgpr_workgroup_id_x 1
		.amdhsa_system_sgpr_workgroup_id_y 0
		.amdhsa_system_sgpr_workgroup_id_z 0
		.amdhsa_system_sgpr_workgroup_info 0
		.amdhsa_system_vgpr_workitem_id 0
		.amdhsa_next_free_vgpr 34
		.amdhsa_next_free_sgpr 58
		.amdhsa_named_barrier_count 0
		.amdhsa_reserve_vcc 1
		.amdhsa_float_round_mode_32 0
		.amdhsa_float_round_mode_16_64 0
		.amdhsa_float_denorm_mode_32 3
		.amdhsa_float_denorm_mode_16_64 3
		.amdhsa_fp16_overflow 0
		.amdhsa_memory_ordered 1
		.amdhsa_forward_progress 1
		.amdhsa_inst_pref_size 21
		.amdhsa_round_robin_scheduling 0
		.amdhsa_exception_fp_ieee_invalid_op 0
		.amdhsa_exception_fp_denorm_src 0
		.amdhsa_exception_fp_ieee_div_zero 0
		.amdhsa_exception_fp_ieee_overflow 0
		.amdhsa_exception_fp_ieee_underflow 0
		.amdhsa_exception_fp_ieee_inexact 0
		.amdhsa_exception_int_div_zero 0
	.end_amdhsa_kernel
	.section	.text._ZN9rocsparseL51csrgemm_numeric_fill_block_per_row_multipass_kernelILj512ELj16ELj2048ELj32EiifEEvT4_PKS1_S3_NS_24const_host_device_scalarIT5_EEPKT3_S3_PKS5_S9_S3_SB_S6_S9_S3_SB_S9_S3_PS5_PS7_21rocsparse_index_base_SE_SE_SE_bbb,"axG",@progbits,_ZN9rocsparseL51csrgemm_numeric_fill_block_per_row_multipass_kernelILj512ELj16ELj2048ELj32EiifEEvT4_PKS1_S3_NS_24const_host_device_scalarIT5_EEPKT3_S3_PKS5_S9_S3_SB_S6_S9_S3_SB_S9_S3_PS5_PS7_21rocsparse_index_base_SE_SE_SE_bbb,comdat
.Lfunc_end18:
	.size	_ZN9rocsparseL51csrgemm_numeric_fill_block_per_row_multipass_kernelILj512ELj16ELj2048ELj32EiifEEvT4_PKS1_S3_NS_24const_host_device_scalarIT5_EEPKT3_S3_PKS5_S9_S3_SB_S6_S9_S3_SB_S9_S3_PS5_PS7_21rocsparse_index_base_SE_SE_SE_bbb, .Lfunc_end18-_ZN9rocsparseL51csrgemm_numeric_fill_block_per_row_multipass_kernelILj512ELj16ELj2048ELj32EiifEEvT4_PKS1_S3_NS_24const_host_device_scalarIT5_EEPKT3_S3_PKS5_S9_S3_SB_S6_S9_S3_SB_S9_S3_PS5_PS7_21rocsparse_index_base_SE_SE_SE_bbb
                                        ; -- End function
	.set _ZN9rocsparseL51csrgemm_numeric_fill_block_per_row_multipass_kernelILj512ELj16ELj2048ELj32EiifEEvT4_PKS1_S3_NS_24const_host_device_scalarIT5_EEPKT3_S3_PKS5_S9_S3_SB_S6_S9_S3_SB_S9_S3_PS5_PS7_21rocsparse_index_base_SE_SE_SE_bbb.num_vgpr, 34
	.set _ZN9rocsparseL51csrgemm_numeric_fill_block_per_row_multipass_kernelILj512ELj16ELj2048ELj32EiifEEvT4_PKS1_S3_NS_24const_host_device_scalarIT5_EEPKT3_S3_PKS5_S9_S3_SB_S6_S9_S3_SB_S9_S3_PS5_PS7_21rocsparse_index_base_SE_SE_SE_bbb.num_agpr, 0
	.set _ZN9rocsparseL51csrgemm_numeric_fill_block_per_row_multipass_kernelILj512ELj16ELj2048ELj32EiifEEvT4_PKS1_S3_NS_24const_host_device_scalarIT5_EEPKT3_S3_PKS5_S9_S3_SB_S6_S9_S3_SB_S9_S3_PS5_PS7_21rocsparse_index_base_SE_SE_SE_bbb.numbered_sgpr, 58
	.set _ZN9rocsparseL51csrgemm_numeric_fill_block_per_row_multipass_kernelILj512ELj16ELj2048ELj32EiifEEvT4_PKS1_S3_NS_24const_host_device_scalarIT5_EEPKT3_S3_PKS5_S9_S3_SB_S6_S9_S3_SB_S9_S3_PS5_PS7_21rocsparse_index_base_SE_SE_SE_bbb.num_named_barrier, 0
	.set _ZN9rocsparseL51csrgemm_numeric_fill_block_per_row_multipass_kernelILj512ELj16ELj2048ELj32EiifEEvT4_PKS1_S3_NS_24const_host_device_scalarIT5_EEPKT3_S3_PKS5_S9_S3_SB_S6_S9_S3_SB_S9_S3_PS5_PS7_21rocsparse_index_base_SE_SE_SE_bbb.private_seg_size, 0
	.set _ZN9rocsparseL51csrgemm_numeric_fill_block_per_row_multipass_kernelILj512ELj16ELj2048ELj32EiifEEvT4_PKS1_S3_NS_24const_host_device_scalarIT5_EEPKT3_S3_PKS5_S9_S3_SB_S6_S9_S3_SB_S9_S3_PS5_PS7_21rocsparse_index_base_SE_SE_SE_bbb.uses_vcc, 1
	.set _ZN9rocsparseL51csrgemm_numeric_fill_block_per_row_multipass_kernelILj512ELj16ELj2048ELj32EiifEEvT4_PKS1_S3_NS_24const_host_device_scalarIT5_EEPKT3_S3_PKS5_S9_S3_SB_S6_S9_S3_SB_S9_S3_PS5_PS7_21rocsparse_index_base_SE_SE_SE_bbb.uses_flat_scratch, 0
	.set _ZN9rocsparseL51csrgemm_numeric_fill_block_per_row_multipass_kernelILj512ELj16ELj2048ELj32EiifEEvT4_PKS1_S3_NS_24const_host_device_scalarIT5_EEPKT3_S3_PKS5_S9_S3_SB_S6_S9_S3_SB_S9_S3_PS5_PS7_21rocsparse_index_base_SE_SE_SE_bbb.has_dyn_sized_stack, 0
	.set _ZN9rocsparseL51csrgemm_numeric_fill_block_per_row_multipass_kernelILj512ELj16ELj2048ELj32EiifEEvT4_PKS1_S3_NS_24const_host_device_scalarIT5_EEPKT3_S3_PKS5_S9_S3_SB_S6_S9_S3_SB_S9_S3_PS5_PS7_21rocsparse_index_base_SE_SE_SE_bbb.has_recursion, 0
	.set _ZN9rocsparseL51csrgemm_numeric_fill_block_per_row_multipass_kernelILj512ELj16ELj2048ELj32EiifEEvT4_PKS1_S3_NS_24const_host_device_scalarIT5_EEPKT3_S3_PKS5_S9_S3_SB_S6_S9_S3_SB_S9_S3_PS5_PS7_21rocsparse_index_base_SE_SE_SE_bbb.has_indirect_call, 0
	.section	.AMDGPU.csdata,"",@progbits
; Kernel info:
; codeLenInByte = 2644
; TotalNumSgprs: 60
; NumVgprs: 34
; ScratchSize: 0
; MemoryBound: 0
; FloatMode: 240
; IeeeMode: 1
; LDSByteSize: 10244 bytes/workgroup (compile time only)
; SGPRBlocks: 0
; VGPRBlocks: 2
; NumSGPRsForWavesPerEU: 60
; NumVGPRsForWavesPerEU: 34
; NamedBarCnt: 0
; Occupancy: 16
; WaveLimiterHint : 1
; COMPUTE_PGM_RSRC2:SCRATCH_EN: 0
; COMPUTE_PGM_RSRC2:USER_SGPR: 2
; COMPUTE_PGM_RSRC2:TRAP_HANDLER: 0
; COMPUTE_PGM_RSRC2:TGID_X_EN: 1
; COMPUTE_PGM_RSRC2:TGID_Y_EN: 0
; COMPUTE_PGM_RSRC2:TGID_Z_EN: 0
; COMPUTE_PGM_RSRC2:TIDIG_COMP_CNT: 0
	.section	.text._ZN9rocsparseL51csrgemm_numeric_fill_block_per_row_multipass_kernelILj512ELj16ELj2048ELj64EiifEEvT4_PKS1_S3_NS_24const_host_device_scalarIT5_EEPKT3_S3_PKS5_S9_S3_SB_S6_S9_S3_SB_S9_S3_PS5_PS7_21rocsparse_index_base_SE_SE_SE_bbb,"axG",@progbits,_ZN9rocsparseL51csrgemm_numeric_fill_block_per_row_multipass_kernelILj512ELj16ELj2048ELj64EiifEEvT4_PKS1_S3_NS_24const_host_device_scalarIT5_EEPKT3_S3_PKS5_S9_S3_SB_S6_S9_S3_SB_S9_S3_PS5_PS7_21rocsparse_index_base_SE_SE_SE_bbb,comdat
	.globl	_ZN9rocsparseL51csrgemm_numeric_fill_block_per_row_multipass_kernelILj512ELj16ELj2048ELj64EiifEEvT4_PKS1_S3_NS_24const_host_device_scalarIT5_EEPKT3_S3_PKS5_S9_S3_SB_S6_S9_S3_SB_S9_S3_PS5_PS7_21rocsparse_index_base_SE_SE_SE_bbb ; -- Begin function _ZN9rocsparseL51csrgemm_numeric_fill_block_per_row_multipass_kernelILj512ELj16ELj2048ELj64EiifEEvT4_PKS1_S3_NS_24const_host_device_scalarIT5_EEPKT3_S3_PKS5_S9_S3_SB_S6_S9_S3_SB_S9_S3_PS5_PS7_21rocsparse_index_base_SE_SE_SE_bbb
	.p2align	8
	.type	_ZN9rocsparseL51csrgemm_numeric_fill_block_per_row_multipass_kernelILj512ELj16ELj2048ELj64EiifEEvT4_PKS1_S3_NS_24const_host_device_scalarIT5_EEPKT3_S3_PKS5_S9_S3_SB_S6_S9_S3_SB_S9_S3_PS5_PS7_21rocsparse_index_base_SE_SE_SE_bbb,@function
_ZN9rocsparseL51csrgemm_numeric_fill_block_per_row_multipass_kernelILj512ELj16ELj2048ELj64EiifEEvT4_PKS1_S3_NS_24const_host_device_scalarIT5_EEPKT3_S3_PKS5_S9_S3_SB_S6_S9_S3_SB_S9_S3_PS5_PS7_21rocsparse_index_base_SE_SE_SE_bbb: ; @_ZN9rocsparseL51csrgemm_numeric_fill_block_per_row_multipass_kernelILj512ELj16ELj2048ELj64EiifEEvT4_PKS1_S3_NS_24const_host_device_scalarIT5_EEPKT3_S3_PKS5_S9_S3_SB_S6_S9_S3_SB_S9_S3_PS5_PS7_21rocsparse_index_base_SE_SE_SE_bbb
; %bb.0:
	s_clause 0x4
	s_load_b32 s11, s[0:1], 0xa0
	s_load_b64 s[8:9], s[0:1], 0x18
	s_load_b128 s[4:7], s[0:1], 0x8
	s_load_b128 s[28:31], s[0:1], 0x90
	s_load_b64 s[2:3], s[0:1], 0x50
	s_wait_kmcnt 0x0
	s_and_b32 s10, 1, s11
	s_bitcmp1_b32 s11, 16
	s_cselect_b32 s12, -1, 0
	s_cmp_eq_u32 s10, 1
	s_cselect_b32 s10, -1, 0
	s_delay_alu instid0(SALU_CYCLE_1) | instskip(SKIP_2) | instid1(SALU_CYCLE_1)
	s_and_b32 s13, s10, exec_lo
	s_cselect_b32 s33, s8, 0
	s_xor_b32 s13, s10, -1
	s_or_b32 s13, s12, s13
	s_delay_alu instid0(SALU_CYCLE_1)
	s_and_b32 vcc_lo, exec_lo, s13
	s_cbranch_vccnz .LBB19_2
; %bb.1:
	s_load_b32 s33, s[8:9], 0x0
.LBB19_2:
	s_bitcmp1_b32 s11, 8
	s_cselect_b32 s40, -1, 0
	s_wait_xcnt 0x0
	s_and_b32 s8, s40, exec_lo
	s_cselect_b32 s41, s2, 0
	s_xor_b32 s8, s40, -1
	s_delay_alu instid0(SALU_CYCLE_1) | instskip(NEXT) | instid1(SALU_CYCLE_1)
	s_or_b32 s8, s12, s8
	s_and_b32 vcc_lo, exec_lo, s8
	s_cbranch_vccnz .LBB19_4
; %bb.3:
	s_load_b32 s41, s[2:3], 0x0
.LBB19_4:
	s_wait_xcnt 0x0
	s_load_b32 s2, s[4:5], 0x0
	s_bfe_u32 s3, ttmp6, 0x4000c
	s_wait_xcnt 0x0
	s_and_b32 s4, ttmp6, 15
	s_add_co_i32 s3, s3, 1
	s_getreg_b32 s5, hwreg(HW_REG_IB_STS2, 6, 4)
	s_mul_i32 s3, ttmp9, s3
	s_mov_b32 s42, 0
	s_add_co_i32 s4, s4, s3
	s_cmp_eq_u32 s5, 0
	s_cselect_b32 s3, ttmp9, s4
	s_and_not1_b32 vcc_lo, exec_lo, s10
	s_wait_kmcnt 0x0
	s_add_co_i32 s4, s2, s3
	s_load_b64 s[2:3], s[0:1], 0x20
	s_load_b32 s8, s[6:7], s4 offset:0x0 scale_offset
	s_wait_xcnt 0x0
	s_mov_b32 s7, 0
	s_cbranch_vccz .LBB19_7
; %bb.5:
	s_and_not1_b32 vcc_lo, exec_lo, s10
	s_cbranch_vccz .LBB19_8
.LBB19_6:
	s_load_b32 s43, s[0:1], 0x0
	s_wait_kmcnt 0x0
	s_cmp_lt_i32 s43, 1
	s_cbranch_scc0 .LBB19_9
	s_branch .LBB19_62
.LBB19_7:
	s_wait_kmcnt 0x0
	s_ashr_i32 s9, s8, 31
	s_delay_alu instid0(SALU_CYCLE_1) | instskip(NEXT) | instid1(SALU_CYCLE_1)
	s_lshl_b64 s[4:5], s[8:9], 2
	s_add_nc_u64 s[4:5], s[2:3], s[4:5]
	s_load_b32 s4, s[4:5], 0x0
	s_wait_kmcnt 0x0
	s_sub_co_i32 s7, s4, s28
	s_and_not1_b32 vcc_lo, exec_lo, s10
	s_cbranch_vccnz .LBB19_6
.LBB19_8:
	s_wait_kmcnt 0x0
	s_ashr_i32 s9, s8, 31
	s_delay_alu instid0(SALU_CYCLE_1) | instskip(NEXT) | instid1(SALU_CYCLE_1)
	s_lshl_b64 s[4:5], s[8:9], 2
	s_add_nc_u64 s[2:3], s[2:3], s[4:5]
	s_load_b32 s2, s[2:3], 0x4
	s_wait_kmcnt 0x0
	s_sub_co_i32 s42, s2, s28
	s_load_b32 s43, s[0:1], 0x0
	s_wait_kmcnt 0x0
	s_cmp_lt_i32 s43, 1
	s_cbranch_scc1 .LBB19_62
.LBB19_9:
	s_clause 0x3
	s_load_b256 s[12:19], s[0:1], 0x58
	s_load_b128 s[36:39], s[0:1], 0x80
	s_load_b256 s[20:27], s[0:1], 0x28
	s_load_b64 s[34:35], s[0:1], 0x48
	v_mbcnt_lo_u32_b32 v2, -1, 0
	s_ashr_i32 s9, s8, 31
	v_dual_lshrrev_b32 v1, 4, v0 :: v_dual_bitop2_b32 v3, 15, v0 bitop3:0x40
	s_lshl_b64 s[44:45], s[8:9], 2
	s_delay_alu instid0(VALU_DEP_2) | instskip(SKIP_1) | instid1(VALU_DEP_3)
	v_xor_b32_e32 v7, 1, v2
	v_dual_mov_b32 v9, 0 :: v_dual_bitop2_b32 v4, 8, v2 bitop3:0x14
	v_dual_add_nc_u32 v10, s7, v1 :: v_dual_bitop2_b32 v11, 28, v1 bitop3:0x40
	s_wait_xcnt 0x0
	v_cmp_eq_u32_e64 s0, 0, v0
	v_subrev_nc_u32_e32 v8, s31, v0
	v_cmp_eq_u32_e64 s1, 0x1ff, v0
	v_cmp_gt_i32_e32 vcc_lo, s42, v10
	v_cmp_gt_u32_e64 s2, 64, v0
	v_cmp_gt_u32_e64 s3, 0x80, v0
	s_wait_kmcnt 0x0
	s_add_nc_u64 s[8:9], s[18:19], s[44:45]
	v_cmp_gt_u32_e64 s4, 0xc0, v0
	s_load_b32 s9, s[8:9], 0x0
	s_wait_xcnt 0x0
	v_cmp_gt_i32_e64 s8, 32, v4
	v_xor_b32_e32 v5, 4, v2
	v_cmp_gt_u32_e64 s5, 0x100, v0
	v_cmp_gt_u32_e64 s6, 0x140, v0
	v_cmp_eq_u32_e64 s7, 15, v3
	v_cndmask_b32_e64 v1, v2, v4, s8
	v_cmp_gt_i32_e64 s8, 32, v5
	v_xor_b32_e32 v6, 2, v2
	v_or_b32_e32 v16, 0xfffffe00, v0
	v_dual_mov_b32 v21, 0x800 :: v_dual_mov_b32 v20, 0
	s_delay_alu instid0(VALU_DEP_4) | instskip(NEXT) | instid1(VALU_DEP_4)
	v_cndmask_b32_e64 v4, v2, v5, s8
	v_cmp_gt_i32_e64 s8, 32, v6
	v_dual_mov_b32 v19, 1 :: v_dual_bitop2_b32 v12, 31, v2 bitop3:0x14
	s_add_nc_u64 s[18:19], s[12:13], s[44:45]
	v_dual_lshlrev_b32 v13, 2, v4 :: v_dual_cndmask_b32 v5, v2, v6, s8
	v_cmp_gt_i32_e64 s8, 32, v7
	s_wait_kmcnt 0x0
	s_sub_co_i32 s11, s9, s30
	v_cmp_gt_u32_e64 s9, 0x1c0, v0
	v_dual_mov_b32 v18, s11 :: v_dual_lshlrev_b32 v17, 2, v0
	v_cndmask_b32_e64 v6, v2, v7, s8
	v_lshrrev_b32_e64 v2, v12, -1
	v_lshlrev_b32_e32 v12, 2, v1
	v_lshlrev_b32_e32 v14, 2, v5
	v_cmp_gt_u32_e64 s8, 0x180, v0
	v_lshlrev_b32_e32 v15, 2, v6
	s_and_b32 s13, s10, vcc_lo
	s_branch .LBB19_11
.LBB19_10:                              ;   in Loop: Header=BB19_11 Depth=1
	s_or_b32 exec_lo, exec_lo, s10
	ds_load_b32 v20, v9 offset:10240
	s_wait_dscnt 0x0
	s_barrier_signal -1
	s_barrier_wait -1
	v_cmp_le_i32_e32 vcc_lo, s43, v20
	v_add_nc_u32_e32 v21, 0x800, v20
	s_cbranch_vccnz .LBB19_62
.LBB19_11:                              ; =>This Loop Header: Depth=1
                                        ;     Child Loop BB19_12 Depth 2
                                        ;     Child Loop BB19_18 Depth 2
                                        ;       Child Loop BB19_24 Depth 3
                                        ;     Child Loop BB19_41 Depth 2
                                        ;     Child Loop BB19_53 Depth 2
	;; [unrolled: 1-line block ×3, first 2 shown]
	v_dual_mov_b32 v0, v17 :: v_dual_mov_b32 v1, v16
	s_mov_b32 s10, 0
.LBB19_12:                              ;   Parent Loop BB19_11 Depth=1
                                        ; =>  This Inner Loop Header: Depth=2
	ds_store_b8 v1, v9 offset:8704
	v_add_nc_u32_e32 v1, 0x200, v1
	ds_store_b32 v0, v9
	v_add_nc_u32_e32 v0, 0x800, v0
	v_cmp_lt_u32_e32 vcc_lo, 0x5ff, v1
	s_or_b32 s10, vcc_lo, s10
	s_delay_alu instid0(SALU_CYCLE_1)
	s_and_not1_b32 exec_lo, exec_lo, s10
	s_cbranch_execnz .LBB19_12
; %bb.13:                               ;   in Loop: Header=BB19_11 Depth=1
	s_or_b32 exec_lo, exec_lo, s10
	s_and_saveexec_b32 s10, s0
; %bb.14:                               ;   in Loop: Header=BB19_11 Depth=1
	v_mov_b32_e32 v0, s43
	ds_store_b32 v9, v0 offset:10240
; %bb.15:                               ;   in Loop: Header=BB19_11 Depth=1
	s_or_b32 exec_lo, exec_lo, s10
	v_mov_b32_e32 v22, s43
	s_wait_dscnt 0x0
	s_barrier_signal -1
	s_barrier_wait -1
	s_and_saveexec_b32 s30, s13
	s_cbranch_execz .LBB19_37
; %bb.16:                               ;   in Loop: Header=BB19_11 Depth=1
	v_cmp_ne_u32_e64 s10, 0, v20
	v_dual_mov_b32 v22, s43 :: v_dual_mov_b32 v0, v10
	s_mov_b32 s44, 0
	s_branch .LBB19_18
.LBB19_17:                              ;   in Loop: Header=BB19_18 Depth=2
	s_wait_xcnt 0x0
	s_or_b32 exec_lo, exec_lo, s11
	v_add_nc_u32_e32 v0, 32, v0
	s_delay_alu instid0(VALU_DEP_1) | instskip(SKIP_1) | instid1(SALU_CYCLE_1)
	v_cmp_le_i32_e32 vcc_lo, s42, v0
	s_or_b32 s44, vcc_lo, s44
	s_and_not1_b32 exec_lo, exec_lo, s44
	s_cbranch_execz .LBB19_36
.LBB19_18:                              ;   Parent Loop BB19_11 Depth=1
                                        ; =>  This Loop Header: Depth=2
                                        ;       Child Loop BB19_24 Depth 3
	s_clause 0x1
	global_load_b32 v4, v0, s[20:21] scale_offset
	global_load_b32 v24, v0, s[22:23] scale_offset
	s_and_b32 vcc_lo, exec_lo, s10
	s_wait_loadcnt_dscnt 0x100
	v_subrev_nc_u32_e32 v6, s28, v4
	s_delay_alu instid0(VALU_DEP_1) | instskip(NEXT) | instid1(VALU_DEP_1)
	v_dual_ashrrev_i32 v1, 31, v0 :: v_dual_ashrrev_i32 v7, 31, v6
	v_lshl_add_u64 v[4:5], v[0:1], 2, s[38:39]
	s_cbranch_vccz .LBB19_35
; %bb.19:                               ;   in Loop: Header=BB19_18 Depth=2
	global_load_b32 v1, v[4:5], off
	s_cbranch_execnz .LBB19_21
.LBB19_20:                              ;   in Loop: Header=BB19_18 Depth=2
	s_wait_loadcnt 0x0
	global_load_b32 v1, v6, s[24:25] scale_offset
	s_wait_loadcnt 0x0
	v_subrev_nc_u32_e32 v1, s29, v1
.LBB19_21:                              ;   in Loop: Header=BB19_18 Depth=2
	s_wait_xcnt 0x0
	v_lshl_add_u64 v[6:7], v[6:7], 2, s[24:25]
	s_wait_loadcnt 0x0
	s_delay_alu instid0(VALU_DEP_2)
	v_add_nc_u32_e32 v1, v1, v3
	s_mov_b32 s45, exec_lo
	global_load_b32 v6, v[6:7], off offset:4
	s_wait_loadcnt 0x0
	v_subrev_nc_u32_e32 v23, s29, v6
	s_wait_xcnt 0x0
	s_delay_alu instid0(VALU_DEP_1)
	v_cmpx_lt_i32_e64 v1, v23
	s_cbranch_execz .LBB19_33
; %bb.22:                               ;   in Loop: Header=BB19_18 Depth=2
	v_dual_mul_f32 v24, s33, v24 :: v_dual_mov_b32 v7, v1
	s_mov_b32 s47, 0
                                        ; implicit-def: $sgpr46
                                        ; implicit-def: $sgpr48
	s_branch .LBB19_24
.LBB19_23:                              ;   in Loop: Header=BB19_24 Depth=3
	s_or_b32 exec_lo, exec_lo, s49
	s_delay_alu instid0(SALU_CYCLE_1) | instskip(NEXT) | instid1(SALU_CYCLE_1)
	s_and_b32 s11, exec_lo, s12
	s_or_b32 s47, s11, s47
	s_and_not1_b32 s11, s46, exec_lo
	s_and_b32 s12, s48, exec_lo
	s_delay_alu instid0(SALU_CYCLE_1)
	s_or_b32 s46, s11, s12
	s_and_not1_b32 exec_lo, exec_lo, s47
	s_cbranch_execz .LBB19_30
.LBB19_24:                              ;   Parent Loop BB19_11 Depth=1
                                        ;     Parent Loop BB19_18 Depth=2
                                        ; =>    This Inner Loop Header: Depth=3
	s_delay_alu instid0(VALU_DEP_1) | instskip(SKIP_3) | instid1(VALU_DEP_1)
	v_mov_b32_e32 v6, v7
	global_load_b32 v7, v7, s[26:27] scale_offset
	s_wait_loadcnt 0x0
	v_subrev_nc_u32_e32 v25, s29, v7
	v_cmp_lt_i32_e64 s11, v25, v20
	v_cmp_ge_i32_e64 s12, v25, v21
	v_cmp_lt_i32_e32 vcc_lo, v25, v21
	s_or_b32 s12, s11, s12
	s_mov_b32 s11, 0
	s_wait_xcnt 0x0
	s_and_saveexec_b32 s49, s12
	s_delay_alu instid0(SALU_CYCLE_1)
	s_xor_b32 s12, exec_lo, s49
; %bb.25:                               ;   in Loop: Header=BB19_24 Depth=3
	s_and_b32 s11, vcc_lo, exec_lo
; %bb.26:                               ;   in Loop: Header=BB19_24 Depth=3
	s_and_not1_saveexec_b32 s12, s12
	s_cbranch_execz .LBB19_28
; %bb.27:                               ;   in Loop: Header=BB19_24 Depth=3
	v_ashrrev_i32_e32 v7, 31, v6
	s_or_b32 s11, s11, exec_lo
	s_delay_alu instid0(VALU_DEP_1) | instskip(SKIP_3) | instid1(VALU_DEP_1)
	v_lshl_add_u64 v[26:27], v[6:7], 2, s[34:35]
	global_load_b32 v7, v[26:27], off
	s_wait_xcnt 0x0
	v_sub_nc_u32_e32 v26, v25, v20
	v_lshlrev_b32_e32 v27, 2, v26
	ds_store_b8 v26, v19 offset:8192
	s_wait_loadcnt 0x0
	v_mul_f32_e32 v7, v24, v7
	ds_add_f32 v27, v7
.LBB19_28:                              ;   in Loop: Header=BB19_24 Depth=3
	s_or_b32 exec_lo, exec_lo, s12
	s_mov_b32 s12, -1
	s_or_b32 s48, s48, exec_lo
                                        ; implicit-def: $vgpr7
	s_and_saveexec_b32 s49, s11
	s_cbranch_execz .LBB19_23
; %bb.29:                               ;   in Loop: Header=BB19_24 Depth=3
	v_add_nc_u32_e32 v7, 16, v6
	s_and_not1_b32 s48, s48, exec_lo
	s_delay_alu instid0(VALU_DEP_1)
	v_cmp_ge_i32_e32 vcc_lo, v7, v23
	s_or_not1_b32 s12, vcc_lo, exec_lo
	s_branch .LBB19_23
.LBB19_30:                              ;   in Loop: Header=BB19_18 Depth=2
	s_or_b32 exec_lo, exec_lo, s47
	s_and_saveexec_b32 s11, s46
	s_delay_alu instid0(SALU_CYCLE_1)
	s_xor_b32 s11, exec_lo, s11
; %bb.31:                               ;   in Loop: Header=BB19_18 Depth=2
	v_dual_mov_b32 v1, v6 :: v_dual_min_i32 v22, v25, v22
; %bb.32:                               ;   in Loop: Header=BB19_18 Depth=2
	s_or_b32 exec_lo, exec_lo, s11
.LBB19_33:                              ;   in Loop: Header=BB19_18 Depth=2
	s_delay_alu instid0(SALU_CYCLE_1)
	s_or_b32 exec_lo, exec_lo, s45
	ds_bpermute_b32 v6, v12, v1
	s_wait_dscnt 0x0
	v_min_i32_e32 v1, v6, v1
	ds_bpermute_b32 v6, v13, v1
	s_wait_dscnt 0x0
	v_min_i32_e32 v1, v6, v1
	;; [unrolled: 3-line block ×3, first 2 shown]
	ds_bpermute_b32 v6, v15, v1
	s_and_saveexec_b32 s11, s7
	s_cbranch_execz .LBB19_17
; %bb.34:                               ;   in Loop: Header=BB19_18 Depth=2
	s_wait_dscnt 0x0
	v_min_i32_e32 v1, v6, v1
	global_store_b32 v[4:5], v1, off
	s_branch .LBB19_17
.LBB19_35:                              ;   in Loop: Header=BB19_18 Depth=2
                                        ; implicit-def: $vgpr1
	s_branch .LBB19_20
.LBB19_36:                              ;   in Loop: Header=BB19_11 Depth=1
	s_or_b32 exec_lo, exec_lo, s44
.LBB19_37:                              ;   in Loop: Header=BB19_11 Depth=1
	s_delay_alu instid0(SALU_CYCLE_1) | instskip(NEXT) | instid1(SALU_CYCLE_1)
	s_or_b32 exec_lo, exec_lo, s30
	s_and_not1_b32 vcc_lo, exec_lo, s40
	s_cbranch_vccnz .LBB19_51
; %bb.38:                               ;   in Loop: Header=BB19_11 Depth=1
	s_load_b64 s[10:11], s[18:19], 0x0
	s_mov_b32 s12, exec_lo
	s_wait_kmcnt 0x0
	v_add_nc_u32_e32 v0, s10, v8
	s_sub_co_i32 s30, s11, s31
	s_delay_alu instid0(VALU_DEP_1) | instid1(SALU_CYCLE_1)
	v_cmpx_gt_i32_e64 s30, v0
	s_cbranch_execz .LBB19_50
; %bb.39:                               ;   in Loop: Header=BB19_11 Depth=1
	s_mov_b32 s44, 0
                                        ; implicit-def: $sgpr45
                                        ; implicit-def: $sgpr46
	s_branch .LBB19_41
.LBB19_40:                              ;   in Loop: Header=BB19_41 Depth=2
	s_or_b32 exec_lo, exec_lo, s47
	s_delay_alu instid0(SALU_CYCLE_1) | instskip(NEXT) | instid1(SALU_CYCLE_1)
	s_and_b32 s10, exec_lo, s11
	s_or_b32 s44, s10, s44
	s_and_not1_b32 s10, s45, exec_lo
	s_and_b32 s11, s46, exec_lo
	s_delay_alu instid0(SALU_CYCLE_1)
	s_or_b32 s45, s10, s11
	s_and_not1_b32 exec_lo, exec_lo, s44
	s_cbranch_execz .LBB19_47
.LBB19_41:                              ;   Parent Loop BB19_11 Depth=1
                                        ; =>  This Inner Loop Header: Depth=2
	global_load_b32 v1, v0, s[14:15] scale_offset
	s_wait_loadcnt 0x0
	v_subrev_nc_u32_e32 v4, s31, v1
	s_delay_alu instid0(VALU_DEP_1)
	v_cmp_lt_i32_e64 s10, v4, v20
	v_cmp_ge_i32_e64 s11, v4, v21
	v_cmp_lt_i32_e32 vcc_lo, v4, v21
	s_or_b32 s11, s10, s11
	s_mov_b32 s10, 0
	s_wait_xcnt 0x0
	s_and_saveexec_b32 s47, s11
	s_delay_alu instid0(SALU_CYCLE_1)
	s_xor_b32 s11, exec_lo, s47
; %bb.42:                               ;   in Loop: Header=BB19_41 Depth=2
	s_and_b32 s10, vcc_lo, exec_lo
; %bb.43:                               ;   in Loop: Header=BB19_41 Depth=2
	s_or_saveexec_b32 s11, s11
	v_ashrrev_i32_e32 v1, 31, v0
	s_xor_b32 exec_lo, exec_lo, s11
	s_cbranch_execz .LBB19_45
; %bb.44:                               ;   in Loop: Header=BB19_41 Depth=2
	s_wait_dscnt 0x0
	s_delay_alu instid0(VALU_DEP_1)
	v_lshl_add_u64 v[6:7], v[0:1], 2, s[16:17]
	s_or_b32 s10, s10, exec_lo
	global_load_b32 v1, v[6:7], off
	s_wait_loadcnt 0x0
	v_dual_sub_nc_u32 v5, v4, v20 :: v_dual_mul_f32 v1, s41, v1
	s_wait_xcnt 0x0
	s_delay_alu instid0(VALU_DEP_1)
	v_lshlrev_b32_e32 v6, 2, v5
	ds_store_b8 v5, v19 offset:8192
	ds_add_f32 v6, v1
.LBB19_45:                              ;   in Loop: Header=BB19_41 Depth=2
	s_or_b32 exec_lo, exec_lo, s11
	s_mov_b32 s11, -1
	s_or_b32 s46, s46, exec_lo
	s_and_saveexec_b32 s47, s10
	s_cbranch_execz .LBB19_40
; %bb.46:                               ;   in Loop: Header=BB19_41 Depth=2
	v_add_nc_u32_e32 v0, 0x200, v0
	s_and_not1_b32 s46, s46, exec_lo
	s_delay_alu instid0(VALU_DEP_1)
	v_cmp_le_i32_e32 vcc_lo, s30, v0
	s_or_not1_b32 s11, vcc_lo, exec_lo
	s_branch .LBB19_40
.LBB19_47:                              ;   in Loop: Header=BB19_11 Depth=1
	s_or_b32 exec_lo, exec_lo, s44
	s_and_saveexec_b32 s10, s45
	s_delay_alu instid0(SALU_CYCLE_1)
	s_xor_b32 s10, exec_lo, s10
; %bb.48:                               ;   in Loop: Header=BB19_11 Depth=1
	v_min_i32_e32 v22, v4, v22
; %bb.49:                               ;   in Loop: Header=BB19_11 Depth=1
	s_or_b32 exec_lo, exec_lo, s10
.LBB19_50:                              ;   in Loop: Header=BB19_11 Depth=1
	s_delay_alu instid0(SALU_CYCLE_1)
	s_or_b32 exec_lo, exec_lo, s12
.LBB19_51:                              ;   in Loop: Header=BB19_11 Depth=1
	ds_bpermute_b32 v0, v12, v22
	s_wait_dscnt 0x0
	v_min_i32_e32 v0, v0, v22
	ds_bpermute_b32 v1, v13, v0
	s_wait_dscnt 0x0
	v_min_i32_e32 v0, v1, v0
	;; [unrolled: 3-line block ×3, first 2 shown]
	ds_bpermute_b32 v1, v15, v0
	s_and_saveexec_b32 s10, s7
	s_cbranch_execz .LBB19_56
; %bb.52:                               ;   in Loop: Header=BB19_11 Depth=1
	s_wait_dscnt 0x0
	v_min_i32_e32 v0, v1, v0
	s_mov_b32 s12, exec_lo
	s_brev_b32 s11, -2
.LBB19_53:                              ;   Parent Loop BB19_11 Depth=1
                                        ; =>  This Inner Loop Header: Depth=2
	s_ctz_i32_b32 s30, s12
	s_delay_alu instid0(VALU_DEP_1) | instid1(SALU_CYCLE_1)
	v_readlane_b32 s44, v0, s30
	s_lshl_b32 s30, 1, s30
	s_delay_alu instid0(SALU_CYCLE_1)
	s_and_not1_b32 s12, s12, s30
	s_min_i32 s11, s11, s44
	s_cmp_lg_u32 s12, 0
	s_cbranch_scc1 .LBB19_53
; %bb.54:                               ;   in Loop: Header=BB19_11 Depth=1
	v_mbcnt_lo_u32_b32 v0, exec_lo, 0
	s_mov_b32 s12, exec_lo
	s_delay_alu instid0(VALU_DEP_1)
	v_cmpx_eq_u32_e32 0, v0
	s_xor_b32 s12, exec_lo, s12
; %bb.55:                               ;   in Loop: Header=BB19_11 Depth=1
	v_mov_b32_e32 v0, s11
	ds_min_i32 v9, v0 offset:10240
.LBB19_56:                              ;   in Loop: Header=BB19_11 Depth=1
	s_or_b32 exec_lo, exec_lo, s10
	s_wait_dscnt 0x0
	v_dual_mov_b32 v0, v17 :: v_dual_mov_b32 v1, v16
	s_mov_b32 s10, 0
	s_wait_storecnt 0x0
	s_barrier_signal -1
	s_barrier_wait -1
	s_branch .LBB19_58
.LBB19_57:                              ;   in Loop: Header=BB19_58 Depth=2
	s_or_b32 exec_lo, exec_lo, s11
	s_wait_storecnt_dscnt 0x0
	s_barrier_signal -1
	s_barrier_wait -1
	ds_load_b32 v4, v9 offset:28
	v_add_nc_u32_e32 v1, 0x200, v1
	v_add_nc_u32_e32 v0, 0x800, v0
	s_delay_alu instid0(VALU_DEP_2)
	v_cmp_lt_u32_e32 vcc_lo, 0x5ff, v1
	s_or_b32 s10, vcc_lo, s10
	s_wait_dscnt 0x0
	v_add_nc_u32_e32 v18, v4, v18
	s_and_not1_b32 exec_lo, exec_lo, s10
	s_cbranch_execz .LBB19_10
.LBB19_58:                              ;   Parent Loop BB19_11 Depth=1
                                        ; =>  This Inner Loop Header: Depth=2
	ds_load_u8 v5, v1 offset:8704
	ds_load_b32 v4, v0
	s_wait_dscnt 0x0
	s_barrier_signal -1
	s_barrier_wait -1
	v_cmp_ne_u16_e32 vcc_lo, 0, v5
	s_bcnt1_i32_b32 s11, vcc_lo
	s_delay_alu instid0(SALU_CYCLE_1)
	v_mov_b32_e32 v6, s11
	s_mov_b32 s11, exec_lo
	ds_store_b32 v11, v6
	s_wait_dscnt 0x0
	s_barrier_signal -1
	s_barrier_wait -1
	ds_load_b128 v[20:23], v9
	ds_load_b96 v[24:26], v9 offset:16
	v_and_b32_e32 v6, vcc_lo, v2
	s_wait_dscnt 0x1
	v_cndmask_b32_e64 v7, v20, 0, s2
	v_cndmask_b32_e64 v20, v21, 0, s3
	;; [unrolled: 1-line block ×3, first 2 shown]
	s_wait_dscnt 0x0
	v_cndmask_b32_e64 v22, v24, 0, s6
	v_bcnt_u32_b32 v6, v6, v7
	v_cndmask_b32_e64 v7, v23, 0, s5
	s_delay_alu instid0(VALU_DEP_2) | instskip(SKIP_2) | instid1(VALU_DEP_3)
	v_add3_u32 v6, v6, v20, v21
	v_cndmask_b32_e64 v20, v25, 0, s8
	v_cndmask_b32_e64 v21, v26, 0, s9
	v_add3_u32 v6, v6, v7, v22
	v_and_b32_e32 v7, 1, v5
	s_delay_alu instid0(VALU_DEP_2) | instskip(NEXT) | instid1(VALU_DEP_2)
	v_add3_u32 v5, v6, v20, v21
	v_cmpx_eq_u32_e32 1, v7
	s_cbranch_execz .LBB19_60
; %bb.59:                               ;   in Loop: Header=BB19_58 Depth=2
	s_delay_alu instid0(VALU_DEP_2)
	v_add_nc_u32_e32 v6, v5, v18
	global_store_b32 v6, v4, s[36:37] offset:-4 scale_offset
.LBB19_60:                              ;   in Loop: Header=BB19_58 Depth=2
	s_wait_xcnt 0x0
	s_or_b32 exec_lo, exec_lo, s11
	s_and_saveexec_b32 s11, s1
	s_cbranch_execz .LBB19_57
; %bb.61:                               ;   in Loop: Header=BB19_58 Depth=2
	ds_store_b32 v9, v5 offset:28
	s_branch .LBB19_57
.LBB19_62:
	s_endpgm
	.section	.rodata,"a",@progbits
	.p2align	6, 0x0
	.amdhsa_kernel _ZN9rocsparseL51csrgemm_numeric_fill_block_per_row_multipass_kernelILj512ELj16ELj2048ELj64EiifEEvT4_PKS1_S3_NS_24const_host_device_scalarIT5_EEPKT3_S3_PKS5_S9_S3_SB_S6_S9_S3_SB_S9_S3_PS5_PS7_21rocsparse_index_base_SE_SE_SE_bbb
		.amdhsa_group_segment_fixed_size 10244
		.amdhsa_private_segment_fixed_size 0
		.amdhsa_kernarg_size 164
		.amdhsa_user_sgpr_count 2
		.amdhsa_user_sgpr_dispatch_ptr 0
		.amdhsa_user_sgpr_queue_ptr 0
		.amdhsa_user_sgpr_kernarg_segment_ptr 1
		.amdhsa_user_sgpr_dispatch_id 0
		.amdhsa_user_sgpr_kernarg_preload_length 0
		.amdhsa_user_sgpr_kernarg_preload_offset 0
		.amdhsa_user_sgpr_private_segment_size 0
		.amdhsa_wavefront_size32 1
		.amdhsa_uses_dynamic_stack 0
		.amdhsa_enable_private_segment 0
		.amdhsa_system_sgpr_workgroup_id_x 1
		.amdhsa_system_sgpr_workgroup_id_y 0
		.amdhsa_system_sgpr_workgroup_id_z 0
		.amdhsa_system_sgpr_workgroup_info 0
		.amdhsa_system_vgpr_workitem_id 0
		.amdhsa_next_free_vgpr 28
		.amdhsa_next_free_sgpr 50
		.amdhsa_named_barrier_count 0
		.amdhsa_reserve_vcc 1
		.amdhsa_float_round_mode_32 0
		.amdhsa_float_round_mode_16_64 0
		.amdhsa_float_denorm_mode_32 3
		.amdhsa_float_denorm_mode_16_64 3
		.amdhsa_fp16_overflow 0
		.amdhsa_memory_ordered 1
		.amdhsa_forward_progress 1
		.amdhsa_inst_pref_size 19
		.amdhsa_round_robin_scheduling 0
		.amdhsa_exception_fp_ieee_invalid_op 0
		.amdhsa_exception_fp_denorm_src 0
		.amdhsa_exception_fp_ieee_div_zero 0
		.amdhsa_exception_fp_ieee_overflow 0
		.amdhsa_exception_fp_ieee_underflow 0
		.amdhsa_exception_fp_ieee_inexact 0
		.amdhsa_exception_int_div_zero 0
	.end_amdhsa_kernel
	.section	.text._ZN9rocsparseL51csrgemm_numeric_fill_block_per_row_multipass_kernelILj512ELj16ELj2048ELj64EiifEEvT4_PKS1_S3_NS_24const_host_device_scalarIT5_EEPKT3_S3_PKS5_S9_S3_SB_S6_S9_S3_SB_S9_S3_PS5_PS7_21rocsparse_index_base_SE_SE_SE_bbb,"axG",@progbits,_ZN9rocsparseL51csrgemm_numeric_fill_block_per_row_multipass_kernelILj512ELj16ELj2048ELj64EiifEEvT4_PKS1_S3_NS_24const_host_device_scalarIT5_EEPKT3_S3_PKS5_S9_S3_SB_S6_S9_S3_SB_S9_S3_PS5_PS7_21rocsparse_index_base_SE_SE_SE_bbb,comdat
.Lfunc_end19:
	.size	_ZN9rocsparseL51csrgemm_numeric_fill_block_per_row_multipass_kernelILj512ELj16ELj2048ELj64EiifEEvT4_PKS1_S3_NS_24const_host_device_scalarIT5_EEPKT3_S3_PKS5_S9_S3_SB_S6_S9_S3_SB_S9_S3_PS5_PS7_21rocsparse_index_base_SE_SE_SE_bbb, .Lfunc_end19-_ZN9rocsparseL51csrgemm_numeric_fill_block_per_row_multipass_kernelILj512ELj16ELj2048ELj64EiifEEvT4_PKS1_S3_NS_24const_host_device_scalarIT5_EEPKT3_S3_PKS5_S9_S3_SB_S6_S9_S3_SB_S9_S3_PS5_PS7_21rocsparse_index_base_SE_SE_SE_bbb
                                        ; -- End function
	.set _ZN9rocsparseL51csrgemm_numeric_fill_block_per_row_multipass_kernelILj512ELj16ELj2048ELj64EiifEEvT4_PKS1_S3_NS_24const_host_device_scalarIT5_EEPKT3_S3_PKS5_S9_S3_SB_S6_S9_S3_SB_S9_S3_PS5_PS7_21rocsparse_index_base_SE_SE_SE_bbb.num_vgpr, 28
	.set _ZN9rocsparseL51csrgemm_numeric_fill_block_per_row_multipass_kernelILj512ELj16ELj2048ELj64EiifEEvT4_PKS1_S3_NS_24const_host_device_scalarIT5_EEPKT3_S3_PKS5_S9_S3_SB_S6_S9_S3_SB_S9_S3_PS5_PS7_21rocsparse_index_base_SE_SE_SE_bbb.num_agpr, 0
	.set _ZN9rocsparseL51csrgemm_numeric_fill_block_per_row_multipass_kernelILj512ELj16ELj2048ELj64EiifEEvT4_PKS1_S3_NS_24const_host_device_scalarIT5_EEPKT3_S3_PKS5_S9_S3_SB_S6_S9_S3_SB_S9_S3_PS5_PS7_21rocsparse_index_base_SE_SE_SE_bbb.numbered_sgpr, 50
	.set _ZN9rocsparseL51csrgemm_numeric_fill_block_per_row_multipass_kernelILj512ELj16ELj2048ELj64EiifEEvT4_PKS1_S3_NS_24const_host_device_scalarIT5_EEPKT3_S3_PKS5_S9_S3_SB_S6_S9_S3_SB_S9_S3_PS5_PS7_21rocsparse_index_base_SE_SE_SE_bbb.num_named_barrier, 0
	.set _ZN9rocsparseL51csrgemm_numeric_fill_block_per_row_multipass_kernelILj512ELj16ELj2048ELj64EiifEEvT4_PKS1_S3_NS_24const_host_device_scalarIT5_EEPKT3_S3_PKS5_S9_S3_SB_S6_S9_S3_SB_S9_S3_PS5_PS7_21rocsparse_index_base_SE_SE_SE_bbb.private_seg_size, 0
	.set _ZN9rocsparseL51csrgemm_numeric_fill_block_per_row_multipass_kernelILj512ELj16ELj2048ELj64EiifEEvT4_PKS1_S3_NS_24const_host_device_scalarIT5_EEPKT3_S3_PKS5_S9_S3_SB_S6_S9_S3_SB_S9_S3_PS5_PS7_21rocsparse_index_base_SE_SE_SE_bbb.uses_vcc, 1
	.set _ZN9rocsparseL51csrgemm_numeric_fill_block_per_row_multipass_kernelILj512ELj16ELj2048ELj64EiifEEvT4_PKS1_S3_NS_24const_host_device_scalarIT5_EEPKT3_S3_PKS5_S9_S3_SB_S6_S9_S3_SB_S9_S3_PS5_PS7_21rocsparse_index_base_SE_SE_SE_bbb.uses_flat_scratch, 0
	.set _ZN9rocsparseL51csrgemm_numeric_fill_block_per_row_multipass_kernelILj512ELj16ELj2048ELj64EiifEEvT4_PKS1_S3_NS_24const_host_device_scalarIT5_EEPKT3_S3_PKS5_S9_S3_SB_S6_S9_S3_SB_S9_S3_PS5_PS7_21rocsparse_index_base_SE_SE_SE_bbb.has_dyn_sized_stack, 0
	.set _ZN9rocsparseL51csrgemm_numeric_fill_block_per_row_multipass_kernelILj512ELj16ELj2048ELj64EiifEEvT4_PKS1_S3_NS_24const_host_device_scalarIT5_EEPKT3_S3_PKS5_S9_S3_SB_S6_S9_S3_SB_S9_S3_PS5_PS7_21rocsparse_index_base_SE_SE_SE_bbb.has_recursion, 0
	.set _ZN9rocsparseL51csrgemm_numeric_fill_block_per_row_multipass_kernelILj512ELj16ELj2048ELj64EiifEEvT4_PKS1_S3_NS_24const_host_device_scalarIT5_EEPKT3_S3_PKS5_S9_S3_SB_S6_S9_S3_SB_S9_S3_PS5_PS7_21rocsparse_index_base_SE_SE_SE_bbb.has_indirect_call, 0
	.section	.AMDGPU.csdata,"",@progbits
; Kernel info:
; codeLenInByte = 2424
; TotalNumSgprs: 52
; NumVgprs: 28
; ScratchSize: 0
; MemoryBound: 0
; FloatMode: 240
; IeeeMode: 1
; LDSByteSize: 10244 bytes/workgroup (compile time only)
; SGPRBlocks: 0
; VGPRBlocks: 1
; NumSGPRsForWavesPerEU: 52
; NumVGPRsForWavesPerEU: 28
; NamedBarCnt: 0
; Occupancy: 16
; WaveLimiterHint : 1
; COMPUTE_PGM_RSRC2:SCRATCH_EN: 0
; COMPUTE_PGM_RSRC2:USER_SGPR: 2
; COMPUTE_PGM_RSRC2:TRAP_HANDLER: 0
; COMPUTE_PGM_RSRC2:TGID_X_EN: 1
; COMPUTE_PGM_RSRC2:TGID_Y_EN: 0
; COMPUTE_PGM_RSRC2:TGID_Z_EN: 0
; COMPUTE_PGM_RSRC2:TIDIG_COMP_CNT: 0
	.section	.text._ZN9rocsparseL38csrgemm_numeric_fill_wf_per_row_kernelILj256ELj8ELj16ELj137EiidEEvT4_S1_PKS1_S3_NS_24const_host_device_scalarIT5_EEPKT3_S3_PKS5_S9_S3_SB_S6_S9_S3_SB_S9_S3_PS5_21rocsparse_index_base_SD_SD_SD_bbb,"axG",@progbits,_ZN9rocsparseL38csrgemm_numeric_fill_wf_per_row_kernelILj256ELj8ELj16ELj137EiidEEvT4_S1_PKS1_S3_NS_24const_host_device_scalarIT5_EEPKT3_S3_PKS5_S9_S3_SB_S6_S9_S3_SB_S9_S3_PS5_21rocsparse_index_base_SD_SD_SD_bbb,comdat
	.globl	_ZN9rocsparseL38csrgemm_numeric_fill_wf_per_row_kernelILj256ELj8ELj16ELj137EiidEEvT4_S1_PKS1_S3_NS_24const_host_device_scalarIT5_EEPKT3_S3_PKS5_S9_S3_SB_S6_S9_S3_SB_S9_S3_PS5_21rocsparse_index_base_SD_SD_SD_bbb ; -- Begin function _ZN9rocsparseL38csrgemm_numeric_fill_wf_per_row_kernelILj256ELj8ELj16ELj137EiidEEvT4_S1_PKS1_S3_NS_24const_host_device_scalarIT5_EEPKT3_S3_PKS5_S9_S3_SB_S6_S9_S3_SB_S9_S3_PS5_21rocsparse_index_base_SD_SD_SD_bbb
	.p2align	8
	.type	_ZN9rocsparseL38csrgemm_numeric_fill_wf_per_row_kernelILj256ELj8ELj16ELj137EiidEEvT4_S1_PKS1_S3_NS_24const_host_device_scalarIT5_EEPKT3_S3_PKS5_S9_S3_SB_S6_S9_S3_SB_S9_S3_PS5_21rocsparse_index_base_SD_SD_SD_bbb,@function
_ZN9rocsparseL38csrgemm_numeric_fill_wf_per_row_kernelILj256ELj8ELj16ELj137EiidEEvT4_S1_PKS1_S3_NS_24const_host_device_scalarIT5_EEPKT3_S3_PKS5_S9_S3_SB_S6_S9_S3_SB_S9_S3_PS5_21rocsparse_index_base_SD_SD_SD_bbb: ; @_ZN9rocsparseL38csrgemm_numeric_fill_wf_per_row_kernelILj256ELj8ELj16ELj137EiidEEvT4_S1_PKS1_S3_NS_24const_host_device_scalarIT5_EEPKT3_S3_PKS5_S9_S3_SB_S6_S9_S3_SB_S9_S3_PS5_21rocsparse_index_base_SD_SD_SD_bbb
; %bb.0:
	s_clause 0x3
	s_load_b32 s18, s[0:1], 0x98
	s_load_b64 s[2:3], s[0:1], 0x18
	s_load_b128 s[4:7], s[0:1], 0x88
	s_load_b64 s[16:17], s[0:1], 0x50
	s_wait_kmcnt 0x0
	s_bitcmp1_b32 s18, 0
	s_cselect_b32 s36, -1, 0
	s_bitcmp1_b32 s18, 16
	s_cselect_b32 s19, -1, 0
	s_xor_b32 s8, s36, -1
	s_delay_alu instid0(SALU_CYCLE_1)
	s_or_b32 s10, s19, s8
	s_and_b32 s8, s36, exec_lo
	s_cselect_b32 s9, s3, 0
	s_cselect_b32 s8, s2, 0
	s_and_b32 vcc_lo, exec_lo, s10
	v_mov_b64_e32 v[4:5], s[8:9]
	s_cbranch_vccnz .LBB20_2
; %bb.1:
	v_mov_b32_e32 v1, 0
	flat_load_b64 v[4:5], v1, s[2:3]
.LBB20_2:
	s_wait_xcnt 0x0
	s_clause 0x4
	s_load_b64 s[2:3], s[0:1], 0x80
	s_load_b128 s[8:11], s[0:1], 0x60
	s_load_b128 s[12:15], s[0:1], 0x40
	;; [unrolled: 1-line block ×3, first 2 shown]
	s_load_b64 s[28:29], s[0:1], 0x28
	s_bitcmp1_b32 s18, 8
	s_cselect_b32 s33, -1, 0
	s_delay_alu instid0(SALU_CYCLE_1) | instskip(NEXT) | instid1(SALU_CYCLE_1)
	s_xor_b32 s18, s33, -1
	s_or_b32 s24, s19, s18
	s_and_b32 s18, s33, exec_lo
	s_cselect_b32 s19, s17, 0
	s_cselect_b32 s18, s16, 0
	s_and_b32 vcc_lo, exec_lo, s24
	v_mov_b64_e32 v[2:3], s[18:19]
	s_cbranch_vccnz .LBB20_4
; %bb.3:
	v_mov_b32_e32 v1, 0
	flat_load_b64 v[2:3], v1, s[16:17]
.LBB20_4:
	s_clause 0x4
	s_load_b64 s[24:25], s[0:1], 0x0
	s_load_b64 s[34:35], s[0:1], 0x20
	;; [unrolled: 1-line block ×4, first 2 shown]
	s_load_b128 s[16:19], s[0:1], 0x30
	v_dual_lshrrev_b32 v6, 3, v0 :: v_dual_bitop2_b32 v17, 7, v0 bitop3:0x40
	s_wait_xcnt 0x0
	s_mov_b32 s0, 0
	s_delay_alu instid0(VALU_DEP_1) | instskip(SKIP_1) | instid1(VALU_DEP_2)
	v_dual_lshlrev_b32 v0, 6, v6 :: v_dual_lshlrev_b32 v1, 2, v17
	v_dual_lshlrev_b32 v7, 3, v17 :: v_dual_bitop2_b32 v14, -8, v17 bitop3:0x54
	v_or3_b32 v12, v0, v1, 0x1000
	s_delay_alu instid0(VALU_DEP_2) | instskip(SKIP_1) | instid1(VALU_DEP_3)
	v_lshl_or_b32 v13, v6, 7, v7
	v_mov_b64_e32 v[0:1], 0
	v_dual_mov_b32 v10, v14 :: v_dual_mov_b32 v7, v12
	s_wait_kmcnt 0x0
	s_delay_alu instid0(VALU_DEP_3)
	v_dual_mov_b32 v8, v13 :: v_dual_mov_b32 v9, s25
.LBB20_5:                               ; =>This Inner Loop Header: Depth=1
	s_delay_alu instid0(VALU_DEP_2)
	v_add_co_u32 v10, s1, v10, 8
	s_xor_b32 s1, s1, -1
	ds_store_b32 v7, v9
	ds_store_b64 v8, v[0:1]
	v_dual_add_nc_u32 v8, 64, v8 :: v_dual_add_nc_u32 v7, 32, v7
	s_and_b32 s1, exec_lo, s1
	s_delay_alu instid0(SALU_CYCLE_1) | instskip(NEXT) | instid1(SALU_CYCLE_1)
	s_or_b32 s0, s1, s0
	s_and_not1_b32 exec_lo, exec_lo, s0
	s_cbranch_execnz .LBB20_5
; %bb.6:
	s_or_b32 exec_lo, exec_lo, s0
	s_bfe_u32 s0, ttmp6, 0x4000c
	s_and_b32 s1, ttmp6, 15
	s_add_co_i32 s0, s0, 1
	s_getreg_b32 s37, hwreg(HW_REG_IB_STS2, 6, 4)
	s_mul_i32 s0, ttmp9, s0
	s_wait_loadcnt_dscnt 0x0
	s_add_co_i32 s1, s1, s0
	s_cmp_eq_u32 s37, 0
	s_cselect_b32 s0, ttmp9, s1
	s_delay_alu instid0(SALU_CYCLE_1) | instskip(NEXT) | instid1(SALU_CYCLE_1)
	s_lshl_b32 s0, s0, 5
	v_and_or_b32 v0, 0x1fffffe0, s0, v6
	s_mov_b32 s0, exec_lo
	s_delay_alu instid0(VALU_DEP_1)
	v_cmpx_gt_i32_e64 s24, v0
	s_cbranch_execz .LBB20_46
; %bb.7:
	s_cmp_eq_u64 s[22:23], 0
	s_cbranch_scc1 .LBB20_9
; %bb.8:
	s_load_b32 s0, s[20:21], 0x0
	s_wait_kmcnt 0x0
	v_add_nc_u32_e32 v0, s0, v0
	global_load_b32 v0, v0, s[22:23] scale_offset
.LBB20_9:
	v_lshl_or_b32 v15, v6, 6, 0x1000
	s_wait_loadcnt 0x0
	v_dual_lshlrev_b32 v16, 7, v6 :: v_dual_ashrrev_i32 v1, 31, v0
	s_and_not1_b32 vcc_lo, exec_lo, s36
	s_cbranch_vccnz .LBB20_27
; %bb.10:
	s_delay_alu instid0(VALU_DEP_1)
	v_lshl_add_u64 v[6:7], v[0:1], 2, s[34:35]
	v_subrev_nc_u32_e32 v8, s4, v17
	s_mov_b32 s0, exec_lo
	global_load_b64 v[6:7], v[6:7], off
	s_wait_loadcnt 0x0
	v_subrev_nc_u32_e32 v18, s4, v7
	v_add_nc_u32_e32 v6, v6, v8
	s_delay_alu instid0(VALU_DEP_1)
	v_cmpx_lt_i32_e64 v6, v18
	s_cbranch_execz .LBB20_26
; %bb.11:
	s_mov_b32 s1, 0
	s_branch .LBB20_13
.LBB20_12:                              ;   in Loop: Header=BB20_13 Depth=1
	s_or_b32 exec_lo, exec_lo, s20
	v_add_nc_u32_e32 v6, 8, v6
	s_delay_alu instid0(VALU_DEP_1) | instskip(SKIP_1) | instid1(SALU_CYCLE_1)
	v_cmp_ge_i32_e32 vcc_lo, v6, v18
	s_or_b32 s1, vcc_lo, s1
	s_and_not1_b32 exec_lo, exec_lo, s1
	s_cbranch_execz .LBB20_26
.LBB20_13:                              ; =>This Loop Header: Depth=1
                                        ;     Child Loop BB20_17 Depth 2
                                        ;       Child Loop BB20_20 Depth 3
	global_load_b32 v7, v6, s[28:29] scale_offset
	s_mov_b32 s20, exec_lo
	s_wait_loadcnt 0x0
	v_subrev_nc_u32_e32 v8, s4, v7
	s_delay_alu instid0(VALU_DEP_1) | instskip(NEXT) | instid1(VALU_DEP_1)
	v_ashrrev_i32_e32 v9, 31, v8
	v_lshl_add_u64 v[8:9], v[8:9], 2, s[18:19]
	global_load_b64 v[10:11], v[8:9], off
	s_wait_loadcnt 0x0
	s_wait_xcnt 0x0
	v_cmpx_lt_i32_e64 v10, v11
	s_cbranch_execz .LBB20_12
; %bb.14:                               ;   in Loop: Header=BB20_13 Depth=1
	v_ashrrev_i32_e32 v7, 31, v6
	v_subrev_nc_u32_e32 v19, s5, v10
	s_mov_b32 s21, 0
	s_delay_alu instid0(VALU_DEP_2)
	v_lshl_add_u64 v[8:9], v[6:7], 3, s[16:17]
	v_subrev_nc_u32_e32 v7, s5, v11
	global_load_b64 v[8:9], v[8:9], off
	s_wait_loadcnt 0x0
	s_wait_xcnt 0x0
	v_mul_f64_e32 v[8:9], v[4:5], v[8:9]
	s_branch .LBB20_17
.LBB20_15:                              ;   in Loop: Header=BB20_17 Depth=2
	s_or_b32 exec_lo, exec_lo, s23
.LBB20_16:                              ;   in Loop: Header=BB20_17 Depth=2
	s_delay_alu instid0(SALU_CYCLE_1) | instskip(SKIP_4) | instid1(VALU_DEP_1)
	s_or_b32 exec_lo, exec_lo, s22
	s_wait_loadcnt 0x0
	v_mul_f64_e32 v[10:11], v[8:9], v[10:11]
	v_lshl_add_u32 v20, v20, 3, v16
	v_add_nc_u32_e32 v19, 1, v19
	v_cmp_ge_i32_e32 vcc_lo, v19, v7
	s_or_b32 s21, vcc_lo, s21
	ds_add_f64 v20, v[10:11]
	s_and_not1_b32 exec_lo, exec_lo, s21
	s_cbranch_execz .LBB20_12
.LBB20_17:                              ;   Parent Loop BB20_13 Depth=1
                                        ; =>  This Loop Header: Depth=2
                                        ;       Child Loop BB20_20 Depth 3
	s_clause 0x1
	global_load_b32 v20, v19, s[12:13] scale_offset
	global_load_b64 v[10:11], v19, s[14:15] scale_offset
	s_mov_b32 s22, exec_lo
	s_wait_loadcnt 0x1
	v_subrev_nc_u32_e32 v21, s5, v20
	s_delay_alu instid0(VALU_DEP_1) | instskip(NEXT) | instid1(VALU_DEP_1)
	v_lshl_add_u32 v20, v21, 3, v21
	v_and_b32_e32 v20, 15, v20
	s_delay_alu instid0(VALU_DEP_1)
	v_lshl_add_u32 v22, v20, 2, v15
	ds_load_b32 v23, v22
	s_wait_dscnt 0x0
	s_wait_xcnt 0x0
	v_cmpx_ne_u32_e64 v23, v21
	s_cbranch_execz .LBB20_16
; %bb.18:                               ;   in Loop: Header=BB20_17 Depth=2
	s_mov_b32 s23, 0
	s_branch .LBB20_20
.LBB20_19:                              ;   in Loop: Header=BB20_20 Depth=3
	s_or_b32 exec_lo, exec_lo, s35
	s_delay_alu instid0(SALU_CYCLE_1) | instskip(NEXT) | instid1(SALU_CYCLE_1)
	s_and_b32 s24, exec_lo, s34
	s_or_b32 s23, s24, s23
	s_delay_alu instid0(SALU_CYCLE_1)
	s_and_not1_b32 exec_lo, exec_lo, s23
	s_cbranch_execz .LBB20_15
.LBB20_20:                              ;   Parent Loop BB20_13 Depth=1
                                        ;     Parent Loop BB20_17 Depth=2
                                        ; =>    This Inner Loop Header: Depth=3
	s_mov_b32 s24, 0
	s_mov_b32 s34, exec_lo
	v_cmpx_ne_u32_e64 s25, v23
	s_xor_b32 s34, exec_lo, s34
	s_cbranch_execz .LBB20_22
; %bb.21:                               ;   in Loop: Header=BB20_20 Depth=3
	v_add_nc_u32_e32 v20, 1, v20
	s_mov_b32 s24, exec_lo
                                        ; implicit-def: $vgpr22
	s_delay_alu instid0(VALU_DEP_1)
	v_and_b32_e32 v20, 15, v20
	s_and_not1_saveexec_b32 s34, s34
	s_cbranch_execz .LBB20_24
	s_branch .LBB20_23
.LBB20_22:                              ;   in Loop: Header=BB20_20 Depth=3
	s_and_not1_saveexec_b32 s34, s34
	s_cbranch_execz .LBB20_24
.LBB20_23:                              ;   in Loop: Header=BB20_20 Depth=3
	v_mov_b32_e32 v23, s25
	s_and_not1_b32 s24, s24, exec_lo
	ds_cmpstore_rtn_b32 v22, v22, v21, v23
	s_wait_dscnt 0x0
	v_cmp_ne_u32_e32 vcc_lo, s25, v22
	s_and_b32 s35, vcc_lo, exec_lo
	s_delay_alu instid0(SALU_CYCLE_1)
	s_or_b32 s24, s24, s35
.LBB20_24:                              ;   in Loop: Header=BB20_20 Depth=3
	s_or_b32 exec_lo, exec_lo, s34
	s_mov_b32 s34, -1
                                        ; implicit-def: $vgpr22
                                        ; implicit-def: $vgpr23
	s_and_saveexec_b32 s35, s24
	s_cbranch_execz .LBB20_19
; %bb.25:                               ;   in Loop: Header=BB20_20 Depth=3
	v_lshl_add_u32 v22, v20, 2, v15
	ds_load_b32 v23, v22
	s_wait_dscnt 0x0
	v_cmp_eq_u32_e32 vcc_lo, v23, v21
	s_or_not1_b32 s34, vcc_lo, exec_lo
	s_branch .LBB20_19
.LBB20_26:
	s_or_b32 exec_lo, exec_lo, s0
.LBB20_27:
	s_delay_alu instid0(SALU_CYCLE_1)
	s_and_not1_b32 vcc_lo, exec_lo, s33
	s_cbranch_vccnz .LBB20_42
; %bb.28:
	v_lshl_add_u64 v[4:5], v[0:1], 2, s[30:31]
	v_subrev_nc_u32_e32 v7, s7, v17
	s_mov_b32 s0, exec_lo
	global_load_b64 v[4:5], v[4:5], off
	s_wait_loadcnt 0x0
	v_subrev_nc_u32_e32 v6, s7, v5
	v_add_nc_u32_e32 v7, v4, v7
	s_delay_alu instid0(VALU_DEP_1)
	v_cmpx_lt_i32_e64 v7, v6
	s_cbranch_execz .LBB20_41
; %bb.29:
	s_mov_b32 s1, 0
	s_branch .LBB20_32
.LBB20_30:                              ;   in Loop: Header=BB20_32 Depth=1
	s_or_b32 exec_lo, exec_lo, s5
.LBB20_31:                              ;   in Loop: Header=BB20_32 Depth=1
	s_delay_alu instid0(SALU_CYCLE_1) | instskip(SKIP_3) | instid1(VALU_DEP_2)
	s_or_b32 exec_lo, exec_lo, s4
	s_wait_loadcnt 0x0
	v_dual_mul_f64 v[4:5], v[2:3], v[4:5] :: v_dual_add_nc_u32 v7, 8, v7
	v_lshl_add_u32 v8, v8, 3, v16
	v_cmp_ge_i32_e32 vcc_lo, v7, v6
	s_or_b32 s1, vcc_lo, s1
	ds_add_f64 v8, v[4:5]
	s_and_not1_b32 exec_lo, exec_lo, s1
	s_cbranch_execz .LBB20_41
.LBB20_32:                              ; =>This Loop Header: Depth=1
                                        ;     Child Loop BB20_35 Depth 2
	s_clause 0x1
	global_load_b32 v8, v7, s[8:9] scale_offset
	global_load_b64 v[4:5], v7, s[10:11] scale_offset
	s_mov_b32 s4, exec_lo
	s_wait_loadcnt 0x1
	v_subrev_nc_u32_e32 v9, s7, v8
	s_delay_alu instid0(VALU_DEP_1) | instskip(NEXT) | instid1(VALU_DEP_1)
	v_lshl_add_u32 v8, v9, 3, v9
	v_and_b32_e32 v8, 15, v8
	s_delay_alu instid0(VALU_DEP_1)
	v_lshl_add_u32 v10, v8, 2, v15
	ds_load_b32 v11, v10
	s_wait_dscnt 0x0
	s_wait_xcnt 0x0
	v_cmpx_ne_u32_e64 v11, v9
	s_cbranch_execz .LBB20_31
; %bb.33:                               ;   in Loop: Header=BB20_32 Depth=1
	s_mov_b32 s5, 0
	s_branch .LBB20_35
.LBB20_34:                              ;   in Loop: Header=BB20_35 Depth=2
	s_or_b32 exec_lo, exec_lo, s14
	s_delay_alu instid0(SALU_CYCLE_1) | instskip(NEXT) | instid1(SALU_CYCLE_1)
	s_and_b32 s12, exec_lo, s13
	s_or_b32 s5, s12, s5
	s_delay_alu instid0(SALU_CYCLE_1)
	s_and_not1_b32 exec_lo, exec_lo, s5
	s_cbranch_execz .LBB20_30
.LBB20_35:                              ;   Parent Loop BB20_32 Depth=1
                                        ; =>  This Inner Loop Header: Depth=2
	s_mov_b32 s12, 0
	s_mov_b32 s13, exec_lo
	v_cmpx_ne_u32_e64 s25, v11
	s_xor_b32 s13, exec_lo, s13
	s_cbranch_execz .LBB20_37
; %bb.36:                               ;   in Loop: Header=BB20_35 Depth=2
	v_add_nc_u32_e32 v8, 1, v8
	s_mov_b32 s12, exec_lo
                                        ; implicit-def: $vgpr10
	s_delay_alu instid0(VALU_DEP_1)
	v_and_b32_e32 v8, 15, v8
	s_and_not1_saveexec_b32 s13, s13
	s_cbranch_execz .LBB20_39
	s_branch .LBB20_38
.LBB20_37:                              ;   in Loop: Header=BB20_35 Depth=2
	s_and_not1_saveexec_b32 s13, s13
	s_cbranch_execz .LBB20_39
.LBB20_38:                              ;   in Loop: Header=BB20_35 Depth=2
	v_mov_b32_e32 v11, s25
	s_and_not1_b32 s12, s12, exec_lo
	ds_cmpstore_rtn_b32 v10, v10, v9, v11
	s_wait_dscnt 0x0
	v_cmp_ne_u32_e32 vcc_lo, s25, v10
	s_and_b32 s14, vcc_lo, exec_lo
	s_delay_alu instid0(SALU_CYCLE_1)
	s_or_b32 s12, s12, s14
.LBB20_39:                              ;   in Loop: Header=BB20_35 Depth=2
	s_or_b32 exec_lo, exec_lo, s13
	s_mov_b32 s13, -1
                                        ; implicit-def: $vgpr10
                                        ; implicit-def: $vgpr11
	s_and_saveexec_b32 s14, s12
	s_cbranch_execz .LBB20_34
; %bb.40:                               ;   in Loop: Header=BB20_35 Depth=2
	v_lshl_add_u32 v10, v8, 2, v15
	ds_load_b32 v11, v10
	s_wait_dscnt 0x0
	v_cmp_eq_u32_e32 vcc_lo, v11, v9
	s_or_not1_b32 s13, vcc_lo, exec_lo
	s_branch .LBB20_34
.LBB20_41:
	s_or_b32 exec_lo, exec_lo, s0
.LBB20_42:
	v_lshl_add_u64 v[0:1], v[0:1], 2, s[26:27]
	s_wait_dscnt 0x0
	s_mov_b32 s0, 0
	global_load_b32 v0, v[0:1], off
	s_wait_loadcnt 0x0
	v_subrev_nc_u32_e32 v0, s6, v0
	s_branch .LBB20_44
.LBB20_43:                              ;   in Loop: Header=BB20_44 Depth=1
	s_wait_xcnt 0x0
	s_or_b32 exec_lo, exec_lo, s1
	v_add_co_u32 v14, s1, v14, 8
	s_xor_b32 s1, s1, -1
	v_dual_add_nc_u32 v13, 64, v13 :: v_dual_add_nc_u32 v12, 32, v12
	s_and_b32 s1, exec_lo, s1
	s_delay_alu instid0(SALU_CYCLE_1) | instskip(NEXT) | instid1(SALU_CYCLE_1)
	s_or_b32 s0, s1, s0
	s_and_not1_b32 exec_lo, exec_lo, s0
	s_cbranch_execz .LBB20_46
.LBB20_44:                              ; =>This Inner Loop Header: Depth=1
	ds_load_b32 v1, v12
	s_mov_b32 s1, exec_lo
	s_wait_dscnt 0x0
	v_cmpx_gt_i32_e64 s25, v1
	s_cbranch_execz .LBB20_43
; %bb.45:                               ;   in Loop: Header=BB20_44 Depth=1
	ds_load_b128 v[2:5], v15
	ds_load_b128 v[6:9], v15 offset:16
	ds_load_b128 v[16:19], v15 offset:32
	;; [unrolled: 1-line block ×3, first 2 shown]
	ds_load_b64 v[10:11], v13
	s_wait_dscnt 0x4
	v_cmp_gt_i32_e32 vcc_lo, v1, v2
	v_cndmask_b32_e64 v2, 0, 1, vcc_lo
	v_cmp_gt_i32_e32 vcc_lo, v1, v4
	v_cndmask_b32_e64 v4, 0, 1, vcc_lo
	v_cmp_gt_i32_e32 vcc_lo, v1, v3
	s_delay_alu instid0(VALU_DEP_4)
	v_add_co_ci_u32_e64 v2, null, v0, v2, vcc_lo
	s_wait_dscnt 0x3
	v_cmp_gt_i32_e32 vcc_lo, v1, v6
	v_cndmask_b32_e64 v3, 0, 1, vcc_lo
	v_cmp_gt_i32_e32 vcc_lo, v1, v5
	v_add_co_ci_u32_e64 v2, null, v2, v4, vcc_lo
	v_cmp_gt_i32_e32 vcc_lo, v1, v8
	v_cndmask_b32_e64 v4, 0, 1, vcc_lo
	v_cmp_gt_i32_e32 vcc_lo, v1, v7
	s_delay_alu instid0(VALU_DEP_4)
	v_add_co_ci_u32_e64 v2, null, v2, v3, vcc_lo
	s_wait_dscnt 0x2
	v_cmp_gt_i32_e32 vcc_lo, v1, v16
	v_cndmask_b32_e64 v3, 0, 1, vcc_lo
	v_cmp_gt_i32_e32 vcc_lo, v1, v9
	v_add_co_ci_u32_e64 v2, null, v2, v4, vcc_lo
	;; [unrolled: 10-line block ×3, first 2 shown]
	v_cmp_gt_i32_e32 vcc_lo, v1, v21
	s_delay_alu instid0(VALU_DEP_2) | instskip(SKIP_3) | instid1(VALU_DEP_2)
	v_add_co_ci_u32_e64 v2, null, v2, v3, vcc_lo
	v_cmp_gt_i32_e32 vcc_lo, v1, v22
	v_cndmask_b32_e64 v3, 0, 1, vcc_lo
	v_cmp_gt_i32_e32 vcc_lo, v1, v23
	v_add_co_ci_u32_e64 v1, null, v2, v3, vcc_lo
	s_wait_dscnt 0x0
	global_store_b64 v1, v[10:11], s[2:3] scale_offset
	s_branch .LBB20_43
.LBB20_46:
	s_endpgm
	.section	.rodata,"a",@progbits
	.p2align	6, 0x0
	.amdhsa_kernel _ZN9rocsparseL38csrgemm_numeric_fill_wf_per_row_kernelILj256ELj8ELj16ELj137EiidEEvT4_S1_PKS1_S3_NS_24const_host_device_scalarIT5_EEPKT3_S3_PKS5_S9_S3_SB_S6_S9_S3_SB_S9_S3_PS5_21rocsparse_index_base_SD_SD_SD_bbb
		.amdhsa_group_segment_fixed_size 6144
		.amdhsa_private_segment_fixed_size 0
		.amdhsa_kernarg_size 156
		.amdhsa_user_sgpr_count 2
		.amdhsa_user_sgpr_dispatch_ptr 0
		.amdhsa_user_sgpr_queue_ptr 0
		.amdhsa_user_sgpr_kernarg_segment_ptr 1
		.amdhsa_user_sgpr_dispatch_id 0
		.amdhsa_user_sgpr_kernarg_preload_length 0
		.amdhsa_user_sgpr_kernarg_preload_offset 0
		.amdhsa_user_sgpr_private_segment_size 0
		.amdhsa_wavefront_size32 1
		.amdhsa_uses_dynamic_stack 0
		.amdhsa_enable_private_segment 0
		.amdhsa_system_sgpr_workgroup_id_x 1
		.amdhsa_system_sgpr_workgroup_id_y 0
		.amdhsa_system_sgpr_workgroup_id_z 0
		.amdhsa_system_sgpr_workgroup_info 0
		.amdhsa_system_vgpr_workitem_id 0
		.amdhsa_next_free_vgpr 24
		.amdhsa_next_free_sgpr 38
		.amdhsa_named_barrier_count 0
		.amdhsa_reserve_vcc 1
		.amdhsa_float_round_mode_32 0
		.amdhsa_float_round_mode_16_64 0
		.amdhsa_float_denorm_mode_32 3
		.amdhsa_float_denorm_mode_16_64 3
		.amdhsa_fp16_overflow 0
		.amdhsa_memory_ordered 1
		.amdhsa_forward_progress 1
		.amdhsa_inst_pref_size 16
		.amdhsa_round_robin_scheduling 0
		.amdhsa_exception_fp_ieee_invalid_op 0
		.amdhsa_exception_fp_denorm_src 0
		.amdhsa_exception_fp_ieee_div_zero 0
		.amdhsa_exception_fp_ieee_overflow 0
		.amdhsa_exception_fp_ieee_underflow 0
		.amdhsa_exception_fp_ieee_inexact 0
		.amdhsa_exception_int_div_zero 0
	.end_amdhsa_kernel
	.section	.text._ZN9rocsparseL38csrgemm_numeric_fill_wf_per_row_kernelILj256ELj8ELj16ELj137EiidEEvT4_S1_PKS1_S3_NS_24const_host_device_scalarIT5_EEPKT3_S3_PKS5_S9_S3_SB_S6_S9_S3_SB_S9_S3_PS5_21rocsparse_index_base_SD_SD_SD_bbb,"axG",@progbits,_ZN9rocsparseL38csrgemm_numeric_fill_wf_per_row_kernelILj256ELj8ELj16ELj137EiidEEvT4_S1_PKS1_S3_NS_24const_host_device_scalarIT5_EEPKT3_S3_PKS5_S9_S3_SB_S6_S9_S3_SB_S9_S3_PS5_21rocsparse_index_base_SD_SD_SD_bbb,comdat
.Lfunc_end20:
	.size	_ZN9rocsparseL38csrgemm_numeric_fill_wf_per_row_kernelILj256ELj8ELj16ELj137EiidEEvT4_S1_PKS1_S3_NS_24const_host_device_scalarIT5_EEPKT3_S3_PKS5_S9_S3_SB_S6_S9_S3_SB_S9_S3_PS5_21rocsparse_index_base_SD_SD_SD_bbb, .Lfunc_end20-_ZN9rocsparseL38csrgemm_numeric_fill_wf_per_row_kernelILj256ELj8ELj16ELj137EiidEEvT4_S1_PKS1_S3_NS_24const_host_device_scalarIT5_EEPKT3_S3_PKS5_S9_S3_SB_S6_S9_S3_SB_S9_S3_PS5_21rocsparse_index_base_SD_SD_SD_bbb
                                        ; -- End function
	.set _ZN9rocsparseL38csrgemm_numeric_fill_wf_per_row_kernelILj256ELj8ELj16ELj137EiidEEvT4_S1_PKS1_S3_NS_24const_host_device_scalarIT5_EEPKT3_S3_PKS5_S9_S3_SB_S6_S9_S3_SB_S9_S3_PS5_21rocsparse_index_base_SD_SD_SD_bbb.num_vgpr, 24
	.set _ZN9rocsparseL38csrgemm_numeric_fill_wf_per_row_kernelILj256ELj8ELj16ELj137EiidEEvT4_S1_PKS1_S3_NS_24const_host_device_scalarIT5_EEPKT3_S3_PKS5_S9_S3_SB_S6_S9_S3_SB_S9_S3_PS5_21rocsparse_index_base_SD_SD_SD_bbb.num_agpr, 0
	.set _ZN9rocsparseL38csrgemm_numeric_fill_wf_per_row_kernelILj256ELj8ELj16ELj137EiidEEvT4_S1_PKS1_S3_NS_24const_host_device_scalarIT5_EEPKT3_S3_PKS5_S9_S3_SB_S6_S9_S3_SB_S9_S3_PS5_21rocsparse_index_base_SD_SD_SD_bbb.numbered_sgpr, 38
	.set _ZN9rocsparseL38csrgemm_numeric_fill_wf_per_row_kernelILj256ELj8ELj16ELj137EiidEEvT4_S1_PKS1_S3_NS_24const_host_device_scalarIT5_EEPKT3_S3_PKS5_S9_S3_SB_S6_S9_S3_SB_S9_S3_PS5_21rocsparse_index_base_SD_SD_SD_bbb.num_named_barrier, 0
	.set _ZN9rocsparseL38csrgemm_numeric_fill_wf_per_row_kernelILj256ELj8ELj16ELj137EiidEEvT4_S1_PKS1_S3_NS_24const_host_device_scalarIT5_EEPKT3_S3_PKS5_S9_S3_SB_S6_S9_S3_SB_S9_S3_PS5_21rocsparse_index_base_SD_SD_SD_bbb.private_seg_size, 0
	.set _ZN9rocsparseL38csrgemm_numeric_fill_wf_per_row_kernelILj256ELj8ELj16ELj137EiidEEvT4_S1_PKS1_S3_NS_24const_host_device_scalarIT5_EEPKT3_S3_PKS5_S9_S3_SB_S6_S9_S3_SB_S9_S3_PS5_21rocsparse_index_base_SD_SD_SD_bbb.uses_vcc, 1
	.set _ZN9rocsparseL38csrgemm_numeric_fill_wf_per_row_kernelILj256ELj8ELj16ELj137EiidEEvT4_S1_PKS1_S3_NS_24const_host_device_scalarIT5_EEPKT3_S3_PKS5_S9_S3_SB_S6_S9_S3_SB_S9_S3_PS5_21rocsparse_index_base_SD_SD_SD_bbb.uses_flat_scratch, 0
	.set _ZN9rocsparseL38csrgemm_numeric_fill_wf_per_row_kernelILj256ELj8ELj16ELj137EiidEEvT4_S1_PKS1_S3_NS_24const_host_device_scalarIT5_EEPKT3_S3_PKS5_S9_S3_SB_S6_S9_S3_SB_S9_S3_PS5_21rocsparse_index_base_SD_SD_SD_bbb.has_dyn_sized_stack, 0
	.set _ZN9rocsparseL38csrgemm_numeric_fill_wf_per_row_kernelILj256ELj8ELj16ELj137EiidEEvT4_S1_PKS1_S3_NS_24const_host_device_scalarIT5_EEPKT3_S3_PKS5_S9_S3_SB_S6_S9_S3_SB_S9_S3_PS5_21rocsparse_index_base_SD_SD_SD_bbb.has_recursion, 0
	.set _ZN9rocsparseL38csrgemm_numeric_fill_wf_per_row_kernelILj256ELj8ELj16ELj137EiidEEvT4_S1_PKS1_S3_NS_24const_host_device_scalarIT5_EEPKT3_S3_PKS5_S9_S3_SB_S6_S9_S3_SB_S9_S3_PS5_21rocsparse_index_base_SD_SD_SD_bbb.has_indirect_call, 0
	.section	.AMDGPU.csdata,"",@progbits
; Kernel info:
; codeLenInByte = 1964
; TotalNumSgprs: 40
; NumVgprs: 24
; ScratchSize: 0
; MemoryBound: 0
; FloatMode: 240
; IeeeMode: 1
; LDSByteSize: 6144 bytes/workgroup (compile time only)
; SGPRBlocks: 0
; VGPRBlocks: 1
; NumSGPRsForWavesPerEU: 40
; NumVGPRsForWavesPerEU: 24
; NamedBarCnt: 0
; Occupancy: 16
; WaveLimiterHint : 1
; COMPUTE_PGM_RSRC2:SCRATCH_EN: 0
; COMPUTE_PGM_RSRC2:USER_SGPR: 2
; COMPUTE_PGM_RSRC2:TRAP_HANDLER: 0
; COMPUTE_PGM_RSRC2:TGID_X_EN: 1
; COMPUTE_PGM_RSRC2:TGID_Y_EN: 0
; COMPUTE_PGM_RSRC2:TGID_Z_EN: 0
; COMPUTE_PGM_RSRC2:TIDIG_COMP_CNT: 0
	.section	.text._ZN9rocsparseL38csrgemm_numeric_fill_wf_per_row_kernelILj256ELj16ELj32ELj137EiidEEvT4_S1_PKS1_S3_NS_24const_host_device_scalarIT5_EEPKT3_S3_PKS5_S9_S3_SB_S6_S9_S3_SB_S9_S3_PS5_21rocsparse_index_base_SD_SD_SD_bbb,"axG",@progbits,_ZN9rocsparseL38csrgemm_numeric_fill_wf_per_row_kernelILj256ELj16ELj32ELj137EiidEEvT4_S1_PKS1_S3_NS_24const_host_device_scalarIT5_EEPKT3_S3_PKS5_S9_S3_SB_S6_S9_S3_SB_S9_S3_PS5_21rocsparse_index_base_SD_SD_SD_bbb,comdat
	.globl	_ZN9rocsparseL38csrgemm_numeric_fill_wf_per_row_kernelILj256ELj16ELj32ELj137EiidEEvT4_S1_PKS1_S3_NS_24const_host_device_scalarIT5_EEPKT3_S3_PKS5_S9_S3_SB_S6_S9_S3_SB_S9_S3_PS5_21rocsparse_index_base_SD_SD_SD_bbb ; -- Begin function _ZN9rocsparseL38csrgemm_numeric_fill_wf_per_row_kernelILj256ELj16ELj32ELj137EiidEEvT4_S1_PKS1_S3_NS_24const_host_device_scalarIT5_EEPKT3_S3_PKS5_S9_S3_SB_S6_S9_S3_SB_S9_S3_PS5_21rocsparse_index_base_SD_SD_SD_bbb
	.p2align	8
	.type	_ZN9rocsparseL38csrgemm_numeric_fill_wf_per_row_kernelILj256ELj16ELj32ELj137EiidEEvT4_S1_PKS1_S3_NS_24const_host_device_scalarIT5_EEPKT3_S3_PKS5_S9_S3_SB_S6_S9_S3_SB_S9_S3_PS5_21rocsparse_index_base_SD_SD_SD_bbb,@function
_ZN9rocsparseL38csrgemm_numeric_fill_wf_per_row_kernelILj256ELj16ELj32ELj137EiidEEvT4_S1_PKS1_S3_NS_24const_host_device_scalarIT5_EEPKT3_S3_PKS5_S9_S3_SB_S6_S9_S3_SB_S9_S3_PS5_21rocsparse_index_base_SD_SD_SD_bbb: ; @_ZN9rocsparseL38csrgemm_numeric_fill_wf_per_row_kernelILj256ELj16ELj32ELj137EiidEEvT4_S1_PKS1_S3_NS_24const_host_device_scalarIT5_EEPKT3_S3_PKS5_S9_S3_SB_S6_S9_S3_SB_S9_S3_PS5_21rocsparse_index_base_SD_SD_SD_bbb
; %bb.0:
	s_clause 0x3
	s_load_b32 s18, s[0:1], 0x98
	s_load_b64 s[2:3], s[0:1], 0x18
	s_load_b128 s[4:7], s[0:1], 0x88
	s_load_b64 s[16:17], s[0:1], 0x50
	s_wait_kmcnt 0x0
	s_bitcmp1_b32 s18, 0
	s_cselect_b32 s36, -1, 0
	s_bitcmp1_b32 s18, 16
	s_cselect_b32 s19, -1, 0
	s_xor_b32 s8, s36, -1
	s_delay_alu instid0(SALU_CYCLE_1)
	s_or_b32 s10, s19, s8
	s_and_b32 s8, s36, exec_lo
	s_cselect_b32 s9, s3, 0
	s_cselect_b32 s8, s2, 0
	s_and_b32 vcc_lo, exec_lo, s10
	v_mov_b64_e32 v[4:5], s[8:9]
	s_cbranch_vccnz .LBB21_2
; %bb.1:
	v_mov_b32_e32 v1, 0
	flat_load_b64 v[4:5], v1, s[2:3]
.LBB21_2:
	s_wait_xcnt 0x0
	s_clause 0x4
	s_load_b64 s[2:3], s[0:1], 0x80
	s_load_b128 s[8:11], s[0:1], 0x60
	s_load_b128 s[12:15], s[0:1], 0x40
	;; [unrolled: 1-line block ×3, first 2 shown]
	s_load_b64 s[28:29], s[0:1], 0x28
	s_bitcmp1_b32 s18, 8
	s_cselect_b32 s33, -1, 0
	s_delay_alu instid0(SALU_CYCLE_1) | instskip(NEXT) | instid1(SALU_CYCLE_1)
	s_xor_b32 s18, s33, -1
	s_or_b32 s24, s19, s18
	s_and_b32 s18, s33, exec_lo
	s_cselect_b32 s19, s17, 0
	s_cselect_b32 s18, s16, 0
	s_and_b32 vcc_lo, exec_lo, s24
	v_mov_b64_e32 v[2:3], s[18:19]
	s_cbranch_vccnz .LBB21_4
; %bb.3:
	v_mov_b32_e32 v1, 0
	flat_load_b64 v[2:3], v1, s[16:17]
.LBB21_4:
	s_clause 0x4
	s_load_b64 s[24:25], s[0:1], 0x0
	s_load_b64 s[34:35], s[0:1], 0x20
	;; [unrolled: 1-line block ×4, first 2 shown]
	s_load_b128 s[16:19], s[0:1], 0x30
	v_dual_lshrrev_b32 v6, 4, v0 :: v_dual_bitop2_b32 v17, 15, v0 bitop3:0x40
	s_wait_xcnt 0x0
	s_mov_b32 s0, 0
	s_delay_alu instid0(VALU_DEP_1) | instskip(SKIP_1) | instid1(VALU_DEP_2)
	v_dual_lshlrev_b32 v0, 7, v6 :: v_dual_lshlrev_b32 v1, 2, v17
	v_dual_lshlrev_b32 v7, 3, v17 :: v_dual_bitop2_b32 v14, -16, v17 bitop3:0x54
	v_or3_b32 v12, v0, v1, 0x1000
	s_delay_alu instid0(VALU_DEP_2) | instskip(SKIP_1) | instid1(VALU_DEP_3)
	v_lshl_or_b32 v13, v6, 8, v7
	v_mov_b64_e32 v[0:1], 0
	v_dual_mov_b32 v10, v14 :: v_dual_mov_b32 v7, v12
	s_wait_kmcnt 0x0
	s_delay_alu instid0(VALU_DEP_3)
	v_dual_mov_b32 v8, v13 :: v_dual_mov_b32 v9, s25
.LBB21_5:                               ; =>This Inner Loop Header: Depth=1
	s_delay_alu instid0(VALU_DEP_2)
	v_add_co_u32 v10, s1, v10, 16
	s_xor_b32 s1, s1, -1
	ds_store_b32 v7, v9
	ds_store_b64 v8, v[0:1]
	v_add_nc_u32_e32 v8, 0x80, v8
	v_add_nc_u32_e32 v7, 64, v7
	s_and_b32 s1, exec_lo, s1
	s_delay_alu instid0(SALU_CYCLE_1) | instskip(NEXT) | instid1(SALU_CYCLE_1)
	s_or_b32 s0, s1, s0
	s_and_not1_b32 exec_lo, exec_lo, s0
	s_cbranch_execnz .LBB21_5
; %bb.6:
	s_or_b32 exec_lo, exec_lo, s0
	s_bfe_u32 s0, ttmp6, 0x4000c
	s_and_b32 s1, ttmp6, 15
	s_add_co_i32 s0, s0, 1
	s_getreg_b32 s37, hwreg(HW_REG_IB_STS2, 6, 4)
	s_mul_i32 s0, ttmp9, s0
	s_wait_loadcnt_dscnt 0x0
	s_add_co_i32 s1, s1, s0
	s_cmp_eq_u32 s37, 0
	s_cselect_b32 s0, ttmp9, s1
	s_delay_alu instid0(SALU_CYCLE_1) | instskip(NEXT) | instid1(SALU_CYCLE_1)
	s_lshl_b32 s0, s0, 4
	v_and_or_b32 v0, 0xffffff0, s0, v6
	s_mov_b32 s0, exec_lo
	s_delay_alu instid0(VALU_DEP_1)
	v_cmpx_gt_i32_e64 s24, v0
	s_cbranch_execz .LBB21_46
; %bb.7:
	s_cmp_eq_u64 s[22:23], 0
	s_cbranch_scc1 .LBB21_9
; %bb.8:
	s_load_b32 s0, s[20:21], 0x0
	s_wait_kmcnt 0x0
	v_add_nc_u32_e32 v0, s0, v0
	global_load_b32 v0, v0, s[22:23] scale_offset
.LBB21_9:
	v_lshl_or_b32 v15, v6, 7, 0x1000
	s_wait_loadcnt 0x0
	v_dual_lshlrev_b32 v16, 8, v6 :: v_dual_ashrrev_i32 v1, 31, v0
	s_and_not1_b32 vcc_lo, exec_lo, s36
	s_cbranch_vccnz .LBB21_27
; %bb.10:
	s_delay_alu instid0(VALU_DEP_1)
	v_lshl_add_u64 v[6:7], v[0:1], 2, s[34:35]
	v_subrev_nc_u32_e32 v8, s4, v17
	s_mov_b32 s0, exec_lo
	global_load_b64 v[6:7], v[6:7], off
	s_wait_loadcnt 0x0
	v_subrev_nc_u32_e32 v18, s4, v7
	v_add_nc_u32_e32 v6, v6, v8
	s_delay_alu instid0(VALU_DEP_1)
	v_cmpx_lt_i32_e64 v6, v18
	s_cbranch_execz .LBB21_26
; %bb.11:
	s_mov_b32 s1, 0
	s_branch .LBB21_13
.LBB21_12:                              ;   in Loop: Header=BB21_13 Depth=1
	s_or_b32 exec_lo, exec_lo, s20
	v_add_nc_u32_e32 v6, 16, v6
	s_delay_alu instid0(VALU_DEP_1) | instskip(SKIP_1) | instid1(SALU_CYCLE_1)
	v_cmp_ge_i32_e32 vcc_lo, v6, v18
	s_or_b32 s1, vcc_lo, s1
	s_and_not1_b32 exec_lo, exec_lo, s1
	s_cbranch_execz .LBB21_26
.LBB21_13:                              ; =>This Loop Header: Depth=1
                                        ;     Child Loop BB21_17 Depth 2
                                        ;       Child Loop BB21_20 Depth 3
	global_load_b32 v7, v6, s[28:29] scale_offset
	s_mov_b32 s20, exec_lo
	s_wait_loadcnt 0x0
	v_subrev_nc_u32_e32 v8, s4, v7
	s_delay_alu instid0(VALU_DEP_1) | instskip(NEXT) | instid1(VALU_DEP_1)
	v_ashrrev_i32_e32 v9, 31, v8
	v_lshl_add_u64 v[8:9], v[8:9], 2, s[18:19]
	global_load_b64 v[10:11], v[8:9], off
	s_wait_loadcnt 0x0
	s_wait_xcnt 0x0
	v_cmpx_lt_i32_e64 v10, v11
	s_cbranch_execz .LBB21_12
; %bb.14:                               ;   in Loop: Header=BB21_13 Depth=1
	v_ashrrev_i32_e32 v7, 31, v6
	v_subrev_nc_u32_e32 v19, s5, v10
	s_mov_b32 s21, 0
	s_delay_alu instid0(VALU_DEP_2)
	v_lshl_add_u64 v[8:9], v[6:7], 3, s[16:17]
	v_subrev_nc_u32_e32 v7, s5, v11
	global_load_b64 v[8:9], v[8:9], off
	s_wait_loadcnt 0x0
	s_wait_xcnt 0x0
	v_mul_f64_e32 v[8:9], v[4:5], v[8:9]
	s_branch .LBB21_17
.LBB21_15:                              ;   in Loop: Header=BB21_17 Depth=2
	s_or_b32 exec_lo, exec_lo, s23
.LBB21_16:                              ;   in Loop: Header=BB21_17 Depth=2
	s_delay_alu instid0(SALU_CYCLE_1) | instskip(SKIP_4) | instid1(VALU_DEP_1)
	s_or_b32 exec_lo, exec_lo, s22
	s_wait_loadcnt 0x0
	v_mul_f64_e32 v[10:11], v[8:9], v[10:11]
	v_lshl_add_u32 v20, v20, 3, v16
	v_add_nc_u32_e32 v19, 1, v19
	v_cmp_ge_i32_e32 vcc_lo, v19, v7
	s_or_b32 s21, vcc_lo, s21
	ds_add_f64 v20, v[10:11]
	s_and_not1_b32 exec_lo, exec_lo, s21
	s_cbranch_execz .LBB21_12
.LBB21_17:                              ;   Parent Loop BB21_13 Depth=1
                                        ; =>  This Loop Header: Depth=2
                                        ;       Child Loop BB21_20 Depth 3
	s_clause 0x1
	global_load_b32 v20, v19, s[12:13] scale_offset
	global_load_b64 v[10:11], v19, s[14:15] scale_offset
	s_mov_b32 s22, exec_lo
	s_wait_loadcnt 0x1
	v_subrev_nc_u32_e32 v21, s5, v20
	s_delay_alu instid0(VALU_DEP_1) | instskip(NEXT) | instid1(VALU_DEP_1)
	v_lshl_add_u32 v20, v21, 3, v21
	v_and_b32_e32 v20, 31, v20
	s_delay_alu instid0(VALU_DEP_1)
	v_lshl_add_u32 v22, v20, 2, v15
	ds_load_b32 v23, v22
	s_wait_dscnt 0x0
	s_wait_xcnt 0x0
	v_cmpx_ne_u32_e64 v23, v21
	s_cbranch_execz .LBB21_16
; %bb.18:                               ;   in Loop: Header=BB21_17 Depth=2
	s_mov_b32 s23, 0
	s_branch .LBB21_20
.LBB21_19:                              ;   in Loop: Header=BB21_20 Depth=3
	s_or_b32 exec_lo, exec_lo, s35
	s_delay_alu instid0(SALU_CYCLE_1) | instskip(NEXT) | instid1(SALU_CYCLE_1)
	s_and_b32 s24, exec_lo, s34
	s_or_b32 s23, s24, s23
	s_delay_alu instid0(SALU_CYCLE_1)
	s_and_not1_b32 exec_lo, exec_lo, s23
	s_cbranch_execz .LBB21_15
.LBB21_20:                              ;   Parent Loop BB21_13 Depth=1
                                        ;     Parent Loop BB21_17 Depth=2
                                        ; =>    This Inner Loop Header: Depth=3
	s_mov_b32 s24, 0
	s_mov_b32 s34, exec_lo
	v_cmpx_ne_u32_e64 s25, v23
	s_xor_b32 s34, exec_lo, s34
	s_cbranch_execz .LBB21_22
; %bb.21:                               ;   in Loop: Header=BB21_20 Depth=3
	v_add_nc_u32_e32 v20, 1, v20
	s_mov_b32 s24, exec_lo
                                        ; implicit-def: $vgpr22
	s_delay_alu instid0(VALU_DEP_1)
	v_and_b32_e32 v20, 31, v20
	s_and_not1_saveexec_b32 s34, s34
	s_cbranch_execz .LBB21_24
	s_branch .LBB21_23
.LBB21_22:                              ;   in Loop: Header=BB21_20 Depth=3
	s_and_not1_saveexec_b32 s34, s34
	s_cbranch_execz .LBB21_24
.LBB21_23:                              ;   in Loop: Header=BB21_20 Depth=3
	v_mov_b32_e32 v23, s25
	s_and_not1_b32 s24, s24, exec_lo
	ds_cmpstore_rtn_b32 v22, v22, v21, v23
	s_wait_dscnt 0x0
	v_cmp_ne_u32_e32 vcc_lo, s25, v22
	s_and_b32 s35, vcc_lo, exec_lo
	s_delay_alu instid0(SALU_CYCLE_1)
	s_or_b32 s24, s24, s35
.LBB21_24:                              ;   in Loop: Header=BB21_20 Depth=3
	s_or_b32 exec_lo, exec_lo, s34
	s_mov_b32 s34, -1
                                        ; implicit-def: $vgpr22
                                        ; implicit-def: $vgpr23
	s_and_saveexec_b32 s35, s24
	s_cbranch_execz .LBB21_19
; %bb.25:                               ;   in Loop: Header=BB21_20 Depth=3
	v_lshl_add_u32 v22, v20, 2, v15
	ds_load_b32 v23, v22
	s_wait_dscnt 0x0
	v_cmp_eq_u32_e32 vcc_lo, v23, v21
	s_or_not1_b32 s34, vcc_lo, exec_lo
	s_branch .LBB21_19
.LBB21_26:
	s_or_b32 exec_lo, exec_lo, s0
.LBB21_27:
	s_delay_alu instid0(SALU_CYCLE_1)
	s_and_not1_b32 vcc_lo, exec_lo, s33
	s_cbranch_vccnz .LBB21_42
; %bb.28:
	v_lshl_add_u64 v[4:5], v[0:1], 2, s[30:31]
	v_subrev_nc_u32_e32 v7, s7, v17
	s_mov_b32 s0, exec_lo
	global_load_b64 v[4:5], v[4:5], off
	s_wait_loadcnt 0x0
	v_subrev_nc_u32_e32 v6, s7, v5
	v_add_nc_u32_e32 v7, v4, v7
	s_delay_alu instid0(VALU_DEP_1)
	v_cmpx_lt_i32_e64 v7, v6
	s_cbranch_execz .LBB21_41
; %bb.29:
	s_mov_b32 s1, 0
	s_branch .LBB21_32
.LBB21_30:                              ;   in Loop: Header=BB21_32 Depth=1
	s_or_b32 exec_lo, exec_lo, s5
.LBB21_31:                              ;   in Loop: Header=BB21_32 Depth=1
	s_delay_alu instid0(SALU_CYCLE_1) | instskip(SKIP_3) | instid1(VALU_DEP_2)
	s_or_b32 exec_lo, exec_lo, s4
	s_wait_loadcnt 0x0
	v_dual_mul_f64 v[4:5], v[2:3], v[4:5] :: v_dual_add_nc_u32 v7, 16, v7
	v_lshl_add_u32 v8, v8, 3, v16
	v_cmp_ge_i32_e32 vcc_lo, v7, v6
	s_or_b32 s1, vcc_lo, s1
	ds_add_f64 v8, v[4:5]
	s_and_not1_b32 exec_lo, exec_lo, s1
	s_cbranch_execz .LBB21_41
.LBB21_32:                              ; =>This Loop Header: Depth=1
                                        ;     Child Loop BB21_35 Depth 2
	s_clause 0x1
	global_load_b32 v8, v7, s[8:9] scale_offset
	global_load_b64 v[4:5], v7, s[10:11] scale_offset
	s_mov_b32 s4, exec_lo
	s_wait_loadcnt 0x1
	v_subrev_nc_u32_e32 v9, s7, v8
	s_delay_alu instid0(VALU_DEP_1) | instskip(NEXT) | instid1(VALU_DEP_1)
	v_lshl_add_u32 v8, v9, 3, v9
	v_and_b32_e32 v8, 31, v8
	s_delay_alu instid0(VALU_DEP_1)
	v_lshl_add_u32 v10, v8, 2, v15
	ds_load_b32 v11, v10
	s_wait_dscnt 0x0
	s_wait_xcnt 0x0
	v_cmpx_ne_u32_e64 v11, v9
	s_cbranch_execz .LBB21_31
; %bb.33:                               ;   in Loop: Header=BB21_32 Depth=1
	s_mov_b32 s5, 0
	s_branch .LBB21_35
.LBB21_34:                              ;   in Loop: Header=BB21_35 Depth=2
	s_or_b32 exec_lo, exec_lo, s14
	s_delay_alu instid0(SALU_CYCLE_1) | instskip(NEXT) | instid1(SALU_CYCLE_1)
	s_and_b32 s12, exec_lo, s13
	s_or_b32 s5, s12, s5
	s_delay_alu instid0(SALU_CYCLE_1)
	s_and_not1_b32 exec_lo, exec_lo, s5
	s_cbranch_execz .LBB21_30
.LBB21_35:                              ;   Parent Loop BB21_32 Depth=1
                                        ; =>  This Inner Loop Header: Depth=2
	s_mov_b32 s12, 0
	s_mov_b32 s13, exec_lo
	v_cmpx_ne_u32_e64 s25, v11
	s_xor_b32 s13, exec_lo, s13
	s_cbranch_execz .LBB21_37
; %bb.36:                               ;   in Loop: Header=BB21_35 Depth=2
	v_add_nc_u32_e32 v8, 1, v8
	s_mov_b32 s12, exec_lo
                                        ; implicit-def: $vgpr10
	s_delay_alu instid0(VALU_DEP_1)
	v_and_b32_e32 v8, 31, v8
	s_and_not1_saveexec_b32 s13, s13
	s_cbranch_execz .LBB21_39
	s_branch .LBB21_38
.LBB21_37:                              ;   in Loop: Header=BB21_35 Depth=2
	s_and_not1_saveexec_b32 s13, s13
	s_cbranch_execz .LBB21_39
.LBB21_38:                              ;   in Loop: Header=BB21_35 Depth=2
	v_mov_b32_e32 v11, s25
	s_and_not1_b32 s12, s12, exec_lo
	ds_cmpstore_rtn_b32 v10, v10, v9, v11
	s_wait_dscnt 0x0
	v_cmp_ne_u32_e32 vcc_lo, s25, v10
	s_and_b32 s14, vcc_lo, exec_lo
	s_delay_alu instid0(SALU_CYCLE_1)
	s_or_b32 s12, s12, s14
.LBB21_39:                              ;   in Loop: Header=BB21_35 Depth=2
	s_or_b32 exec_lo, exec_lo, s13
	s_mov_b32 s13, -1
                                        ; implicit-def: $vgpr10
                                        ; implicit-def: $vgpr11
	s_and_saveexec_b32 s14, s12
	s_cbranch_execz .LBB21_34
; %bb.40:                               ;   in Loop: Header=BB21_35 Depth=2
	v_lshl_add_u32 v10, v8, 2, v15
	ds_load_b32 v11, v10
	s_wait_dscnt 0x0
	v_cmp_eq_u32_e32 vcc_lo, v11, v9
	s_or_not1_b32 s13, vcc_lo, exec_lo
	s_branch .LBB21_34
.LBB21_41:
	s_or_b32 exec_lo, exec_lo, s0
.LBB21_42:
	v_lshl_add_u64 v[0:1], v[0:1], 2, s[26:27]
	s_wait_dscnt 0x0
	s_mov_b32 s0, 0
	global_load_b32 v0, v[0:1], off
	s_wait_loadcnt 0x0
	v_subrev_nc_u32_e32 v0, s6, v0
	s_branch .LBB21_44
.LBB21_43:                              ;   in Loop: Header=BB21_44 Depth=1
	s_wait_xcnt 0x0
	s_or_b32 exec_lo, exec_lo, s1
	v_add_co_u32 v14, s1, v14, 16
	s_xor_b32 s1, s1, -1
	v_add_nc_u32_e32 v13, 0x80, v13
	v_add_nc_u32_e32 v12, 64, v12
	s_and_b32 s1, exec_lo, s1
	s_delay_alu instid0(SALU_CYCLE_1) | instskip(NEXT) | instid1(SALU_CYCLE_1)
	s_or_b32 s0, s1, s0
	s_and_not1_b32 exec_lo, exec_lo, s0
	s_cbranch_execz .LBB21_46
.LBB21_44:                              ; =>This Inner Loop Header: Depth=1
	ds_load_b32 v1, v12
	s_mov_b32 s1, exec_lo
	s_wait_dscnt 0x0
	v_cmpx_gt_i32_e64 s25, v1
	s_cbranch_execz .LBB21_43
; %bb.45:                               ;   in Loop: Header=BB21_44 Depth=1
	ds_load_b128 v[2:5], v15
	ds_load_b128 v[6:9], v15 offset:16
	ds_load_b128 v[16:19], v15 offset:32
	;; [unrolled: 1-line block ×7, first 2 shown]
	ds_load_b64 v[10:11], v13
	s_wait_dscnt 0x8
	v_cmp_gt_i32_e32 vcc_lo, v1, v2
	v_cndmask_b32_e64 v2, 0, 1, vcc_lo
	v_cmp_gt_i32_e32 vcc_lo, v1, v4
	v_cndmask_b32_e64 v4, 0, 1, vcc_lo
	v_cmp_gt_i32_e32 vcc_lo, v1, v3
	s_delay_alu instid0(VALU_DEP_4)
	v_add_co_ci_u32_e64 v2, null, v0, v2, vcc_lo
	s_wait_dscnt 0x7
	v_cmp_gt_i32_e32 vcc_lo, v1, v6
	v_cndmask_b32_e64 v3, 0, 1, vcc_lo
	v_cmp_gt_i32_e32 vcc_lo, v1, v5
	v_add_co_ci_u32_e64 v2, null, v2, v4, vcc_lo
	v_cmp_gt_i32_e32 vcc_lo, v1, v8
	v_cndmask_b32_e64 v4, 0, 1, vcc_lo
	v_cmp_gt_i32_e32 vcc_lo, v1, v7
	s_delay_alu instid0(VALU_DEP_4)
	v_add_co_ci_u32_e64 v2, null, v2, v3, vcc_lo
	s_wait_dscnt 0x6
	v_cmp_gt_i32_e32 vcc_lo, v1, v16
	v_cndmask_b32_e64 v3, 0, 1, vcc_lo
	v_cmp_gt_i32_e32 vcc_lo, v1, v9
	v_add_co_ci_u32_e64 v2, null, v2, v4, vcc_lo
	v_cmp_gt_i32_e32 vcc_lo, v1, v18
	v_cndmask_b32_e64 v4, 0, 1, vcc_lo
	v_cmp_gt_i32_e32 vcc_lo, v1, v17
	s_delay_alu instid0(VALU_DEP_4)
	v_add_co_ci_u32_e64 v2, null, v2, v3, vcc_lo
	s_wait_dscnt 0x5
	v_cmp_gt_i32_e32 vcc_lo, v1, v20
	v_cndmask_b32_e64 v3, 0, 1, vcc_lo
	v_cmp_gt_i32_e32 vcc_lo, v1, v19
	v_add_co_ci_u32_e64 v2, null, v2, v4, vcc_lo
	v_cmp_gt_i32_e32 vcc_lo, v1, v22
	v_cndmask_b32_e64 v4, 0, 1, vcc_lo
	v_cmp_gt_i32_e32 vcc_lo, v1, v21
	s_delay_alu instid0(VALU_DEP_4)
	v_add_co_ci_u32_e64 v2, null, v2, v3, vcc_lo
	s_wait_dscnt 0x4
	v_cmp_gt_i32_e32 vcc_lo, v1, v24
	v_cndmask_b32_e64 v3, 0, 1, vcc_lo
	v_cmp_gt_i32_e32 vcc_lo, v1, v23
	v_add_co_ci_u32_e64 v2, null, v2, v4, vcc_lo
	v_cmp_gt_i32_e32 vcc_lo, v1, v26
	v_cndmask_b32_e64 v4, 0, 1, vcc_lo
	v_cmp_gt_i32_e32 vcc_lo, v1, v25
	s_delay_alu instid0(VALU_DEP_4)
	v_add_co_ci_u32_e64 v2, null, v2, v3, vcc_lo
	s_wait_dscnt 0x3
	v_cmp_gt_i32_e32 vcc_lo, v1, v28
	v_cndmask_b32_e64 v3, 0, 1, vcc_lo
	v_cmp_gt_i32_e32 vcc_lo, v1, v27
	v_add_co_ci_u32_e64 v2, null, v2, v4, vcc_lo
	v_cmp_gt_i32_e32 vcc_lo, v1, v30
	v_cndmask_b32_e64 v4, 0, 1, vcc_lo
	v_cmp_gt_i32_e32 vcc_lo, v1, v29
	s_delay_alu instid0(VALU_DEP_4)
	v_add_co_ci_u32_e64 v2, null, v2, v3, vcc_lo
	s_wait_dscnt 0x2
	v_cmp_gt_i32_e32 vcc_lo, v1, v32
	v_cndmask_b32_e64 v3, 0, 1, vcc_lo
	v_cmp_gt_i32_e32 vcc_lo, v1, v31
	v_add_co_ci_u32_e64 v2, null, v2, v4, vcc_lo
	v_cmp_gt_i32_e32 vcc_lo, v1, v34
	v_cndmask_b32_e64 v4, 0, 1, vcc_lo
	v_cmp_gt_i32_e32 vcc_lo, v1, v33
	s_delay_alu instid0(VALU_DEP_4)
	v_add_co_ci_u32_e64 v2, null, v2, v3, vcc_lo
	s_wait_dscnt 0x1
	v_cmp_gt_i32_e32 vcc_lo, v1, v36
	v_cndmask_b32_e64 v3, 0, 1, vcc_lo
	v_cmp_gt_i32_e32 vcc_lo, v1, v35
	v_add_co_ci_u32_e64 v2, null, v2, v4, vcc_lo
	v_cmp_gt_i32_e32 vcc_lo, v1, v37
	s_delay_alu instid0(VALU_DEP_2) | instskip(SKIP_3) | instid1(VALU_DEP_2)
	v_add_co_ci_u32_e64 v2, null, v2, v3, vcc_lo
	v_cmp_gt_i32_e32 vcc_lo, v1, v38
	v_cndmask_b32_e64 v3, 0, 1, vcc_lo
	v_cmp_gt_i32_e32 vcc_lo, v1, v39
	v_add_co_ci_u32_e64 v1, null, v2, v3, vcc_lo
	s_wait_dscnt 0x0
	global_store_b64 v1, v[10:11], s[2:3] scale_offset
	s_branch .LBB21_43
.LBB21_46:
	s_endpgm
	.section	.rodata,"a",@progbits
	.p2align	6, 0x0
	.amdhsa_kernel _ZN9rocsparseL38csrgemm_numeric_fill_wf_per_row_kernelILj256ELj16ELj32ELj137EiidEEvT4_S1_PKS1_S3_NS_24const_host_device_scalarIT5_EEPKT3_S3_PKS5_S9_S3_SB_S6_S9_S3_SB_S9_S3_PS5_21rocsparse_index_base_SD_SD_SD_bbb
		.amdhsa_group_segment_fixed_size 6144
		.amdhsa_private_segment_fixed_size 0
		.amdhsa_kernarg_size 156
		.amdhsa_user_sgpr_count 2
		.amdhsa_user_sgpr_dispatch_ptr 0
		.amdhsa_user_sgpr_queue_ptr 0
		.amdhsa_user_sgpr_kernarg_segment_ptr 1
		.amdhsa_user_sgpr_dispatch_id 0
		.amdhsa_user_sgpr_kernarg_preload_length 0
		.amdhsa_user_sgpr_kernarg_preload_offset 0
		.amdhsa_user_sgpr_private_segment_size 0
		.amdhsa_wavefront_size32 1
		.amdhsa_uses_dynamic_stack 0
		.amdhsa_enable_private_segment 0
		.amdhsa_system_sgpr_workgroup_id_x 1
		.amdhsa_system_sgpr_workgroup_id_y 0
		.amdhsa_system_sgpr_workgroup_id_z 0
		.amdhsa_system_sgpr_workgroup_info 0
		.amdhsa_system_vgpr_workitem_id 0
		.amdhsa_next_free_vgpr 40
		.amdhsa_next_free_sgpr 38
		.amdhsa_named_barrier_count 0
		.amdhsa_reserve_vcc 1
		.amdhsa_float_round_mode_32 0
		.amdhsa_float_round_mode_16_64 0
		.amdhsa_float_denorm_mode_32 3
		.amdhsa_float_denorm_mode_16_64 3
		.amdhsa_fp16_overflow 0
		.amdhsa_memory_ordered 1
		.amdhsa_forward_progress 1
		.amdhsa_inst_pref_size 18
		.amdhsa_round_robin_scheduling 0
		.amdhsa_exception_fp_ieee_invalid_op 0
		.amdhsa_exception_fp_denorm_src 0
		.amdhsa_exception_fp_ieee_div_zero 0
		.amdhsa_exception_fp_ieee_overflow 0
		.amdhsa_exception_fp_ieee_underflow 0
		.amdhsa_exception_fp_ieee_inexact 0
		.amdhsa_exception_int_div_zero 0
	.end_amdhsa_kernel
	.section	.text._ZN9rocsparseL38csrgemm_numeric_fill_wf_per_row_kernelILj256ELj16ELj32ELj137EiidEEvT4_S1_PKS1_S3_NS_24const_host_device_scalarIT5_EEPKT3_S3_PKS5_S9_S3_SB_S6_S9_S3_SB_S9_S3_PS5_21rocsparse_index_base_SD_SD_SD_bbb,"axG",@progbits,_ZN9rocsparseL38csrgemm_numeric_fill_wf_per_row_kernelILj256ELj16ELj32ELj137EiidEEvT4_S1_PKS1_S3_NS_24const_host_device_scalarIT5_EEPKT3_S3_PKS5_S9_S3_SB_S6_S9_S3_SB_S9_S3_PS5_21rocsparse_index_base_SD_SD_SD_bbb,comdat
.Lfunc_end21:
	.size	_ZN9rocsparseL38csrgemm_numeric_fill_wf_per_row_kernelILj256ELj16ELj32ELj137EiidEEvT4_S1_PKS1_S3_NS_24const_host_device_scalarIT5_EEPKT3_S3_PKS5_S9_S3_SB_S6_S9_S3_SB_S9_S3_PS5_21rocsparse_index_base_SD_SD_SD_bbb, .Lfunc_end21-_ZN9rocsparseL38csrgemm_numeric_fill_wf_per_row_kernelILj256ELj16ELj32ELj137EiidEEvT4_S1_PKS1_S3_NS_24const_host_device_scalarIT5_EEPKT3_S3_PKS5_S9_S3_SB_S6_S9_S3_SB_S9_S3_PS5_21rocsparse_index_base_SD_SD_SD_bbb
                                        ; -- End function
	.set _ZN9rocsparseL38csrgemm_numeric_fill_wf_per_row_kernelILj256ELj16ELj32ELj137EiidEEvT4_S1_PKS1_S3_NS_24const_host_device_scalarIT5_EEPKT3_S3_PKS5_S9_S3_SB_S6_S9_S3_SB_S9_S3_PS5_21rocsparse_index_base_SD_SD_SD_bbb.num_vgpr, 40
	.set _ZN9rocsparseL38csrgemm_numeric_fill_wf_per_row_kernelILj256ELj16ELj32ELj137EiidEEvT4_S1_PKS1_S3_NS_24const_host_device_scalarIT5_EEPKT3_S3_PKS5_S9_S3_SB_S6_S9_S3_SB_S9_S3_PS5_21rocsparse_index_base_SD_SD_SD_bbb.num_agpr, 0
	.set _ZN9rocsparseL38csrgemm_numeric_fill_wf_per_row_kernelILj256ELj16ELj32ELj137EiidEEvT4_S1_PKS1_S3_NS_24const_host_device_scalarIT5_EEPKT3_S3_PKS5_S9_S3_SB_S6_S9_S3_SB_S9_S3_PS5_21rocsparse_index_base_SD_SD_SD_bbb.numbered_sgpr, 38
	.set _ZN9rocsparseL38csrgemm_numeric_fill_wf_per_row_kernelILj256ELj16ELj32ELj137EiidEEvT4_S1_PKS1_S3_NS_24const_host_device_scalarIT5_EEPKT3_S3_PKS5_S9_S3_SB_S6_S9_S3_SB_S9_S3_PS5_21rocsparse_index_base_SD_SD_SD_bbb.num_named_barrier, 0
	.set _ZN9rocsparseL38csrgemm_numeric_fill_wf_per_row_kernelILj256ELj16ELj32ELj137EiidEEvT4_S1_PKS1_S3_NS_24const_host_device_scalarIT5_EEPKT3_S3_PKS5_S9_S3_SB_S6_S9_S3_SB_S9_S3_PS5_21rocsparse_index_base_SD_SD_SD_bbb.private_seg_size, 0
	.set _ZN9rocsparseL38csrgemm_numeric_fill_wf_per_row_kernelILj256ELj16ELj32ELj137EiidEEvT4_S1_PKS1_S3_NS_24const_host_device_scalarIT5_EEPKT3_S3_PKS5_S9_S3_SB_S6_S9_S3_SB_S9_S3_PS5_21rocsparse_index_base_SD_SD_SD_bbb.uses_vcc, 1
	.set _ZN9rocsparseL38csrgemm_numeric_fill_wf_per_row_kernelILj256ELj16ELj32ELj137EiidEEvT4_S1_PKS1_S3_NS_24const_host_device_scalarIT5_EEPKT3_S3_PKS5_S9_S3_SB_S6_S9_S3_SB_S9_S3_PS5_21rocsparse_index_base_SD_SD_SD_bbb.uses_flat_scratch, 0
	.set _ZN9rocsparseL38csrgemm_numeric_fill_wf_per_row_kernelILj256ELj16ELj32ELj137EiidEEvT4_S1_PKS1_S3_NS_24const_host_device_scalarIT5_EEPKT3_S3_PKS5_S9_S3_SB_S6_S9_S3_SB_S9_S3_PS5_21rocsparse_index_base_SD_SD_SD_bbb.has_dyn_sized_stack, 0
	.set _ZN9rocsparseL38csrgemm_numeric_fill_wf_per_row_kernelILj256ELj16ELj32ELj137EiidEEvT4_S1_PKS1_S3_NS_24const_host_device_scalarIT5_EEPKT3_S3_PKS5_S9_S3_SB_S6_S9_S3_SB_S9_S3_PS5_21rocsparse_index_base_SD_SD_SD_bbb.has_recursion, 0
	.set _ZN9rocsparseL38csrgemm_numeric_fill_wf_per_row_kernelILj256ELj16ELj32ELj137EiidEEvT4_S1_PKS1_S3_NS_24const_host_device_scalarIT5_EEPKT3_S3_PKS5_S9_S3_SB_S6_S9_S3_SB_S9_S3_PS5_21rocsparse_index_base_SD_SD_SD_bbb.has_indirect_call, 0
	.section	.AMDGPU.csdata,"",@progbits
; Kernel info:
; codeLenInByte = 2220
; TotalNumSgprs: 40
; NumVgprs: 40
; ScratchSize: 0
; MemoryBound: 0
; FloatMode: 240
; IeeeMode: 1
; LDSByteSize: 6144 bytes/workgroup (compile time only)
; SGPRBlocks: 0
; VGPRBlocks: 2
; NumSGPRsForWavesPerEU: 40
; NumVGPRsForWavesPerEU: 40
; NamedBarCnt: 0
; Occupancy: 16
; WaveLimiterHint : 1
; COMPUTE_PGM_RSRC2:SCRATCH_EN: 0
; COMPUTE_PGM_RSRC2:USER_SGPR: 2
; COMPUTE_PGM_RSRC2:TRAP_HANDLER: 0
; COMPUTE_PGM_RSRC2:TGID_X_EN: 1
; COMPUTE_PGM_RSRC2:TGID_Y_EN: 0
; COMPUTE_PGM_RSRC2:TGID_Z_EN: 0
; COMPUTE_PGM_RSRC2:TIDIG_COMP_CNT: 0
	.section	.text._ZN9rocsparseL41csrgemm_numeric_fill_block_per_row_kernelILj128ELj16ELj256ELj137ELj32EiidEEvT5_PKS1_S3_NS_24const_host_device_scalarIT6_EEPKT4_S3_PKS5_S9_S3_SB_S6_S9_S3_SB_S9_S3_PS5_21rocsparse_index_base_SD_SD_SD_bbb,"axG",@progbits,_ZN9rocsparseL41csrgemm_numeric_fill_block_per_row_kernelILj128ELj16ELj256ELj137ELj32EiidEEvT5_PKS1_S3_NS_24const_host_device_scalarIT6_EEPKT4_S3_PKS5_S9_S3_SB_S6_S9_S3_SB_S9_S3_PS5_21rocsparse_index_base_SD_SD_SD_bbb,comdat
	.globl	_ZN9rocsparseL41csrgemm_numeric_fill_block_per_row_kernelILj128ELj16ELj256ELj137ELj32EiidEEvT5_PKS1_S3_NS_24const_host_device_scalarIT6_EEPKT4_S3_PKS5_S9_S3_SB_S6_S9_S3_SB_S9_S3_PS5_21rocsparse_index_base_SD_SD_SD_bbb ; -- Begin function _ZN9rocsparseL41csrgemm_numeric_fill_block_per_row_kernelILj128ELj16ELj256ELj137ELj32EiidEEvT5_PKS1_S3_NS_24const_host_device_scalarIT6_EEPKT4_S3_PKS5_S9_S3_SB_S6_S9_S3_SB_S9_S3_PS5_21rocsparse_index_base_SD_SD_SD_bbb
	.p2align	8
	.type	_ZN9rocsparseL41csrgemm_numeric_fill_block_per_row_kernelILj128ELj16ELj256ELj137ELj32EiidEEvT5_PKS1_S3_NS_24const_host_device_scalarIT6_EEPKT4_S3_PKS5_S9_S3_SB_S6_S9_S3_SB_S9_S3_PS5_21rocsparse_index_base_SD_SD_SD_bbb,@function
_ZN9rocsparseL41csrgemm_numeric_fill_block_per_row_kernelILj128ELj16ELj256ELj137ELj32EiidEEvT5_PKS1_S3_NS_24const_host_device_scalarIT6_EEPKT4_S3_PKS5_S9_S3_SB_S6_S9_S3_SB_S9_S3_PS5_21rocsparse_index_base_SD_SD_SD_bbb: ; @_ZN9rocsparseL41csrgemm_numeric_fill_block_per_row_kernelILj128ELj16ELj256ELj137ELj32EiidEEvT5_PKS1_S3_NS_24const_host_device_scalarIT6_EEPKT4_S3_PKS5_S9_S3_SB_S6_S9_S3_SB_S9_S3_PS5_21rocsparse_index_base_SD_SD_SD_bbb
; %bb.0:
	s_clause 0x2
	s_load_b32 s8, s[0:1], 0x98
	s_load_b64 s[4:5], s[0:1], 0x18
	s_load_b64 s[2:3], s[0:1], 0x50
	s_wait_kmcnt 0x0
	s_bitcmp1_b32 s8, 0
	s_cselect_b32 s37, -1, 0
	s_bitcmp1_b32 s8, 16
	s_cselect_b32 s9, -1, 0
	s_xor_b32 s6, s37, -1
	s_delay_alu instid0(SALU_CYCLE_1)
	s_or_b32 s10, s9, s6
	s_and_b32 s6, s37, exec_lo
	s_cselect_b32 s7, s5, 0
	s_cselect_b32 s6, s4, 0
	s_and_b32 vcc_lo, exec_lo, s10
	v_mov_b64_e32 v[4:5], s[6:7]
	s_cbranch_vccnz .LBB22_2
; %bb.1:
	v_mov_b32_e32 v1, 0
	flat_load_b64 v[4:5], v1, s[4:5]
.LBB22_2:
	s_wait_xcnt 0x0
	s_load_b128 s[4:7], s[0:1], 0x88
	s_bitcmp1_b32 s8, 8
	s_cselect_b32 s36, -1, 0
	s_delay_alu instid0(SALU_CYCLE_1) | instskip(NEXT) | instid1(SALU_CYCLE_1)
	s_xor_b32 s8, s36, -1
	s_or_b32 s10, s9, s8
	s_and_b32 s8, s36, exec_lo
	s_cselect_b32 s9, s3, 0
	s_cselect_b32 s8, s2, 0
	s_and_b32 vcc_lo, exec_lo, s10
	v_mov_b64_e32 v[2:3], s[8:9]
	s_cbranch_vccnz .LBB22_4
; %bb.3:
	v_mov_b32_e32 v1, 0
	flat_load_b64 v[2:3], v1, s[2:3]
.LBB22_4:
	s_clause 0x5
	s_load_b64 s[24:25], s[0:1], 0x80
	s_load_b128 s[8:11], s[0:1], 0x60
	s_load_b128 s[12:15], s[0:1], 0x40
	s_load_b64 s[28:29], s[0:1], 0x28
	s_load_b128 s[20:23], s[0:1], 0x8
	s_load_b32 s33, s[0:1], 0x0
	v_cmp_gt_u32_e64 s2, 0x100, v0
	v_lshlrev_b32_e32 v13, 3, v0
	v_or_b32_e32 v1, 0xffffff80, v0
	v_lshl_add_u32 v12, v0, 2, 0
	s_and_saveexec_b32 s3, s2
	s_cbranch_execz .LBB22_7
; %bb.5:
	v_mov_b64_e32 v[6:7], 0
	v_add3_u32 v8, v13, 0, 0x400
	v_or_b32_e32 v9, 0xffffff80, v0
	v_lshl_add_u32 v10, v0, 2, 0
	s_wait_kmcnt 0x0
	v_mov_b32_e32 v11, s33
	s_mov_b32 s16, 0
.LBB22_6:                               ; =>This Inner Loop Header: Depth=1
	v_add_co_u32 v9, s17, 0x80, v9
	s_xor_b32 s17, s17, -1
	ds_store_b32 v10, v11
	ds_store_b64 v8, v[6:7]
	v_add_nc_u32_e32 v8, 0x400, v8
	v_add_nc_u32_e32 v10, 0x200, v10
	s_and_b32 s17, exec_lo, s17
	s_delay_alu instid0(SALU_CYCLE_1) | instskip(NEXT) | instid1(SALU_CYCLE_1)
	s_or_b32 s16, s17, s16
	s_and_not1_b32 exec_lo, exec_lo, s16
	s_cbranch_execnz .LBB22_6
.LBB22_7:
	s_or_b32 exec_lo, exec_lo, s3
	s_clause 0x3
	s_load_b64 s[26:27], s[0:1], 0x70
	s_load_b64 s[30:31], s[0:1], 0x58
	;; [unrolled: 1-line block ×3, first 2 shown]
	s_load_b128 s[16:19], s[0:1], 0x30
	s_wait_loadcnt_dscnt 0x0
	s_barrier_signal -1
	s_barrier_wait -1
	s_wait_kmcnt 0x0
	s_load_b32 s0, s[20:21], 0x0
	s_bfe_u32 s1, ttmp6, 0x4000c
	s_and_b32 s3, ttmp6, 15
	s_add_co_i32 s1, s1, 1
	s_wait_xcnt 0x0
	s_getreg_b32 s20, hwreg(HW_REG_IB_STS2, 6, 4)
	s_mul_i32 s1, ttmp9, s1
	s_delay_alu instid0(SALU_CYCLE_1)
	s_add_co_i32 s3, s3, s1
	s_cmp_eq_u32 s20, 0
	s_cselect_b32 s1, ttmp9, s3
	s_and_b32 vcc_lo, exec_lo, s37
	s_wait_kmcnt 0x0
	s_add_co_i32 s0, s0, s1
	s_load_b32 s20, s[22:23], s0 offset:0x0 scale_offset
	s_cbranch_vccz .LBB22_25
; %bb.8:
	s_wait_kmcnt 0x0
	s_ashr_i32 s21, s20, 31
	v_lshrrev_b32_e32 v6, 4, v0
	s_lshl_b64 s[0:1], s[20:21], 2
	s_delay_alu instid0(SALU_CYCLE_1) | instskip(NEXT) | instid1(VALU_DEP_1)
	s_add_nc_u64 s[0:1], s[34:35], s[0:1]
	v_subrev_nc_u32_e32 v6, s4, v6
	s_load_b64 s[22:23], s[0:1], 0x0
	s_wait_xcnt 0x0
	s_mov_b32 s1, exec_lo
	s_wait_kmcnt 0x0
	v_add_nc_u32_e32 v6, s22, v6
	s_sub_co_i32 s0, s23, s4
	s_delay_alu instid0(VALU_DEP_1) | instid1(SALU_CYCLE_1)
	v_cmpx_gt_i32_e64 s0, v6
	s_cbranch_execz .LBB22_24
; %bb.9:
	v_and_b32_e32 v7, 15, v0
	s_mov_b32 s3, 0
	s_delay_alu instid0(VALU_DEP_1)
	v_subrev_nc_u32_e32 v14, s5, v7
	s_branch .LBB22_11
.LBB22_10:                              ;   in Loop: Header=BB22_11 Depth=1
	s_or_b32 exec_lo, exec_lo, s21
	v_add_nc_u32_e32 v6, 8, v6
	s_delay_alu instid0(VALU_DEP_1) | instskip(SKIP_1) | instid1(SALU_CYCLE_1)
	v_cmp_le_i32_e32 vcc_lo, s0, v6
	s_or_b32 s3, vcc_lo, s3
	s_and_not1_b32 exec_lo, exec_lo, s3
	s_cbranch_execz .LBB22_24
.LBB22_11:                              ; =>This Loop Header: Depth=1
                                        ;     Child Loop BB22_15 Depth 2
                                        ;       Child Loop BB22_18 Depth 3
	global_load_b32 v7, v6, s[28:29] scale_offset
	s_mov_b32 s21, exec_lo
	s_wait_loadcnt 0x0
	v_subrev_nc_u32_e32 v8, s4, v7
	s_delay_alu instid0(VALU_DEP_1) | instskip(NEXT) | instid1(VALU_DEP_1)
	v_ashrrev_i32_e32 v9, 31, v8
	v_lshl_add_u64 v[8:9], v[8:9], 2, s[18:19]
	global_load_b64 v[8:9], v[8:9], off
	s_wait_loadcnt 0x0
	v_subrev_nc_u32_e32 v15, s5, v9
	v_add_nc_u32_e32 v16, v8, v14
	s_wait_xcnt 0x0
	s_delay_alu instid0(VALU_DEP_1)
	v_cmpx_lt_i32_e64 v16, v15
	s_cbranch_execz .LBB22_10
; %bb.12:                               ;   in Loop: Header=BB22_11 Depth=1
	v_ashrrev_i32_e32 v7, 31, v6
	s_mov_b32 s22, 0
	s_delay_alu instid0(VALU_DEP_1)
	v_lshl_add_u64 v[8:9], v[6:7], 3, s[16:17]
	global_load_b64 v[8:9], v[8:9], off
	s_wait_loadcnt 0x0
	s_wait_xcnt 0x0
	v_mul_f64_e32 v[8:9], v[4:5], v[8:9]
	s_branch .LBB22_15
.LBB22_13:                              ;   in Loop: Header=BB22_15 Depth=2
	s_or_b32 exec_lo, exec_lo, s34
.LBB22_14:                              ;   in Loop: Header=BB22_15 Depth=2
	s_delay_alu instid0(SALU_CYCLE_1) | instskip(SKIP_3) | instid1(VALU_DEP_2)
	s_or_b32 exec_lo, exec_lo, s23
	s_wait_loadcnt 0x0
	v_dual_mul_f64 v[10:11], v[8:9], v[10:11] :: v_dual_add_nc_u32 v16, 16, v16
	v_lshl_add_u32 v7, v7, 3, 0
	v_cmp_ge_i32_e32 vcc_lo, v16, v15
	s_or_b32 s22, vcc_lo, s22
	ds_add_f64 v7, v[10:11] offset:1024
	s_and_not1_b32 exec_lo, exec_lo, s22
	s_cbranch_execz .LBB22_10
.LBB22_15:                              ;   Parent Loop BB22_11 Depth=1
                                        ; =>  This Loop Header: Depth=2
                                        ;       Child Loop BB22_18 Depth 3
	s_clause 0x1
	global_load_b32 v7, v16, s[12:13] scale_offset
	global_load_b64 v[10:11], v16, s[14:15] scale_offset
	s_mov_b32 s23, exec_lo
	s_wait_loadcnt 0x1
	v_subrev_nc_u32_e32 v17, s5, v7
	s_delay_alu instid0(VALU_DEP_1) | instskip(NEXT) | instid1(VALU_DEP_1)
	v_mul_lo_u32 v7, 0x89, v17
	v_and_b32_e32 v7, 0xff, v7
	s_delay_alu instid0(VALU_DEP_1)
	v_lshl_add_u32 v18, v7, 2, 0
	ds_load_b32 v19, v18
	s_wait_dscnt 0x0
	s_wait_xcnt 0x0
	v_cmpx_ne_u32_e64 v19, v17
	s_cbranch_execz .LBB22_14
; %bb.16:                               ;   in Loop: Header=BB22_15 Depth=2
	s_mov_b32 s34, 0
	s_branch .LBB22_18
.LBB22_17:                              ;   in Loop: Header=BB22_18 Depth=3
	s_or_b32 exec_lo, exec_lo, s38
	s_delay_alu instid0(SALU_CYCLE_1) | instskip(NEXT) | instid1(SALU_CYCLE_1)
	s_and_b32 s35, exec_lo, s37
	s_or_b32 s34, s35, s34
	s_delay_alu instid0(SALU_CYCLE_1)
	s_and_not1_b32 exec_lo, exec_lo, s34
	s_cbranch_execz .LBB22_13
.LBB22_18:                              ;   Parent Loop BB22_11 Depth=1
                                        ;     Parent Loop BB22_15 Depth=2
                                        ; =>    This Inner Loop Header: Depth=3
	s_mov_b32 s35, 0
	s_mov_b32 s37, exec_lo
	v_cmpx_ne_u32_e64 s33, v19
	s_xor_b32 s37, exec_lo, s37
	s_cbranch_execz .LBB22_20
; %bb.19:                               ;   in Loop: Header=BB22_18 Depth=3
	v_add_nc_u32_e32 v7, 1, v7
	s_mov_b32 s35, exec_lo
                                        ; implicit-def: $vgpr18
	s_delay_alu instid0(VALU_DEP_1)
	v_and_b32_e32 v7, 0xff, v7
	s_and_not1_saveexec_b32 s37, s37
	s_cbranch_execz .LBB22_22
	s_branch .LBB22_21
.LBB22_20:                              ;   in Loop: Header=BB22_18 Depth=3
	s_and_not1_saveexec_b32 s37, s37
	s_cbranch_execz .LBB22_22
.LBB22_21:                              ;   in Loop: Header=BB22_18 Depth=3
	v_mov_b32_e32 v19, s33
	s_and_not1_b32 s35, s35, exec_lo
	ds_cmpstore_rtn_b32 v18, v18, v17, v19
	s_wait_dscnt 0x0
	v_cmp_ne_u32_e32 vcc_lo, s33, v18
	s_and_b32 s38, vcc_lo, exec_lo
	s_delay_alu instid0(SALU_CYCLE_1)
	s_or_b32 s35, s35, s38
.LBB22_22:                              ;   in Loop: Header=BB22_18 Depth=3
	s_or_b32 exec_lo, exec_lo, s37
	s_mov_b32 s37, -1
                                        ; implicit-def: $vgpr18
                                        ; implicit-def: $vgpr19
	s_and_saveexec_b32 s38, s35
	s_cbranch_execz .LBB22_17
; %bb.23:                               ;   in Loop: Header=BB22_18 Depth=3
	v_lshl_add_u32 v18, v7, 2, 0
	ds_load_b32 v19, v18
	s_wait_dscnt 0x0
	v_cmp_eq_u32_e32 vcc_lo, v19, v17
	s_or_not1_b32 s37, vcc_lo, exec_lo
	s_branch .LBB22_17
.LBB22_24:
	s_or_b32 exec_lo, exec_lo, s1
.LBB22_25:
	s_delay_alu instid0(SALU_CYCLE_1)
	s_and_not1_b32 vcc_lo, exec_lo, s36
	s_cbranch_vccnz .LBB22_40
; %bb.26:
	s_wait_kmcnt 0x0
	s_ashr_i32 s21, s20, 31
	v_subrev_nc_u32_e32 v4, s7, v0
	s_lshl_b64 s[0:1], s[20:21], 2
	s_delay_alu instid0(SALU_CYCLE_1)
	s_add_nc_u64 s[0:1], s[30:31], s[0:1]
	s_load_b64 s[4:5], s[0:1], 0x0
	s_wait_xcnt 0x0
	s_mov_b32 s1, exec_lo
	s_wait_kmcnt 0x0
	v_add_nc_u32_e32 v6, s4, v4
	s_sub_co_i32 s0, s5, s7
	s_delay_alu instid0(VALU_DEP_1) | instid1(SALU_CYCLE_1)
	v_cmpx_gt_i32_e64 s0, v6
	s_cbranch_execz .LBB22_39
; %bb.27:
	s_mov_b32 s3, 0
	s_branch .LBB22_30
.LBB22_28:                              ;   in Loop: Header=BB22_30 Depth=1
	s_or_b32 exec_lo, exec_lo, s5
.LBB22_29:                              ;   in Loop: Header=BB22_30 Depth=1
	s_delay_alu instid0(SALU_CYCLE_1) | instskip(SKIP_4) | instid1(VALU_DEP_1)
	s_or_b32 exec_lo, exec_lo, s4
	s_wait_loadcnt 0x0
	v_mul_f64_e32 v[4:5], v[2:3], v[4:5]
	v_lshl_add_u32 v7, v7, 3, 0
	v_add_nc_u32_e32 v6, 0x80, v6
	v_cmp_le_i32_e32 vcc_lo, s0, v6
	s_or_b32 s3, vcc_lo, s3
	ds_add_f64 v7, v[4:5] offset:1024
	s_and_not1_b32 exec_lo, exec_lo, s3
	s_cbranch_execz .LBB22_39
.LBB22_30:                              ; =>This Loop Header: Depth=1
                                        ;     Child Loop BB22_33 Depth 2
	s_clause 0x1
	global_load_b32 v7, v6, s[8:9] scale_offset
	global_load_b64 v[4:5], v6, s[10:11] scale_offset
	s_mov_b32 s4, exec_lo
	s_wait_loadcnt 0x1
	v_subrev_nc_u32_e32 v8, s7, v7
	s_delay_alu instid0(VALU_DEP_1) | instskip(NEXT) | instid1(VALU_DEP_1)
	v_mul_lo_u32 v7, 0x89, v8
	v_and_b32_e32 v7, 0xff, v7
	s_delay_alu instid0(VALU_DEP_1)
	v_lshl_add_u32 v9, v7, 2, 0
	ds_load_b32 v10, v9
	s_wait_dscnt 0x0
	s_wait_xcnt 0x0
	v_cmpx_ne_u32_e64 v10, v8
	s_cbranch_execz .LBB22_29
; %bb.31:                               ;   in Loop: Header=BB22_30 Depth=1
	s_mov_b32 s5, 0
	s_branch .LBB22_33
.LBB22_32:                              ;   in Loop: Header=BB22_33 Depth=2
	s_or_b32 exec_lo, exec_lo, s14
	s_delay_alu instid0(SALU_CYCLE_1) | instskip(NEXT) | instid1(SALU_CYCLE_1)
	s_and_b32 s12, exec_lo, s13
	s_or_b32 s5, s12, s5
	s_delay_alu instid0(SALU_CYCLE_1)
	s_and_not1_b32 exec_lo, exec_lo, s5
	s_cbranch_execz .LBB22_28
.LBB22_33:                              ;   Parent Loop BB22_30 Depth=1
                                        ; =>  This Inner Loop Header: Depth=2
	s_mov_b32 s12, 0
	s_mov_b32 s13, exec_lo
	v_cmpx_ne_u32_e64 s33, v10
	s_xor_b32 s13, exec_lo, s13
	s_cbranch_execz .LBB22_35
; %bb.34:                               ;   in Loop: Header=BB22_33 Depth=2
	v_add_nc_u32_e32 v7, 1, v7
	s_mov_b32 s12, exec_lo
                                        ; implicit-def: $vgpr9
	s_delay_alu instid0(VALU_DEP_1)
	v_and_b32_e32 v7, 0xff, v7
	s_and_not1_saveexec_b32 s13, s13
	s_cbranch_execz .LBB22_37
	s_branch .LBB22_36
.LBB22_35:                              ;   in Loop: Header=BB22_33 Depth=2
	s_and_not1_saveexec_b32 s13, s13
	s_cbranch_execz .LBB22_37
.LBB22_36:                              ;   in Loop: Header=BB22_33 Depth=2
	v_mov_b32_e32 v10, s33
	s_and_not1_b32 s12, s12, exec_lo
	ds_cmpstore_rtn_b32 v9, v9, v8, v10
	s_wait_dscnt 0x0
	v_cmp_ne_u32_e32 vcc_lo, s33, v9
	s_and_b32 s14, vcc_lo, exec_lo
	s_delay_alu instid0(SALU_CYCLE_1)
	s_or_b32 s12, s12, s14
.LBB22_37:                              ;   in Loop: Header=BB22_33 Depth=2
	s_or_b32 exec_lo, exec_lo, s13
	s_mov_b32 s13, -1
                                        ; implicit-def: $vgpr9
                                        ; implicit-def: $vgpr10
	s_and_saveexec_b32 s14, s12
	s_cbranch_execz .LBB22_32
; %bb.38:                               ;   in Loop: Header=BB22_33 Depth=2
	v_lshl_add_u32 v9, v7, 2, 0
	ds_load_b32 v10, v9
	s_wait_dscnt 0x0
	v_cmp_eq_u32_e32 vcc_lo, v10, v8
	s_or_not1_b32 s13, vcc_lo, exec_lo
	s_branch .LBB22_32
.LBB22_39:
	s_or_b32 exec_lo, exec_lo, s1
.LBB22_40:
	s_wait_dscnt 0x0
	s_barrier_signal -1
	s_barrier_wait -1
	s_and_saveexec_b32 s4, s2
	s_cbranch_execz .LBB22_53
; %bb.41:
	v_mbcnt_lo_u32_b32 v2, -1, 0
	v_dual_mov_b32 v3, 0 :: v_dual_lshrrev_b32 v4, 3, v0
	s_wait_xcnt 0x0
	v_cmp_lt_u32_e64 s0, 31, v0
	v_cmp_lt_u32_e64 s1, 63, v0
	s_delay_alu instid0(VALU_DEP_3)
	v_dual_mov_b32 v8, 0 :: v_dual_bitop2_b32 v4, 12, v4 bitop3:0x40
	v_xor_b32_e32 v2, 31, v2
	v_cmp_lt_u32_e64 s2, 0x5f, v0
	v_add3_u32 v7, v13, 0, 0x400
	s_mov_b32 s5, 0
	v_add_nc_u32_e32 v6, 0, v4
	v_lshrrev_b32_e64 v2, v2, -1
	v_cmp_eq_u32_e32 vcc_lo, 0x7f, v0
	s_branch .LBB22_43
.LBB22_42:                              ;   in Loop: Header=BB22_43 Depth=1
	s_or_b32 exec_lo, exec_lo, s3
	s_wait_dscnt 0x0
	s_barrier_signal -1
	s_barrier_wait -1
	ds_load_b32 v4, v3 offset:3084
	v_add_co_u32 v1, s3, 0x80, v1
	s_xor_b32 s3, s3, -1
	v_add_nc_u32_e32 v7, 0x400, v7
	v_add_nc_u32_e32 v12, 0x200, v12
	s_and_b32 s3, exec_lo, s3
	s_delay_alu instid0(SALU_CYCLE_1)
	s_or_b32 s5, s3, s5
	s_wait_dscnt 0x0
	v_add_nc_u32_e32 v8, v4, v8
	s_and_not1_b32 exec_lo, exec_lo, s5
	s_cbranch_execz .LBB22_53
.LBB22_43:                              ; =>This Inner Loop Header: Depth=1
	ds_load_b32 v9, v12
	ds_load_b64 v[4:5], v7
	s_wait_dscnt 0x0
	s_barrier_signal -1
	s_barrier_wait -1
	v_cmp_gt_i32_e64 s3, s33, v9
	s_bcnt1_i32_b32 s7, s3
	s_delay_alu instid0(SALU_CYCLE_1) | instskip(NEXT) | instid1(VALU_DEP_1)
	v_dual_mov_b32 v11, s7 :: v_dual_bitop2_b32 v10, s3, v2 bitop3:0x40
	v_bcnt_u32_b32 v10, v10, 0
	ds_store_b32 v6, v11 offset:3072
	s_wait_dscnt 0x0
	s_barrier_signal -1
	s_barrier_wait -1
	s_and_saveexec_b32 s7, s0
	s_cbranch_execz .LBB22_48
; %bb.44:                               ;   in Loop: Header=BB22_43 Depth=1
	ds_load_b32 v11, v3 offset:3072
	s_wait_dscnt 0x0
	v_add_nc_u32_e32 v10, v11, v10
	s_or_b32 exec_lo, exec_lo, s7
	s_and_saveexec_b32 s7, s1
	s_cbranch_execnz .LBB22_49
.LBB22_45:                              ;   in Loop: Header=BB22_43 Depth=1
	s_or_b32 exec_lo, exec_lo, s7
	s_and_saveexec_b32 s7, s2
	s_cbranch_execz .LBB22_50
.LBB22_46:                              ;   in Loop: Header=BB22_43 Depth=1
	ds_load_b32 v11, v3 offset:3080
	s_wait_dscnt 0x0
	v_add_nc_u32_e32 v10, v11, v10
	s_or_b32 exec_lo, exec_lo, s7
	s_and_saveexec_b32 s7, s3
	s_cbranch_execnz .LBB22_51
.LBB22_47:                              ;   in Loop: Header=BB22_43 Depth=1
	s_or_b32 exec_lo, exec_lo, s7
	s_and_saveexec_b32 s3, vcc_lo
	s_cbranch_execz .LBB22_42
	s_branch .LBB22_52
.LBB22_48:                              ;   in Loop: Header=BB22_43 Depth=1
	s_or_b32 exec_lo, exec_lo, s7
	s_and_saveexec_b32 s7, s1
	s_cbranch_execz .LBB22_45
.LBB22_49:                              ;   in Loop: Header=BB22_43 Depth=1
	ds_load_b32 v11, v3 offset:3076
	s_wait_dscnt 0x0
	v_add_nc_u32_e32 v10, v11, v10
	s_or_b32 exec_lo, exec_lo, s7
	s_and_saveexec_b32 s7, s2
	s_cbranch_execnz .LBB22_46
.LBB22_50:                              ;   in Loop: Header=BB22_43 Depth=1
	s_or_b32 exec_lo, exec_lo, s7
	s_and_saveexec_b32 s7, s3
	s_cbranch_execz .LBB22_47
.LBB22_51:                              ;   in Loop: Header=BB22_43 Depth=1
	s_delay_alu instid0(VALU_DEP_1) | instskip(SKIP_1) | instid1(VALU_DEP_2)
	v_add3_u32 v11, v8, -1, v10
	v_add_nc_u32_e32 v13, v8, v10
	v_lshl_add_u32 v11, v11, 2, 0
	s_delay_alu instid0(VALU_DEP_2)
	v_lshl_add_u32 v13, v13, 3, 0
	ds_store_b32 v11, v9
	ds_store_b64 v13, v[4:5] offset:1016
	s_or_b32 exec_lo, exec_lo, s7
	s_and_saveexec_b32 s3, vcc_lo
	s_cbranch_execz .LBB22_42
.LBB22_52:                              ;   in Loop: Header=BB22_43 Depth=1
	ds_store_b32 v3, v10 offset:3084
	s_branch .LBB22_42
.LBB22_53:
	s_or_b32 exec_lo, exec_lo, s4
	s_wait_kmcnt 0x0
	s_ashr_i32 s21, s20, 31
	s_delay_alu instid0(SALU_CYCLE_1) | instskip(NEXT) | instid1(SALU_CYCLE_1)
	s_lshl_b64 s[0:1], s[20:21], 2
	s_add_nc_u64 s[2:3], s[26:27], s[0:1]
	s_load_b64 s[0:1], s[2:3], 0x0
	s_wait_kmcnt 0x0
	s_sub_co_i32 s4, s1, s0
	s_mov_b32 s1, exec_lo
	v_cmpx_gt_i32_e64 s4, v0
	s_cbranch_execz .LBB22_67
; %bb.54:
	v_sub_co_u32 v1, s1, s4, 2
	s_sub_co_i32 s2, s0, s6
	s_xor_b32 s6, s1, -1
	s_and_b32 s5, s4, -2
	v_readfirstlane_b32 s3, v1
	s_lshr_b32 s0, s3, 1
	s_mov_b32 s3, 0
	s_add_co_i32 s0, s0, 1
	s_mov_b32 s11, s3
	s_and_b32 s1, s0, 7
	s_and_b32 s7, s0, -8
	s_cmp_lg_u32 s1, 0
	v_cmp_lt_u32_e64 s0, 13, v1
	s_cselect_b32 s8, -1, 0
	s_cmp_lg_u32 s4, s5
	s_cselect_b32 s9, -1, 0
	s_lshl_b32 s10, s1, 3
	s_branch .LBB22_56
.LBB22_55:                              ;   in Loop: Header=BB22_56 Depth=1
	v_add_nc_u32_e32 v0, 0x80, v0
	s_wait_dscnt 0x0
	global_store_b64 v4, v[2:3], s[24:25] scale_offset
	v_cmp_le_i32_e32 vcc_lo, s4, v0
	s_or_b32 s11, vcc_lo, s11
	s_wait_xcnt 0x0
	s_and_not1_b32 exec_lo, exec_lo, s11
	s_cbranch_execz .LBB22_67
.LBB22_56:                              ; =>This Loop Header: Depth=1
                                        ;     Child Loop BB22_59 Depth 2
                                        ;     Child Loop BB22_62 Depth 2
	;; [unrolled: 1-line block ×3, first 2 shown]
	v_dual_mov_b32 v4, s2 :: v_dual_lshlrev_b32 v1, 2, v0
	s_and_not1_b32 vcc_lo, exec_lo, s6
	s_mov_b32 s1, 0
	s_mov_b32 s12, -1
	s_delay_alu instid0(VALU_DEP_1) | instskip(NEXT) | instid1(VALU_DEP_1)
	v_add_nc_u32_e32 v2, 0, v1
	v_add_nc_u32_e32 v3, v2, v1
	ds_load_b32 v1, v2
	ds_load_b64 v[2:3], v3 offset:1024
	s_cbranch_vccnz .LBB22_64
; %bb.57:                               ;   in Loop: Header=BB22_56 Depth=1
	v_mov_b64_e32 v[4:5], s[2:3]
	s_and_not1_b32 vcc_lo, exec_lo, s0
	s_mov_b32 s12, 0
	s_cbranch_vccnz .LBB22_60
; %bb.58:                               ;   in Loop: Header=BB22_56 Depth=1
	v_dual_mov_b32 v4, s2 :: v_dual_mov_b32 v5, 0
	s_mov_b32 s13, 0
	s_mov_b32 s14, s7
.LBB22_59:                              ;   Parent Loop BB22_56 Depth=1
                                        ; =>  This Inner Loop Header: Depth=2
	v_mov_b32_e32 v20, s13
	s_add_co_i32 s14, s14, -8
	s_add_co_i32 s12, s12, 16
	s_add_co_i32 s13, s13, 64
	s_cmp_lg_u32 s14, 0
	ds_load_2addr_b32 v[6:7], v20 offset1:1
	ds_load_2addr_b32 v[8:9], v20 offset0:2 offset1:3
	ds_load_2addr_b32 v[10:11], v20 offset0:4 offset1:5
	;; [unrolled: 1-line block ×7, first 2 shown]
	s_wait_dscnt 0x7
	v_cmp_gt_i32_e32 vcc_lo, v1, v7
	s_wait_dscnt 0x5
	v_cmp_gt_i32_e64 s1, v1, v10
	v_cndmask_b32_e64 v7, 0, 1, vcc_lo
	v_cmp_gt_i32_e32 vcc_lo, v1, v6
	v_cndmask_b32_e64 v6, 0, 1, vcc_lo
	v_cmp_gt_i32_e32 vcc_lo, v1, v8
	v_cndmask_b32_e64 v8, 0, 1, s1
	v_cmp_gt_i32_e64 s1, v1, v11
	s_delay_alu instid0(VALU_DEP_4) | instskip(NEXT) | instid1(VALU_DEP_2)
	v_add_co_ci_u32_e64 v4, null, v4, v6, vcc_lo
	v_cndmask_b32_e64 v10, 0, 1, s1
	s_wait_dscnt 0x4
	v_cmp_gt_i32_e64 s1, v1, v13
	s_wait_dscnt 0x2
	v_cmp_gt_i32_e32 vcc_lo, v1, v16
	s_delay_alu instid0(VALU_DEP_2) | instskip(SKIP_4) | instid1(VALU_DEP_3)
	v_cndmask_b32_e64 v11, 0, 1, s1
	v_cmp_gt_i32_e64 s1, v1, v12
	v_add_co_ci_u32_e64 v4, null, v4, v8, vcc_lo
	s_wait_dscnt 0x1
	v_cmp_gt_i32_e32 vcc_lo, v1, v18
	v_cndmask_b32_e64 v12, 0, 1, s1
	v_cmp_gt_i32_e64 s1, v1, v14
	s_delay_alu instid0(VALU_DEP_2) | instskip(NEXT) | instid1(VALU_DEP_2)
	v_add_co_ci_u32_e64 v4, null, v4, v12, vcc_lo
	v_cndmask_b32_e64 v13, 0, 1, s1
	v_cmp_gt_i32_e64 s1, v1, v15
	s_wait_dscnt 0x0
	v_cmp_gt_i32_e32 vcc_lo, v1, v20
	s_delay_alu instid0(VALU_DEP_2) | instskip(SKIP_2) | instid1(VALU_DEP_2)
	v_cndmask_b32_e64 v14, 0, 1, s1
	v_cmp_gt_i32_e64 s1, v1, v9
	v_add_co_ci_u32_e64 v4, null, v4, v13, vcc_lo
	v_add_co_ci_u32_e64 v5, null, v5, v7, s1
	v_cmp_gt_i32_e64 s1, v1, v17
	s_delay_alu instid0(VALU_DEP_1) | instskip(SKIP_1) | instid1(VALU_DEP_1)
	v_add_co_ci_u32_e64 v5, null, v5, v10, s1
	v_cmp_gt_i32_e64 s1, v1, v19
	v_add_co_ci_u32_e64 v5, null, v5, v11, s1
	v_cmp_gt_i32_e64 s1, v1, v21
	s_delay_alu instid0(VALU_DEP_1)
	v_add_co_ci_u32_e64 v5, null, v5, v14, s1
	s_cbranch_scc1 .LBB22_59
.LBB22_60:                              ;   in Loop: Header=BB22_56 Depth=1
	s_and_not1_b32 vcc_lo, exec_lo, s8
	s_cbranch_vccnz .LBB22_63
; %bb.61:                               ;   in Loop: Header=BB22_56 Depth=1
	s_lshl_b32 s1, s12, 2
	s_mov_b32 s12, s10
	s_add_co_i32 s1, s1, 0
.LBB22_62:                              ;   Parent Loop BB22_56 Depth=1
                                        ; =>  This Inner Loop Header: Depth=2
	s_delay_alu instid0(SALU_CYCLE_1)
	v_mov_b32_e32 v6, s1
	s_add_co_i32 s12, s12, -8
	s_add_co_i32 s1, s1, 8
	s_cmp_lg_u32 s12, 0
	ds_load_2addr_b32 v[6:7], v6 offset1:1
	s_wait_dscnt 0x0
	v_cmp_gt_i32_e32 vcc_lo, v1, v7
	v_add_co_ci_u32_e64 v5, null, 0, v5, vcc_lo
	v_cmp_gt_i32_e32 vcc_lo, v1, v6
	v_add_co_ci_u32_e64 v4, null, 0, v4, vcc_lo
	s_cbranch_scc1 .LBB22_62
.LBB22_63:                              ;   in Loop: Header=BB22_56 Depth=1
	s_delay_alu instid0(VALU_DEP_1)
	v_add_nc_u32_e32 v4, v4, v5
	s_mov_b32 s1, s5
	s_mov_b32 s12, s9
.LBB22_64:                              ;   in Loop: Header=BB22_56 Depth=1
	s_delay_alu instid0(SALU_CYCLE_1)
	s_and_b32 vcc_lo, exec_lo, s12
	s_cbranch_vccz .LBB22_55
; %bb.65:                               ;   in Loop: Header=BB22_56 Depth=1
	s_lshl_b32 s12, s1, 2
	s_delay_alu instid0(SALU_CYCLE_1)
	s_add_co_i32 s12, s12, 0
.LBB22_66:                              ;   Parent Loop BB22_56 Depth=1
                                        ; =>  This Inner Loop Header: Depth=2
	s_delay_alu instid0(SALU_CYCLE_1)
	v_mov_b32_e32 v5, s12
	s_add_co_i32 s1, s1, 1
	s_add_co_i32 s12, s12, 4
	s_cmp_ge_i32 s1, s4
	ds_load_b32 v5, v5
	s_wait_dscnt 0x0
	v_cmp_gt_i32_e32 vcc_lo, v1, v5
	v_add_co_ci_u32_e64 v4, null, 0, v4, vcc_lo
	s_cbranch_scc0 .LBB22_66
	s_branch .LBB22_55
.LBB22_67:
	s_endpgm
	.section	.rodata,"a",@progbits
	.p2align	6, 0x0
	.amdhsa_kernel _ZN9rocsparseL41csrgemm_numeric_fill_block_per_row_kernelILj128ELj16ELj256ELj137ELj32EiidEEvT5_PKS1_S3_NS_24const_host_device_scalarIT6_EEPKT4_S3_PKS5_S9_S3_SB_S6_S9_S3_SB_S9_S3_PS5_21rocsparse_index_base_SD_SD_SD_bbb
		.amdhsa_group_segment_fixed_size 0
		.amdhsa_private_segment_fixed_size 0
		.amdhsa_kernarg_size 156
		.amdhsa_user_sgpr_count 2
		.amdhsa_user_sgpr_dispatch_ptr 0
		.amdhsa_user_sgpr_queue_ptr 0
		.amdhsa_user_sgpr_kernarg_segment_ptr 1
		.amdhsa_user_sgpr_dispatch_id 0
		.amdhsa_user_sgpr_kernarg_preload_length 0
		.amdhsa_user_sgpr_kernarg_preload_offset 0
		.amdhsa_user_sgpr_private_segment_size 0
		.amdhsa_wavefront_size32 1
		.amdhsa_uses_dynamic_stack 0
		.amdhsa_enable_private_segment 0
		.amdhsa_system_sgpr_workgroup_id_x 1
		.amdhsa_system_sgpr_workgroup_id_y 0
		.amdhsa_system_sgpr_workgroup_id_z 0
		.amdhsa_system_sgpr_workgroup_info 0
		.amdhsa_system_vgpr_workitem_id 0
		.amdhsa_next_free_vgpr 22
		.amdhsa_next_free_sgpr 39
		.amdhsa_named_barrier_count 0
		.amdhsa_reserve_vcc 1
		.amdhsa_float_round_mode_32 0
		.amdhsa_float_round_mode_16_64 0
		.amdhsa_float_denorm_mode_32 3
		.amdhsa_float_denorm_mode_16_64 3
		.amdhsa_fp16_overflow 0
		.amdhsa_memory_ordered 1
		.amdhsa_forward_progress 1
		.amdhsa_inst_pref_size 23
		.amdhsa_round_robin_scheduling 0
		.amdhsa_exception_fp_ieee_invalid_op 0
		.amdhsa_exception_fp_denorm_src 0
		.amdhsa_exception_fp_ieee_div_zero 0
		.amdhsa_exception_fp_ieee_overflow 0
		.amdhsa_exception_fp_ieee_underflow 0
		.amdhsa_exception_fp_ieee_inexact 0
		.amdhsa_exception_int_div_zero 0
	.end_amdhsa_kernel
	.section	.text._ZN9rocsparseL41csrgemm_numeric_fill_block_per_row_kernelILj128ELj16ELj256ELj137ELj32EiidEEvT5_PKS1_S3_NS_24const_host_device_scalarIT6_EEPKT4_S3_PKS5_S9_S3_SB_S6_S9_S3_SB_S9_S3_PS5_21rocsparse_index_base_SD_SD_SD_bbb,"axG",@progbits,_ZN9rocsparseL41csrgemm_numeric_fill_block_per_row_kernelILj128ELj16ELj256ELj137ELj32EiidEEvT5_PKS1_S3_NS_24const_host_device_scalarIT6_EEPKT4_S3_PKS5_S9_S3_SB_S6_S9_S3_SB_S9_S3_PS5_21rocsparse_index_base_SD_SD_SD_bbb,comdat
.Lfunc_end22:
	.size	_ZN9rocsparseL41csrgemm_numeric_fill_block_per_row_kernelILj128ELj16ELj256ELj137ELj32EiidEEvT5_PKS1_S3_NS_24const_host_device_scalarIT6_EEPKT4_S3_PKS5_S9_S3_SB_S6_S9_S3_SB_S9_S3_PS5_21rocsparse_index_base_SD_SD_SD_bbb, .Lfunc_end22-_ZN9rocsparseL41csrgemm_numeric_fill_block_per_row_kernelILj128ELj16ELj256ELj137ELj32EiidEEvT5_PKS1_S3_NS_24const_host_device_scalarIT6_EEPKT4_S3_PKS5_S9_S3_SB_S6_S9_S3_SB_S9_S3_PS5_21rocsparse_index_base_SD_SD_SD_bbb
                                        ; -- End function
	.set _ZN9rocsparseL41csrgemm_numeric_fill_block_per_row_kernelILj128ELj16ELj256ELj137ELj32EiidEEvT5_PKS1_S3_NS_24const_host_device_scalarIT6_EEPKT4_S3_PKS5_S9_S3_SB_S6_S9_S3_SB_S9_S3_PS5_21rocsparse_index_base_SD_SD_SD_bbb.num_vgpr, 22
	.set _ZN9rocsparseL41csrgemm_numeric_fill_block_per_row_kernelILj128ELj16ELj256ELj137ELj32EiidEEvT5_PKS1_S3_NS_24const_host_device_scalarIT6_EEPKT4_S3_PKS5_S9_S3_SB_S6_S9_S3_SB_S9_S3_PS5_21rocsparse_index_base_SD_SD_SD_bbb.num_agpr, 0
	.set _ZN9rocsparseL41csrgemm_numeric_fill_block_per_row_kernelILj128ELj16ELj256ELj137ELj32EiidEEvT5_PKS1_S3_NS_24const_host_device_scalarIT6_EEPKT4_S3_PKS5_S9_S3_SB_S6_S9_S3_SB_S9_S3_PS5_21rocsparse_index_base_SD_SD_SD_bbb.numbered_sgpr, 39
	.set _ZN9rocsparseL41csrgemm_numeric_fill_block_per_row_kernelILj128ELj16ELj256ELj137ELj32EiidEEvT5_PKS1_S3_NS_24const_host_device_scalarIT6_EEPKT4_S3_PKS5_S9_S3_SB_S6_S9_S3_SB_S9_S3_PS5_21rocsparse_index_base_SD_SD_SD_bbb.num_named_barrier, 0
	.set _ZN9rocsparseL41csrgemm_numeric_fill_block_per_row_kernelILj128ELj16ELj256ELj137ELj32EiidEEvT5_PKS1_S3_NS_24const_host_device_scalarIT6_EEPKT4_S3_PKS5_S9_S3_SB_S6_S9_S3_SB_S9_S3_PS5_21rocsparse_index_base_SD_SD_SD_bbb.private_seg_size, 0
	.set _ZN9rocsparseL41csrgemm_numeric_fill_block_per_row_kernelILj128ELj16ELj256ELj137ELj32EiidEEvT5_PKS1_S3_NS_24const_host_device_scalarIT6_EEPKT4_S3_PKS5_S9_S3_SB_S6_S9_S3_SB_S9_S3_PS5_21rocsparse_index_base_SD_SD_SD_bbb.uses_vcc, 1
	.set _ZN9rocsparseL41csrgemm_numeric_fill_block_per_row_kernelILj128ELj16ELj256ELj137ELj32EiidEEvT5_PKS1_S3_NS_24const_host_device_scalarIT6_EEPKT4_S3_PKS5_S9_S3_SB_S6_S9_S3_SB_S9_S3_PS5_21rocsparse_index_base_SD_SD_SD_bbb.uses_flat_scratch, 0
	.set _ZN9rocsparseL41csrgemm_numeric_fill_block_per_row_kernelILj128ELj16ELj256ELj137ELj32EiidEEvT5_PKS1_S3_NS_24const_host_device_scalarIT6_EEPKT4_S3_PKS5_S9_S3_SB_S6_S9_S3_SB_S9_S3_PS5_21rocsparse_index_base_SD_SD_SD_bbb.has_dyn_sized_stack, 0
	.set _ZN9rocsparseL41csrgemm_numeric_fill_block_per_row_kernelILj128ELj16ELj256ELj137ELj32EiidEEvT5_PKS1_S3_NS_24const_host_device_scalarIT6_EEPKT4_S3_PKS5_S9_S3_SB_S6_S9_S3_SB_S9_S3_PS5_21rocsparse_index_base_SD_SD_SD_bbb.has_recursion, 0
	.set _ZN9rocsparseL41csrgemm_numeric_fill_block_per_row_kernelILj128ELj16ELj256ELj137ELj32EiidEEvT5_PKS1_S3_NS_24const_host_device_scalarIT6_EEPKT4_S3_PKS5_S9_S3_SB_S6_S9_S3_SB_S9_S3_PS5_21rocsparse_index_base_SD_SD_SD_bbb.has_indirect_call, 0
	.section	.AMDGPU.csdata,"",@progbits
; Kernel info:
; codeLenInByte = 2876
; TotalNumSgprs: 41
; NumVgprs: 22
; ScratchSize: 0
; MemoryBound: 0
; FloatMode: 240
; IeeeMode: 1
; LDSByteSize: 0 bytes/workgroup (compile time only)
; SGPRBlocks: 0
; VGPRBlocks: 1
; NumSGPRsForWavesPerEU: 41
; NumVGPRsForWavesPerEU: 22
; NamedBarCnt: 0
; Occupancy: 16
; WaveLimiterHint : 1
; COMPUTE_PGM_RSRC2:SCRATCH_EN: 0
; COMPUTE_PGM_RSRC2:USER_SGPR: 2
; COMPUTE_PGM_RSRC2:TRAP_HANDLER: 0
; COMPUTE_PGM_RSRC2:TGID_X_EN: 1
; COMPUTE_PGM_RSRC2:TGID_Y_EN: 0
; COMPUTE_PGM_RSRC2:TGID_Z_EN: 0
; COMPUTE_PGM_RSRC2:TIDIG_COMP_CNT: 0
	.section	.text._ZN9rocsparseL41csrgemm_numeric_fill_block_per_row_kernelILj128ELj16ELj256ELj137ELj64EiidEEvT5_PKS1_S3_NS_24const_host_device_scalarIT6_EEPKT4_S3_PKS5_S9_S3_SB_S6_S9_S3_SB_S9_S3_PS5_21rocsparse_index_base_SD_SD_SD_bbb,"axG",@progbits,_ZN9rocsparseL41csrgemm_numeric_fill_block_per_row_kernelILj128ELj16ELj256ELj137ELj64EiidEEvT5_PKS1_S3_NS_24const_host_device_scalarIT6_EEPKT4_S3_PKS5_S9_S3_SB_S6_S9_S3_SB_S9_S3_PS5_21rocsparse_index_base_SD_SD_SD_bbb,comdat
	.globl	_ZN9rocsparseL41csrgemm_numeric_fill_block_per_row_kernelILj128ELj16ELj256ELj137ELj64EiidEEvT5_PKS1_S3_NS_24const_host_device_scalarIT6_EEPKT4_S3_PKS5_S9_S3_SB_S6_S9_S3_SB_S9_S3_PS5_21rocsparse_index_base_SD_SD_SD_bbb ; -- Begin function _ZN9rocsparseL41csrgemm_numeric_fill_block_per_row_kernelILj128ELj16ELj256ELj137ELj64EiidEEvT5_PKS1_S3_NS_24const_host_device_scalarIT6_EEPKT4_S3_PKS5_S9_S3_SB_S6_S9_S3_SB_S9_S3_PS5_21rocsparse_index_base_SD_SD_SD_bbb
	.p2align	8
	.type	_ZN9rocsparseL41csrgemm_numeric_fill_block_per_row_kernelILj128ELj16ELj256ELj137ELj64EiidEEvT5_PKS1_S3_NS_24const_host_device_scalarIT6_EEPKT4_S3_PKS5_S9_S3_SB_S6_S9_S3_SB_S9_S3_PS5_21rocsparse_index_base_SD_SD_SD_bbb,@function
_ZN9rocsparseL41csrgemm_numeric_fill_block_per_row_kernelILj128ELj16ELj256ELj137ELj64EiidEEvT5_PKS1_S3_NS_24const_host_device_scalarIT6_EEPKT4_S3_PKS5_S9_S3_SB_S6_S9_S3_SB_S9_S3_PS5_21rocsparse_index_base_SD_SD_SD_bbb: ; @_ZN9rocsparseL41csrgemm_numeric_fill_block_per_row_kernelILj128ELj16ELj256ELj137ELj64EiidEEvT5_PKS1_S3_NS_24const_host_device_scalarIT6_EEPKT4_S3_PKS5_S9_S3_SB_S6_S9_S3_SB_S9_S3_PS5_21rocsparse_index_base_SD_SD_SD_bbb
; %bb.0:
	s_clause 0x2
	s_load_b32 s8, s[0:1], 0x98
	s_load_b64 s[4:5], s[0:1], 0x18
	s_load_b64 s[2:3], s[0:1], 0x50
	s_wait_kmcnt 0x0
	s_bitcmp1_b32 s8, 0
	s_cselect_b32 s36, -1, 0
	s_bitcmp1_b32 s8, 16
	s_cselect_b32 s9, -1, 0
	s_xor_b32 s6, s36, -1
	s_delay_alu instid0(SALU_CYCLE_1)
	s_or_b32 s10, s9, s6
	s_and_b32 s6, s36, exec_lo
	s_cselect_b32 s7, s5, 0
	s_cselect_b32 s6, s4, 0
	s_and_b32 vcc_lo, exec_lo, s10
	v_mov_b64_e32 v[4:5], s[6:7]
	s_cbranch_vccnz .LBB23_2
; %bb.1:
	v_mov_b32_e32 v1, 0
	flat_load_b64 v[4:5], v1, s[4:5]
.LBB23_2:
	s_wait_xcnt 0x0
	s_load_b128 s[4:7], s[0:1], 0x88
	s_bitcmp1_b32 s8, 8
	s_cselect_b32 s33, -1, 0
	s_delay_alu instid0(SALU_CYCLE_1) | instskip(NEXT) | instid1(SALU_CYCLE_1)
	s_xor_b32 s8, s33, -1
	s_or_b32 s10, s9, s8
	s_and_b32 s8, s33, exec_lo
	s_cselect_b32 s9, s3, 0
	s_cselect_b32 s8, s2, 0
	s_and_b32 vcc_lo, exec_lo, s10
	v_mov_b64_e32 v[2:3], s[8:9]
	s_cbranch_vccnz .LBB23_4
; %bb.3:
	v_mov_b32_e32 v1, 0
	flat_load_b64 v[2:3], v1, s[2:3]
.LBB23_4:
	s_clause 0x5
	s_load_b64 s[24:25], s[0:1], 0x80
	s_load_b128 s[8:11], s[0:1], 0x60
	s_load_b128 s[12:15], s[0:1], 0x40
	s_load_b64 s[28:29], s[0:1], 0x28
	s_load_b128 s[20:23], s[0:1], 0x8
	s_load_b32 s3, s[0:1], 0x0
	v_cmp_gt_u32_e64 s2, 0x100, v0
	v_lshlrev_b32_e32 v13, 3, v0
	v_or_b32_e32 v1, 0xffffff80, v0
	v_lshl_add_u32 v12, v0, 2, 0
	s_and_saveexec_b32 s16, s2
	s_cbranch_execz .LBB23_7
; %bb.5:
	v_mov_b64_e32 v[6:7], 0
	v_add3_u32 v8, v13, 0, 0x400
	v_or_b32_e32 v9, 0xffffff80, v0
	v_lshl_add_u32 v10, v0, 2, 0
	s_wait_kmcnt 0x0
	v_mov_b32_e32 v11, s3
	s_mov_b32 s17, 0
.LBB23_6:                               ; =>This Inner Loop Header: Depth=1
	v_add_co_u32 v9, s18, 0x80, v9
	s_xor_b32 s18, s18, -1
	ds_store_b32 v10, v11
	ds_store_b64 v8, v[6:7]
	v_add_nc_u32_e32 v8, 0x400, v8
	v_add_nc_u32_e32 v10, 0x200, v10
	s_and_b32 s18, exec_lo, s18
	s_delay_alu instid0(SALU_CYCLE_1) | instskip(NEXT) | instid1(SALU_CYCLE_1)
	s_or_b32 s17, s18, s17
	s_and_not1_b32 exec_lo, exec_lo, s17
	s_cbranch_execnz .LBB23_6
.LBB23_7:
	s_or_b32 exec_lo, exec_lo, s16
	s_clause 0x3
	s_load_b64 s[26:27], s[0:1], 0x70
	s_load_b64 s[30:31], s[0:1], 0x58
	;; [unrolled: 1-line block ×3, first 2 shown]
	s_load_b128 s[16:19], s[0:1], 0x30
	s_wait_loadcnt_dscnt 0x0
	s_barrier_signal -1
	s_barrier_wait -1
	s_wait_kmcnt 0x0
	s_load_b32 s0, s[20:21], 0x0
	s_bfe_u32 s1, ttmp6, 0x4000c
	s_wait_xcnt 0x0
	s_and_b32 s20, ttmp6, 15
	s_add_co_i32 s1, s1, 1
	s_getreg_b32 s21, hwreg(HW_REG_IB_STS2, 6, 4)
	s_mul_i32 s1, ttmp9, s1
	v_lshrrev_b32_e32 v14, 4, v0
	s_add_co_i32 s20, s20, s1
	s_cmp_eq_u32 s21, 0
	s_cselect_b32 s1, ttmp9, s20
	s_and_b32 vcc_lo, exec_lo, s36
	s_wait_kmcnt 0x0
	s_add_co_i32 s0, s0, s1
	s_load_b32 s20, s[22:23], s0 offset:0x0 scale_offset
	s_cbranch_vccz .LBB23_25
; %bb.8:
	s_wait_kmcnt 0x0
	s_ashr_i32 s21, s20, 31
	v_subrev_nc_u32_e32 v6, s4, v14
	s_lshl_b64 s[0:1], s[20:21], 2
	s_delay_alu instid0(SALU_CYCLE_1)
	s_add_nc_u64 s[0:1], s[34:35], s[0:1]
	s_load_b64 s[22:23], s[0:1], 0x0
	s_wait_xcnt 0x0
	s_mov_b32 s1, exec_lo
	s_wait_kmcnt 0x0
	v_add_nc_u32_e32 v6, s22, v6
	s_sub_co_i32 s0, s23, s4
	s_delay_alu instid0(VALU_DEP_1) | instid1(SALU_CYCLE_1)
	v_cmpx_gt_i32_e64 s0, v6
	s_cbranch_execz .LBB23_24
; %bb.9:
	v_and_b32_e32 v7, 15, v0
	s_mov_b32 s21, 0
	s_delay_alu instid0(VALU_DEP_1)
	v_subrev_nc_u32_e32 v15, s5, v7
	s_branch .LBB23_11
.LBB23_10:                              ;   in Loop: Header=BB23_11 Depth=1
	s_or_b32 exec_lo, exec_lo, s22
	v_add_nc_u32_e32 v6, 8, v6
	s_delay_alu instid0(VALU_DEP_1) | instskip(SKIP_1) | instid1(SALU_CYCLE_1)
	v_cmp_le_i32_e32 vcc_lo, s0, v6
	s_or_b32 s21, vcc_lo, s21
	s_and_not1_b32 exec_lo, exec_lo, s21
	s_cbranch_execz .LBB23_24
.LBB23_11:                              ; =>This Loop Header: Depth=1
                                        ;     Child Loop BB23_15 Depth 2
                                        ;       Child Loop BB23_18 Depth 3
	global_load_b32 v7, v6, s[28:29] scale_offset
	s_mov_b32 s22, exec_lo
	s_wait_loadcnt 0x0
	v_subrev_nc_u32_e32 v8, s4, v7
	s_delay_alu instid0(VALU_DEP_1) | instskip(NEXT) | instid1(VALU_DEP_1)
	v_ashrrev_i32_e32 v9, 31, v8
	v_lshl_add_u64 v[8:9], v[8:9], 2, s[18:19]
	global_load_b64 v[8:9], v[8:9], off
	s_wait_loadcnt 0x0
	v_subrev_nc_u32_e32 v16, s5, v9
	v_add_nc_u32_e32 v17, v8, v15
	s_wait_xcnt 0x0
	s_delay_alu instid0(VALU_DEP_1)
	v_cmpx_lt_i32_e64 v17, v16
	s_cbranch_execz .LBB23_10
; %bb.12:                               ;   in Loop: Header=BB23_11 Depth=1
	v_ashrrev_i32_e32 v7, 31, v6
	s_mov_b32 s23, 0
	s_delay_alu instid0(VALU_DEP_1)
	v_lshl_add_u64 v[8:9], v[6:7], 3, s[16:17]
	global_load_b64 v[8:9], v[8:9], off
	s_wait_loadcnt 0x0
	s_wait_xcnt 0x0
	v_mul_f64_e32 v[8:9], v[4:5], v[8:9]
	s_branch .LBB23_15
.LBB23_13:                              ;   in Loop: Header=BB23_15 Depth=2
	s_or_b32 exec_lo, exec_lo, s35
.LBB23_14:                              ;   in Loop: Header=BB23_15 Depth=2
	s_delay_alu instid0(SALU_CYCLE_1) | instskip(SKIP_3) | instid1(VALU_DEP_2)
	s_or_b32 exec_lo, exec_lo, s34
	s_wait_loadcnt 0x0
	v_dual_mul_f64 v[10:11], v[8:9], v[10:11] :: v_dual_add_nc_u32 v17, 16, v17
	v_lshl_add_u32 v7, v7, 3, 0
	v_cmp_ge_i32_e32 vcc_lo, v17, v16
	s_or_b32 s23, vcc_lo, s23
	ds_add_f64 v7, v[10:11] offset:1024
	s_and_not1_b32 exec_lo, exec_lo, s23
	s_cbranch_execz .LBB23_10
.LBB23_15:                              ;   Parent Loop BB23_11 Depth=1
                                        ; =>  This Loop Header: Depth=2
                                        ;       Child Loop BB23_18 Depth 3
	s_clause 0x1
	global_load_b32 v7, v17, s[12:13] scale_offset
	global_load_b64 v[10:11], v17, s[14:15] scale_offset
	s_mov_b32 s34, exec_lo
	s_wait_loadcnt 0x1
	v_subrev_nc_u32_e32 v18, s5, v7
	s_delay_alu instid0(VALU_DEP_1) | instskip(NEXT) | instid1(VALU_DEP_1)
	v_mul_lo_u32 v7, 0x89, v18
	v_and_b32_e32 v7, 0xff, v7
	s_delay_alu instid0(VALU_DEP_1)
	v_lshl_add_u32 v19, v7, 2, 0
	ds_load_b32 v20, v19
	s_wait_dscnt 0x0
	s_wait_xcnt 0x0
	v_cmpx_ne_u32_e64 v20, v18
	s_cbranch_execz .LBB23_14
; %bb.16:                               ;   in Loop: Header=BB23_15 Depth=2
	s_mov_b32 s35, 0
	s_branch .LBB23_18
.LBB23_17:                              ;   in Loop: Header=BB23_18 Depth=3
	s_or_b32 exec_lo, exec_lo, s38
	s_delay_alu instid0(SALU_CYCLE_1) | instskip(NEXT) | instid1(SALU_CYCLE_1)
	s_and_b32 s36, exec_lo, s37
	s_or_b32 s35, s36, s35
	s_delay_alu instid0(SALU_CYCLE_1)
	s_and_not1_b32 exec_lo, exec_lo, s35
	s_cbranch_execz .LBB23_13
.LBB23_18:                              ;   Parent Loop BB23_11 Depth=1
                                        ;     Parent Loop BB23_15 Depth=2
                                        ; =>    This Inner Loop Header: Depth=3
	s_mov_b32 s36, 0
	s_mov_b32 s37, exec_lo
	v_cmpx_ne_u32_e64 s3, v20
	s_xor_b32 s37, exec_lo, s37
	s_cbranch_execz .LBB23_20
; %bb.19:                               ;   in Loop: Header=BB23_18 Depth=3
	v_add_nc_u32_e32 v7, 1, v7
	s_mov_b32 s36, exec_lo
                                        ; implicit-def: $vgpr19
	s_delay_alu instid0(VALU_DEP_1)
	v_and_b32_e32 v7, 0xff, v7
	s_and_not1_saveexec_b32 s37, s37
	s_cbranch_execz .LBB23_22
	s_branch .LBB23_21
.LBB23_20:                              ;   in Loop: Header=BB23_18 Depth=3
	s_and_not1_saveexec_b32 s37, s37
	s_cbranch_execz .LBB23_22
.LBB23_21:                              ;   in Loop: Header=BB23_18 Depth=3
	v_mov_b32_e32 v20, s3
	s_and_not1_b32 s36, s36, exec_lo
	ds_cmpstore_rtn_b32 v19, v19, v18, v20
	s_wait_dscnt 0x0
	v_cmp_ne_u32_e32 vcc_lo, s3, v19
	s_and_b32 s38, vcc_lo, exec_lo
	s_delay_alu instid0(SALU_CYCLE_1)
	s_or_b32 s36, s36, s38
.LBB23_22:                              ;   in Loop: Header=BB23_18 Depth=3
	s_or_b32 exec_lo, exec_lo, s37
	s_mov_b32 s37, -1
                                        ; implicit-def: $vgpr19
                                        ; implicit-def: $vgpr20
	s_and_saveexec_b32 s38, s36
	s_cbranch_execz .LBB23_17
; %bb.23:                               ;   in Loop: Header=BB23_18 Depth=3
	v_lshl_add_u32 v19, v7, 2, 0
	ds_load_b32 v20, v19
	s_wait_dscnt 0x0
	v_cmp_eq_u32_e32 vcc_lo, v20, v18
	s_or_not1_b32 s37, vcc_lo, exec_lo
	s_branch .LBB23_17
.LBB23_24:
	s_or_b32 exec_lo, exec_lo, s1
.LBB23_25:
	s_delay_alu instid0(SALU_CYCLE_1)
	s_and_not1_b32 vcc_lo, exec_lo, s33
	s_cbranch_vccnz .LBB23_40
; %bb.26:
	s_wait_kmcnt 0x0
	s_ashr_i32 s21, s20, 31
	v_subrev_nc_u32_e32 v4, s7, v0
	s_lshl_b64 s[0:1], s[20:21], 2
	s_delay_alu instid0(SALU_CYCLE_1)
	s_add_nc_u64 s[0:1], s[30:31], s[0:1]
	s_load_b64 s[4:5], s[0:1], 0x0
	s_wait_xcnt 0x0
	s_mov_b32 s1, exec_lo
	s_wait_kmcnt 0x0
	v_add_nc_u32_e32 v6, s4, v4
	s_sub_co_i32 s0, s5, s7
	s_delay_alu instid0(VALU_DEP_1) | instid1(SALU_CYCLE_1)
	v_cmpx_gt_i32_e64 s0, v6
	s_cbranch_execz .LBB23_39
; %bb.27:
	s_mov_b32 s4, 0
	s_branch .LBB23_30
.LBB23_28:                              ;   in Loop: Header=BB23_30 Depth=1
	s_or_b32 exec_lo, exec_lo, s12
.LBB23_29:                              ;   in Loop: Header=BB23_30 Depth=1
	s_delay_alu instid0(SALU_CYCLE_1) | instskip(SKIP_4) | instid1(VALU_DEP_1)
	s_or_b32 exec_lo, exec_lo, s5
	s_wait_loadcnt 0x0
	v_mul_f64_e32 v[4:5], v[2:3], v[4:5]
	v_lshl_add_u32 v7, v7, 3, 0
	v_add_nc_u32_e32 v6, 0x80, v6
	v_cmp_le_i32_e32 vcc_lo, s0, v6
	s_or_b32 s4, vcc_lo, s4
	ds_add_f64 v7, v[4:5] offset:1024
	s_and_not1_b32 exec_lo, exec_lo, s4
	s_cbranch_execz .LBB23_39
.LBB23_30:                              ; =>This Loop Header: Depth=1
                                        ;     Child Loop BB23_33 Depth 2
	s_clause 0x1
	global_load_b32 v7, v6, s[8:9] scale_offset
	global_load_b64 v[4:5], v6, s[10:11] scale_offset
	s_mov_b32 s5, exec_lo
	s_wait_loadcnt 0x1
	v_subrev_nc_u32_e32 v8, s7, v7
	s_delay_alu instid0(VALU_DEP_1) | instskip(NEXT) | instid1(VALU_DEP_1)
	v_mul_lo_u32 v7, 0x89, v8
	v_and_b32_e32 v7, 0xff, v7
	s_delay_alu instid0(VALU_DEP_1)
	v_lshl_add_u32 v9, v7, 2, 0
	ds_load_b32 v10, v9
	s_wait_dscnt 0x0
	s_wait_xcnt 0x0
	v_cmpx_ne_u32_e64 v10, v8
	s_cbranch_execz .LBB23_29
; %bb.31:                               ;   in Loop: Header=BB23_30 Depth=1
	s_mov_b32 s12, 0
	s_branch .LBB23_33
.LBB23_32:                              ;   in Loop: Header=BB23_33 Depth=2
	s_or_b32 exec_lo, exec_lo, s15
	s_delay_alu instid0(SALU_CYCLE_1) | instskip(NEXT) | instid1(SALU_CYCLE_1)
	s_and_b32 s13, exec_lo, s14
	s_or_b32 s12, s13, s12
	s_delay_alu instid0(SALU_CYCLE_1)
	s_and_not1_b32 exec_lo, exec_lo, s12
	s_cbranch_execz .LBB23_28
.LBB23_33:                              ;   Parent Loop BB23_30 Depth=1
                                        ; =>  This Inner Loop Header: Depth=2
	s_mov_b32 s13, 0
	s_mov_b32 s14, exec_lo
	v_cmpx_ne_u32_e64 s3, v10
	s_xor_b32 s14, exec_lo, s14
	s_cbranch_execz .LBB23_35
; %bb.34:                               ;   in Loop: Header=BB23_33 Depth=2
	v_add_nc_u32_e32 v7, 1, v7
	s_mov_b32 s13, exec_lo
                                        ; implicit-def: $vgpr9
	s_delay_alu instid0(VALU_DEP_1)
	v_and_b32_e32 v7, 0xff, v7
	s_and_not1_saveexec_b32 s14, s14
	s_cbranch_execz .LBB23_37
	s_branch .LBB23_36
.LBB23_35:                              ;   in Loop: Header=BB23_33 Depth=2
	s_and_not1_saveexec_b32 s14, s14
	s_cbranch_execz .LBB23_37
.LBB23_36:                              ;   in Loop: Header=BB23_33 Depth=2
	v_mov_b32_e32 v10, s3
	s_and_not1_b32 s13, s13, exec_lo
	ds_cmpstore_rtn_b32 v9, v9, v8, v10
	s_wait_dscnt 0x0
	v_cmp_ne_u32_e32 vcc_lo, s3, v9
	s_and_b32 s15, vcc_lo, exec_lo
	s_delay_alu instid0(SALU_CYCLE_1)
	s_or_b32 s13, s13, s15
.LBB23_37:                              ;   in Loop: Header=BB23_33 Depth=2
	s_or_b32 exec_lo, exec_lo, s14
	s_mov_b32 s14, -1
                                        ; implicit-def: $vgpr9
                                        ; implicit-def: $vgpr10
	s_and_saveexec_b32 s15, s13
	s_cbranch_execz .LBB23_32
; %bb.38:                               ;   in Loop: Header=BB23_33 Depth=2
	v_lshl_add_u32 v9, v7, 2, 0
	ds_load_b32 v10, v9
	s_wait_dscnt 0x0
	v_cmp_eq_u32_e32 vcc_lo, v10, v8
	s_or_not1_b32 s14, vcc_lo, exec_lo
	s_branch .LBB23_32
.LBB23_39:
	s_or_b32 exec_lo, exec_lo, s1
.LBB23_40:
	s_wait_dscnt 0x0
	s_barrier_signal -1
	s_barrier_wait -1
	s_and_saveexec_b32 s4, s2
	s_cbranch_execz .LBB23_49
; %bb.41:
	v_mbcnt_lo_u32_b32 v2, -1, 0
	v_dual_mov_b32 v3, 0 :: v_dual_bitop2_b32 v4, 4, v14 bitop3:0x40
	s_wait_xcnt 0x0
	v_cmp_eq_u32_e64 s0, 0x7f, v0
	v_add3_u32 v6, v13, 0, 0x400
	v_dual_mov_b32 v8, 0 :: v_dual_bitop2_b32 v2, 31, v2 bitop3:0x14
	v_add_nc_u32_e32 v7, 0, v4
	s_mov_b32 s2, 0
	v_cmp_lt_u32_e32 vcc_lo, 63, v0
	s_delay_alu instid0(VALU_DEP_3)
	v_lshrrev_b32_e64 v2, v2, -1
	s_branch .LBB23_43
.LBB23_42:                              ;   in Loop: Header=BB23_43 Depth=1
	s_or_b32 exec_lo, exec_lo, s1
	s_wait_dscnt 0x0
	s_barrier_signal -1
	s_barrier_wait -1
	ds_load_b32 v4, v3 offset:3076
	v_add_co_u32 v1, s1, 0x80, v1
	s_xor_b32 s1, s1, -1
	v_add_nc_u32_e32 v6, 0x400, v6
	v_add_nc_u32_e32 v12, 0x200, v12
	s_and_b32 s1, exec_lo, s1
	s_delay_alu instid0(SALU_CYCLE_1)
	s_or_b32 s2, s1, s2
	s_wait_dscnt 0x0
	v_add_nc_u32_e32 v8, v4, v8
	s_and_not1_b32 exec_lo, exec_lo, s2
	s_cbranch_execz .LBB23_49
.LBB23_43:                              ; =>This Inner Loop Header: Depth=1
	ds_load_b32 v9, v12
	ds_load_b64 v[4:5], v6
	s_wait_dscnt 0x0
	s_barrier_signal -1
	s_barrier_wait -1
	v_cmp_gt_i32_e64 s1, s3, v9
	s_bcnt1_i32_b32 s5, s1
	s_delay_alu instid0(SALU_CYCLE_1) | instskip(NEXT) | instid1(VALU_DEP_1)
	v_dual_mov_b32 v11, s5 :: v_dual_bitop2_b32 v10, s1, v2 bitop3:0x40
	v_bcnt_u32_b32 v10, v10, 0
	ds_store_b32 v7, v11 offset:3072
	s_wait_dscnt 0x0
	s_barrier_signal -1
	s_barrier_wait -1
	s_and_saveexec_b32 s5, vcc_lo
	s_cbranch_execz .LBB23_46
; %bb.44:                               ;   in Loop: Header=BB23_43 Depth=1
	ds_load_b32 v11, v3 offset:3072
	s_wait_dscnt 0x0
	v_add_nc_u32_e32 v10, v11, v10
	s_or_b32 exec_lo, exec_lo, s5
	s_and_saveexec_b32 s5, s1
	s_cbranch_execnz .LBB23_47
.LBB23_45:                              ;   in Loop: Header=BB23_43 Depth=1
	s_or_b32 exec_lo, exec_lo, s5
	s_and_saveexec_b32 s1, s0
	s_cbranch_execz .LBB23_42
	s_branch .LBB23_48
.LBB23_46:                              ;   in Loop: Header=BB23_43 Depth=1
	s_or_b32 exec_lo, exec_lo, s5
	s_and_saveexec_b32 s5, s1
	s_cbranch_execz .LBB23_45
.LBB23_47:                              ;   in Loop: Header=BB23_43 Depth=1
	s_delay_alu instid0(VALU_DEP_1) | instskip(SKIP_1) | instid1(VALU_DEP_2)
	v_add3_u32 v11, v8, -1, v10
	v_add_nc_u32_e32 v13, v8, v10
	v_lshl_add_u32 v11, v11, 2, 0
	s_delay_alu instid0(VALU_DEP_2)
	v_lshl_add_u32 v13, v13, 3, 0
	ds_store_b32 v11, v9
	ds_store_b64 v13, v[4:5] offset:1016
	s_or_b32 exec_lo, exec_lo, s5
	s_and_saveexec_b32 s1, s0
	s_cbranch_execz .LBB23_42
.LBB23_48:                              ;   in Loop: Header=BB23_43 Depth=1
	ds_store_b32 v3, v10 offset:3076
	s_branch .LBB23_42
.LBB23_49:
	s_or_b32 exec_lo, exec_lo, s4
	s_wait_kmcnt 0x0
	s_ashr_i32 s21, s20, 31
	s_delay_alu instid0(SALU_CYCLE_1) | instskip(NEXT) | instid1(SALU_CYCLE_1)
	s_lshl_b64 s[0:1], s[20:21], 2
	s_add_nc_u64 s[2:3], s[26:27], s[0:1]
	s_load_b64 s[0:1], s[2:3], 0x0
	s_wait_kmcnt 0x0
	s_sub_co_i32 s4, s1, s0
	s_mov_b32 s1, exec_lo
	v_cmpx_gt_i32_e64 s4, v0
	s_cbranch_execz .LBB23_63
; %bb.50:
	v_sub_co_u32 v1, s1, s4, 2
	s_sub_co_i32 s2, s0, s6
	s_xor_b32 s6, s1, -1
	s_and_b32 s5, s4, -2
	v_readfirstlane_b32 s3, v1
	s_lshr_b32 s0, s3, 1
	s_mov_b32 s3, 0
	s_add_co_i32 s0, s0, 1
	s_mov_b32 s11, s3
	s_and_b32 s1, s0, 7
	s_and_b32 s7, s0, -8
	s_cmp_lg_u32 s1, 0
	v_cmp_lt_u32_e64 s0, 13, v1
	s_cselect_b32 s8, -1, 0
	s_cmp_lg_u32 s4, s5
	s_cselect_b32 s9, -1, 0
	s_lshl_b32 s10, s1, 3
	s_branch .LBB23_52
.LBB23_51:                              ;   in Loop: Header=BB23_52 Depth=1
	v_add_nc_u32_e32 v0, 0x80, v0
	s_wait_dscnt 0x0
	global_store_b64 v4, v[2:3], s[24:25] scale_offset
	v_cmp_le_i32_e32 vcc_lo, s4, v0
	s_or_b32 s11, vcc_lo, s11
	s_wait_xcnt 0x0
	s_and_not1_b32 exec_lo, exec_lo, s11
	s_cbranch_execz .LBB23_63
.LBB23_52:                              ; =>This Loop Header: Depth=1
                                        ;     Child Loop BB23_55 Depth 2
                                        ;     Child Loop BB23_58 Depth 2
	;; [unrolled: 1-line block ×3, first 2 shown]
	v_dual_mov_b32 v4, s2 :: v_dual_lshlrev_b32 v1, 2, v0
	s_and_not1_b32 vcc_lo, exec_lo, s6
	s_mov_b32 s1, 0
	s_mov_b32 s12, -1
	s_delay_alu instid0(VALU_DEP_1) | instskip(NEXT) | instid1(VALU_DEP_1)
	v_add_nc_u32_e32 v2, 0, v1
	v_add_nc_u32_e32 v3, v2, v1
	ds_load_b32 v1, v2
	ds_load_b64 v[2:3], v3 offset:1024
	s_cbranch_vccnz .LBB23_60
; %bb.53:                               ;   in Loop: Header=BB23_52 Depth=1
	v_mov_b64_e32 v[4:5], s[2:3]
	s_and_not1_b32 vcc_lo, exec_lo, s0
	s_mov_b32 s12, 0
	s_cbranch_vccnz .LBB23_56
; %bb.54:                               ;   in Loop: Header=BB23_52 Depth=1
	v_dual_mov_b32 v4, s2 :: v_dual_mov_b32 v5, 0
	s_mov_b32 s13, 0
	s_mov_b32 s14, s7
.LBB23_55:                              ;   Parent Loop BB23_52 Depth=1
                                        ; =>  This Inner Loop Header: Depth=2
	v_mov_b32_e32 v20, s13
	s_add_co_i32 s14, s14, -8
	s_add_co_i32 s12, s12, 16
	s_add_co_i32 s13, s13, 64
	s_cmp_lg_u32 s14, 0
	ds_load_2addr_b32 v[6:7], v20 offset1:1
	ds_load_2addr_b32 v[8:9], v20 offset0:2 offset1:3
	ds_load_2addr_b32 v[10:11], v20 offset0:4 offset1:5
	;; [unrolled: 1-line block ×7, first 2 shown]
	s_wait_dscnt 0x7
	v_cmp_gt_i32_e32 vcc_lo, v1, v7
	s_wait_dscnt 0x5
	v_cmp_gt_i32_e64 s1, v1, v10
	v_cndmask_b32_e64 v7, 0, 1, vcc_lo
	v_cmp_gt_i32_e32 vcc_lo, v1, v6
	v_cndmask_b32_e64 v6, 0, 1, vcc_lo
	v_cmp_gt_i32_e32 vcc_lo, v1, v8
	v_cndmask_b32_e64 v8, 0, 1, s1
	v_cmp_gt_i32_e64 s1, v1, v11
	s_delay_alu instid0(VALU_DEP_4) | instskip(NEXT) | instid1(VALU_DEP_2)
	v_add_co_ci_u32_e64 v4, null, v4, v6, vcc_lo
	v_cndmask_b32_e64 v10, 0, 1, s1
	s_wait_dscnt 0x4
	v_cmp_gt_i32_e64 s1, v1, v13
	s_wait_dscnt 0x2
	v_cmp_gt_i32_e32 vcc_lo, v1, v16
	s_delay_alu instid0(VALU_DEP_2) | instskip(SKIP_4) | instid1(VALU_DEP_3)
	v_cndmask_b32_e64 v11, 0, 1, s1
	v_cmp_gt_i32_e64 s1, v1, v12
	v_add_co_ci_u32_e64 v4, null, v4, v8, vcc_lo
	s_wait_dscnt 0x1
	v_cmp_gt_i32_e32 vcc_lo, v1, v18
	v_cndmask_b32_e64 v12, 0, 1, s1
	v_cmp_gt_i32_e64 s1, v1, v14
	s_delay_alu instid0(VALU_DEP_2) | instskip(NEXT) | instid1(VALU_DEP_2)
	v_add_co_ci_u32_e64 v4, null, v4, v12, vcc_lo
	v_cndmask_b32_e64 v13, 0, 1, s1
	v_cmp_gt_i32_e64 s1, v1, v15
	s_wait_dscnt 0x0
	v_cmp_gt_i32_e32 vcc_lo, v1, v20
	s_delay_alu instid0(VALU_DEP_2) | instskip(SKIP_2) | instid1(VALU_DEP_2)
	v_cndmask_b32_e64 v14, 0, 1, s1
	v_cmp_gt_i32_e64 s1, v1, v9
	v_add_co_ci_u32_e64 v4, null, v4, v13, vcc_lo
	v_add_co_ci_u32_e64 v5, null, v5, v7, s1
	v_cmp_gt_i32_e64 s1, v1, v17
	s_delay_alu instid0(VALU_DEP_1) | instskip(SKIP_1) | instid1(VALU_DEP_1)
	v_add_co_ci_u32_e64 v5, null, v5, v10, s1
	v_cmp_gt_i32_e64 s1, v1, v19
	v_add_co_ci_u32_e64 v5, null, v5, v11, s1
	v_cmp_gt_i32_e64 s1, v1, v21
	s_delay_alu instid0(VALU_DEP_1)
	v_add_co_ci_u32_e64 v5, null, v5, v14, s1
	s_cbranch_scc1 .LBB23_55
.LBB23_56:                              ;   in Loop: Header=BB23_52 Depth=1
	s_and_not1_b32 vcc_lo, exec_lo, s8
	s_cbranch_vccnz .LBB23_59
; %bb.57:                               ;   in Loop: Header=BB23_52 Depth=1
	s_lshl_b32 s1, s12, 2
	s_mov_b32 s12, s10
	s_add_co_i32 s1, s1, 0
.LBB23_58:                              ;   Parent Loop BB23_52 Depth=1
                                        ; =>  This Inner Loop Header: Depth=2
	s_delay_alu instid0(SALU_CYCLE_1)
	v_mov_b32_e32 v6, s1
	s_add_co_i32 s12, s12, -8
	s_add_co_i32 s1, s1, 8
	s_cmp_lg_u32 s12, 0
	ds_load_2addr_b32 v[6:7], v6 offset1:1
	s_wait_dscnt 0x0
	v_cmp_gt_i32_e32 vcc_lo, v1, v7
	v_add_co_ci_u32_e64 v5, null, 0, v5, vcc_lo
	v_cmp_gt_i32_e32 vcc_lo, v1, v6
	v_add_co_ci_u32_e64 v4, null, 0, v4, vcc_lo
	s_cbranch_scc1 .LBB23_58
.LBB23_59:                              ;   in Loop: Header=BB23_52 Depth=1
	s_delay_alu instid0(VALU_DEP_1)
	v_add_nc_u32_e32 v4, v4, v5
	s_mov_b32 s1, s5
	s_mov_b32 s12, s9
.LBB23_60:                              ;   in Loop: Header=BB23_52 Depth=1
	s_delay_alu instid0(SALU_CYCLE_1)
	s_and_b32 vcc_lo, exec_lo, s12
	s_cbranch_vccz .LBB23_51
; %bb.61:                               ;   in Loop: Header=BB23_52 Depth=1
	s_lshl_b32 s12, s1, 2
	s_delay_alu instid0(SALU_CYCLE_1)
	s_add_co_i32 s12, s12, 0
.LBB23_62:                              ;   Parent Loop BB23_52 Depth=1
                                        ; =>  This Inner Loop Header: Depth=2
	s_delay_alu instid0(SALU_CYCLE_1)
	v_mov_b32_e32 v5, s12
	s_add_co_i32 s1, s1, 1
	s_add_co_i32 s12, s12, 4
	s_cmp_ge_i32 s1, s4
	ds_load_b32 v5, v5
	s_wait_dscnt 0x0
	v_cmp_gt_i32_e32 vcc_lo, v1, v5
	v_add_co_ci_u32_e64 v4, null, 0, v4, vcc_lo
	s_cbranch_scc0 .LBB23_62
	s_branch .LBB23_51
.LBB23_63:
	s_endpgm
	.section	.rodata,"a",@progbits
	.p2align	6, 0x0
	.amdhsa_kernel _ZN9rocsparseL41csrgemm_numeric_fill_block_per_row_kernelILj128ELj16ELj256ELj137ELj64EiidEEvT5_PKS1_S3_NS_24const_host_device_scalarIT6_EEPKT4_S3_PKS5_S9_S3_SB_S6_S9_S3_SB_S9_S3_PS5_21rocsparse_index_base_SD_SD_SD_bbb
		.amdhsa_group_segment_fixed_size 0
		.amdhsa_private_segment_fixed_size 0
		.amdhsa_kernarg_size 156
		.amdhsa_user_sgpr_count 2
		.amdhsa_user_sgpr_dispatch_ptr 0
		.amdhsa_user_sgpr_queue_ptr 0
		.amdhsa_user_sgpr_kernarg_segment_ptr 1
		.amdhsa_user_sgpr_dispatch_id 0
		.amdhsa_user_sgpr_kernarg_preload_length 0
		.amdhsa_user_sgpr_kernarg_preload_offset 0
		.amdhsa_user_sgpr_private_segment_size 0
		.amdhsa_wavefront_size32 1
		.amdhsa_uses_dynamic_stack 0
		.amdhsa_enable_private_segment 0
		.amdhsa_system_sgpr_workgroup_id_x 1
		.amdhsa_system_sgpr_workgroup_id_y 0
		.amdhsa_system_sgpr_workgroup_id_z 0
		.amdhsa_system_sgpr_workgroup_info 0
		.amdhsa_system_vgpr_workitem_id 0
		.amdhsa_next_free_vgpr 22
		.amdhsa_next_free_sgpr 39
		.amdhsa_named_barrier_count 0
		.amdhsa_reserve_vcc 1
		.amdhsa_float_round_mode_32 0
		.amdhsa_float_round_mode_16_64 0
		.amdhsa_float_denorm_mode_32 3
		.amdhsa_float_denorm_mode_16_64 3
		.amdhsa_fp16_overflow 0
		.amdhsa_memory_ordered 1
		.amdhsa_forward_progress 1
		.amdhsa_inst_pref_size 22
		.amdhsa_round_robin_scheduling 0
		.amdhsa_exception_fp_ieee_invalid_op 0
		.amdhsa_exception_fp_denorm_src 0
		.amdhsa_exception_fp_ieee_div_zero 0
		.amdhsa_exception_fp_ieee_overflow 0
		.amdhsa_exception_fp_ieee_underflow 0
		.amdhsa_exception_fp_ieee_inexact 0
		.amdhsa_exception_int_div_zero 0
	.end_amdhsa_kernel
	.section	.text._ZN9rocsparseL41csrgemm_numeric_fill_block_per_row_kernelILj128ELj16ELj256ELj137ELj64EiidEEvT5_PKS1_S3_NS_24const_host_device_scalarIT6_EEPKT4_S3_PKS5_S9_S3_SB_S6_S9_S3_SB_S9_S3_PS5_21rocsparse_index_base_SD_SD_SD_bbb,"axG",@progbits,_ZN9rocsparseL41csrgemm_numeric_fill_block_per_row_kernelILj128ELj16ELj256ELj137ELj64EiidEEvT5_PKS1_S3_NS_24const_host_device_scalarIT6_EEPKT4_S3_PKS5_S9_S3_SB_S6_S9_S3_SB_S9_S3_PS5_21rocsparse_index_base_SD_SD_SD_bbb,comdat
.Lfunc_end23:
	.size	_ZN9rocsparseL41csrgemm_numeric_fill_block_per_row_kernelILj128ELj16ELj256ELj137ELj64EiidEEvT5_PKS1_S3_NS_24const_host_device_scalarIT6_EEPKT4_S3_PKS5_S9_S3_SB_S6_S9_S3_SB_S9_S3_PS5_21rocsparse_index_base_SD_SD_SD_bbb, .Lfunc_end23-_ZN9rocsparseL41csrgemm_numeric_fill_block_per_row_kernelILj128ELj16ELj256ELj137ELj64EiidEEvT5_PKS1_S3_NS_24const_host_device_scalarIT6_EEPKT4_S3_PKS5_S9_S3_SB_S6_S9_S3_SB_S9_S3_PS5_21rocsparse_index_base_SD_SD_SD_bbb
                                        ; -- End function
	.set _ZN9rocsparseL41csrgemm_numeric_fill_block_per_row_kernelILj128ELj16ELj256ELj137ELj64EiidEEvT5_PKS1_S3_NS_24const_host_device_scalarIT6_EEPKT4_S3_PKS5_S9_S3_SB_S6_S9_S3_SB_S9_S3_PS5_21rocsparse_index_base_SD_SD_SD_bbb.num_vgpr, 22
	.set _ZN9rocsparseL41csrgemm_numeric_fill_block_per_row_kernelILj128ELj16ELj256ELj137ELj64EiidEEvT5_PKS1_S3_NS_24const_host_device_scalarIT6_EEPKT4_S3_PKS5_S9_S3_SB_S6_S9_S3_SB_S9_S3_PS5_21rocsparse_index_base_SD_SD_SD_bbb.num_agpr, 0
	.set _ZN9rocsparseL41csrgemm_numeric_fill_block_per_row_kernelILj128ELj16ELj256ELj137ELj64EiidEEvT5_PKS1_S3_NS_24const_host_device_scalarIT6_EEPKT4_S3_PKS5_S9_S3_SB_S6_S9_S3_SB_S9_S3_PS5_21rocsparse_index_base_SD_SD_SD_bbb.numbered_sgpr, 39
	.set _ZN9rocsparseL41csrgemm_numeric_fill_block_per_row_kernelILj128ELj16ELj256ELj137ELj64EiidEEvT5_PKS1_S3_NS_24const_host_device_scalarIT6_EEPKT4_S3_PKS5_S9_S3_SB_S6_S9_S3_SB_S9_S3_PS5_21rocsparse_index_base_SD_SD_SD_bbb.num_named_barrier, 0
	.set _ZN9rocsparseL41csrgemm_numeric_fill_block_per_row_kernelILj128ELj16ELj256ELj137ELj64EiidEEvT5_PKS1_S3_NS_24const_host_device_scalarIT6_EEPKT4_S3_PKS5_S9_S3_SB_S6_S9_S3_SB_S9_S3_PS5_21rocsparse_index_base_SD_SD_SD_bbb.private_seg_size, 0
	.set _ZN9rocsparseL41csrgemm_numeric_fill_block_per_row_kernelILj128ELj16ELj256ELj137ELj64EiidEEvT5_PKS1_S3_NS_24const_host_device_scalarIT6_EEPKT4_S3_PKS5_S9_S3_SB_S6_S9_S3_SB_S9_S3_PS5_21rocsparse_index_base_SD_SD_SD_bbb.uses_vcc, 1
	.set _ZN9rocsparseL41csrgemm_numeric_fill_block_per_row_kernelILj128ELj16ELj256ELj137ELj64EiidEEvT5_PKS1_S3_NS_24const_host_device_scalarIT6_EEPKT4_S3_PKS5_S9_S3_SB_S6_S9_S3_SB_S9_S3_PS5_21rocsparse_index_base_SD_SD_SD_bbb.uses_flat_scratch, 0
	.set _ZN9rocsparseL41csrgemm_numeric_fill_block_per_row_kernelILj128ELj16ELj256ELj137ELj64EiidEEvT5_PKS1_S3_NS_24const_host_device_scalarIT6_EEPKT4_S3_PKS5_S9_S3_SB_S6_S9_S3_SB_S9_S3_PS5_21rocsparse_index_base_SD_SD_SD_bbb.has_dyn_sized_stack, 0
	.set _ZN9rocsparseL41csrgemm_numeric_fill_block_per_row_kernelILj128ELj16ELj256ELj137ELj64EiidEEvT5_PKS1_S3_NS_24const_host_device_scalarIT6_EEPKT4_S3_PKS5_S9_S3_SB_S6_S9_S3_SB_S9_S3_PS5_21rocsparse_index_base_SD_SD_SD_bbb.has_recursion, 0
	.set _ZN9rocsparseL41csrgemm_numeric_fill_block_per_row_kernelILj128ELj16ELj256ELj137ELj64EiidEEvT5_PKS1_S3_NS_24const_host_device_scalarIT6_EEPKT4_S3_PKS5_S9_S3_SB_S6_S9_S3_SB_S9_S3_PS5_21rocsparse_index_base_SD_SD_SD_bbb.has_indirect_call, 0
	.section	.AMDGPU.csdata,"",@progbits
; Kernel info:
; codeLenInByte = 2772
; TotalNumSgprs: 41
; NumVgprs: 22
; ScratchSize: 0
; MemoryBound: 0
; FloatMode: 240
; IeeeMode: 1
; LDSByteSize: 0 bytes/workgroup (compile time only)
; SGPRBlocks: 0
; VGPRBlocks: 1
; NumSGPRsForWavesPerEU: 41
; NumVGPRsForWavesPerEU: 22
; NamedBarCnt: 0
; Occupancy: 16
; WaveLimiterHint : 1
; COMPUTE_PGM_RSRC2:SCRATCH_EN: 0
; COMPUTE_PGM_RSRC2:USER_SGPR: 2
; COMPUTE_PGM_RSRC2:TRAP_HANDLER: 0
; COMPUTE_PGM_RSRC2:TGID_X_EN: 1
; COMPUTE_PGM_RSRC2:TGID_Y_EN: 0
; COMPUTE_PGM_RSRC2:TGID_Z_EN: 0
; COMPUTE_PGM_RSRC2:TIDIG_COMP_CNT: 0
	.section	.text._ZN9rocsparseL41csrgemm_numeric_fill_block_per_row_kernelILj256ELj32ELj512ELj137ELj32EiidEEvT5_PKS1_S3_NS_24const_host_device_scalarIT6_EEPKT4_S3_PKS5_S9_S3_SB_S6_S9_S3_SB_S9_S3_PS5_21rocsparse_index_base_SD_SD_SD_bbb,"axG",@progbits,_ZN9rocsparseL41csrgemm_numeric_fill_block_per_row_kernelILj256ELj32ELj512ELj137ELj32EiidEEvT5_PKS1_S3_NS_24const_host_device_scalarIT6_EEPKT4_S3_PKS5_S9_S3_SB_S6_S9_S3_SB_S9_S3_PS5_21rocsparse_index_base_SD_SD_SD_bbb,comdat
	.globl	_ZN9rocsparseL41csrgemm_numeric_fill_block_per_row_kernelILj256ELj32ELj512ELj137ELj32EiidEEvT5_PKS1_S3_NS_24const_host_device_scalarIT6_EEPKT4_S3_PKS5_S9_S3_SB_S6_S9_S3_SB_S9_S3_PS5_21rocsparse_index_base_SD_SD_SD_bbb ; -- Begin function _ZN9rocsparseL41csrgemm_numeric_fill_block_per_row_kernelILj256ELj32ELj512ELj137ELj32EiidEEvT5_PKS1_S3_NS_24const_host_device_scalarIT6_EEPKT4_S3_PKS5_S9_S3_SB_S6_S9_S3_SB_S9_S3_PS5_21rocsparse_index_base_SD_SD_SD_bbb
	.p2align	8
	.type	_ZN9rocsparseL41csrgemm_numeric_fill_block_per_row_kernelILj256ELj32ELj512ELj137ELj32EiidEEvT5_PKS1_S3_NS_24const_host_device_scalarIT6_EEPKT4_S3_PKS5_S9_S3_SB_S6_S9_S3_SB_S9_S3_PS5_21rocsparse_index_base_SD_SD_SD_bbb,@function
_ZN9rocsparseL41csrgemm_numeric_fill_block_per_row_kernelILj256ELj32ELj512ELj137ELj32EiidEEvT5_PKS1_S3_NS_24const_host_device_scalarIT6_EEPKT4_S3_PKS5_S9_S3_SB_S6_S9_S3_SB_S9_S3_PS5_21rocsparse_index_base_SD_SD_SD_bbb: ; @_ZN9rocsparseL41csrgemm_numeric_fill_block_per_row_kernelILj256ELj32ELj512ELj137ELj32EiidEEvT5_PKS1_S3_NS_24const_host_device_scalarIT6_EEPKT4_S3_PKS5_S9_S3_SB_S6_S9_S3_SB_S9_S3_PS5_21rocsparse_index_base_SD_SD_SD_bbb
; %bb.0:
	s_clause 0x2
	s_load_b32 s6, s[0:1], 0x98
	s_load_b64 s[4:5], s[0:1], 0x18
	s_load_b64 s[2:3], s[0:1], 0x50
	s_wait_kmcnt 0x0
	s_bitcmp1_b32 s6, 0
	s_cselect_b32 s37, -1, 0
	s_bitcmp1_b32 s6, 16
	s_cselect_b32 s7, -1, 0
	s_xor_b32 s8, s37, -1
	s_delay_alu instid0(SALU_CYCLE_1)
	s_or_b32 s10, s7, s8
	s_and_b32 s8, s37, exec_lo
	s_cselect_b32 s9, s5, 0
	s_cselect_b32 s8, s4, 0
	s_and_b32 vcc_lo, exec_lo, s10
	v_mov_b64_e32 v[4:5], s[8:9]
	s_cbranch_vccnz .LBB24_2
; %bb.1:
	v_mov_b32_e32 v1, 0
	flat_load_b64 v[4:5], v1, s[4:5]
.LBB24_2:
	s_load_b128 s[8:11], s[0:1], 0x88
	s_bitcmp1_b32 s6, 8
	s_cselect_b32 s36, -1, 0
	s_delay_alu instid0(SALU_CYCLE_1) | instskip(NEXT) | instid1(SALU_CYCLE_1)
	s_xor_b32 s4, s36, -1
	s_or_b32 s6, s7, s4
	s_and_b32 s4, s36, exec_lo
	s_cselect_b32 s5, s3, 0
	s_cselect_b32 s4, s2, 0
	s_and_b32 vcc_lo, exec_lo, s6
	v_mov_b64_e32 v[2:3], s[4:5]
	s_cbranch_vccnz .LBB24_4
; %bb.3:
	v_mov_b32_e32 v1, 0
	flat_load_b64 v[2:3], v1, s[2:3]
.LBB24_4:
	s_clause 0x5
	s_load_b64 s[24:25], s[0:1], 0x80
	s_load_b128 s[4:7], s[0:1], 0x60
	s_load_b128 s[12:15], s[0:1], 0x40
	s_load_b64 s[28:29], s[0:1], 0x28
	s_load_b128 s[20:23], s[0:1], 0x8
	s_load_b32 s33, s[0:1], 0x0
	v_cmp_gt_u32_e64 s2, 0x200, v0
	v_lshlrev_b32_e32 v13, 3, v0
	v_or_b32_e32 v1, 0xffffff00, v0
	v_lshl_add_u32 v12, v0, 2, 0
	s_and_saveexec_b32 s3, s2
	s_cbranch_execz .LBB24_7
; %bb.5:
	v_mov_b64_e32 v[6:7], 0
	v_add3_u32 v8, v13, 0, 0x800
	v_or_b32_e32 v9, 0xffffff00, v0
	v_lshl_add_u32 v10, v0, 2, 0
	s_wait_kmcnt 0x0
	v_mov_b32_e32 v11, s33
	s_mov_b32 s16, 0
.LBB24_6:                               ; =>This Inner Loop Header: Depth=1
	v_add_co_u32 v9, s17, 0x100, v9
	s_xor_b32 s17, s17, -1
	ds_store_b32 v10, v11
	ds_store_b64 v8, v[6:7]
	v_add_nc_u32_e32 v8, 0x800, v8
	v_add_nc_u32_e32 v10, 0x400, v10
	s_and_b32 s17, exec_lo, s17
	s_delay_alu instid0(SALU_CYCLE_1) | instskip(NEXT) | instid1(SALU_CYCLE_1)
	s_or_b32 s16, s17, s16
	s_and_not1_b32 exec_lo, exec_lo, s16
	s_cbranch_execnz .LBB24_6
.LBB24_7:
	s_or_b32 exec_lo, exec_lo, s3
	s_clause 0x3
	s_load_b64 s[26:27], s[0:1], 0x70
	s_load_b64 s[30:31], s[0:1], 0x58
	;; [unrolled: 1-line block ×3, first 2 shown]
	s_load_b128 s[16:19], s[0:1], 0x30
	s_wait_loadcnt_dscnt 0x0
	s_barrier_signal -1
	s_barrier_wait -1
	s_wait_kmcnt 0x0
	s_load_b32 s0, s[20:21], 0x0
	s_bfe_u32 s1, ttmp6, 0x4000c
	s_and_b32 s3, ttmp6, 15
	s_add_co_i32 s1, s1, 1
	s_wait_xcnt 0x0
	s_getreg_b32 s20, hwreg(HW_REG_IB_STS2, 6, 4)
	s_mul_i32 s1, ttmp9, s1
	v_lshrrev_b32_e32 v14, 5, v0
	s_add_co_i32 s3, s3, s1
	s_cmp_eq_u32 s20, 0
	s_cselect_b32 s1, ttmp9, s3
	s_and_b32 vcc_lo, exec_lo, s37
	s_wait_kmcnt 0x0
	s_add_co_i32 s0, s0, s1
	s_load_b32 s20, s[22:23], s0 offset:0x0 scale_offset
	s_cbranch_vccz .LBB24_25
; %bb.8:
	s_wait_kmcnt 0x0
	s_ashr_i32 s21, s20, 31
	v_subrev_nc_u32_e32 v6, s8, v14
	s_lshl_b64 s[0:1], s[20:21], 2
	s_delay_alu instid0(SALU_CYCLE_1)
	s_add_nc_u64 s[0:1], s[34:35], s[0:1]
	s_load_b64 s[22:23], s[0:1], 0x0
	s_wait_xcnt 0x0
	s_mov_b32 s1, exec_lo
	s_wait_kmcnt 0x0
	v_add_nc_u32_e32 v6, s22, v6
	s_sub_co_i32 s0, s23, s8
	s_delay_alu instid0(VALU_DEP_1) | instid1(SALU_CYCLE_1)
	v_cmpx_gt_i32_e64 s0, v6
	s_cbranch_execz .LBB24_24
; %bb.9:
	v_and_b32_e32 v7, 31, v0
	s_mov_b32 s3, 0
	s_delay_alu instid0(VALU_DEP_1)
	v_subrev_nc_u32_e32 v15, s9, v7
	s_branch .LBB24_11
.LBB24_10:                              ;   in Loop: Header=BB24_11 Depth=1
	s_or_b32 exec_lo, exec_lo, s21
	v_add_nc_u32_e32 v6, 8, v6
	s_delay_alu instid0(VALU_DEP_1) | instskip(SKIP_1) | instid1(SALU_CYCLE_1)
	v_cmp_le_i32_e32 vcc_lo, s0, v6
	s_or_b32 s3, vcc_lo, s3
	s_and_not1_b32 exec_lo, exec_lo, s3
	s_cbranch_execz .LBB24_24
.LBB24_11:                              ; =>This Loop Header: Depth=1
                                        ;     Child Loop BB24_15 Depth 2
                                        ;       Child Loop BB24_18 Depth 3
	global_load_b32 v7, v6, s[28:29] scale_offset
	s_mov_b32 s21, exec_lo
	s_wait_loadcnt 0x0
	v_subrev_nc_u32_e32 v8, s8, v7
	s_delay_alu instid0(VALU_DEP_1) | instskip(NEXT) | instid1(VALU_DEP_1)
	v_ashrrev_i32_e32 v9, 31, v8
	v_lshl_add_u64 v[8:9], v[8:9], 2, s[18:19]
	global_load_b64 v[8:9], v[8:9], off
	s_wait_loadcnt 0x0
	v_subrev_nc_u32_e32 v16, s9, v9
	v_add_nc_u32_e32 v17, v8, v15
	s_wait_xcnt 0x0
	s_delay_alu instid0(VALU_DEP_1)
	v_cmpx_lt_i32_e64 v17, v16
	s_cbranch_execz .LBB24_10
; %bb.12:                               ;   in Loop: Header=BB24_11 Depth=1
	v_ashrrev_i32_e32 v7, 31, v6
	s_mov_b32 s22, 0
	s_delay_alu instid0(VALU_DEP_1)
	v_lshl_add_u64 v[8:9], v[6:7], 3, s[16:17]
	global_load_b64 v[8:9], v[8:9], off
	s_wait_loadcnt 0x0
	s_wait_xcnt 0x0
	v_mul_f64_e32 v[8:9], v[4:5], v[8:9]
	s_branch .LBB24_15
.LBB24_13:                              ;   in Loop: Header=BB24_15 Depth=2
	s_or_b32 exec_lo, exec_lo, s34
.LBB24_14:                              ;   in Loop: Header=BB24_15 Depth=2
	s_delay_alu instid0(SALU_CYCLE_1) | instskip(SKIP_3) | instid1(VALU_DEP_2)
	s_or_b32 exec_lo, exec_lo, s23
	s_wait_loadcnt 0x0
	v_dual_mul_f64 v[10:11], v[8:9], v[10:11] :: v_dual_add_nc_u32 v17, 32, v17
	v_lshl_add_u32 v7, v7, 3, 0
	v_cmp_ge_i32_e32 vcc_lo, v17, v16
	s_or_b32 s22, vcc_lo, s22
	ds_add_f64 v7, v[10:11] offset:2048
	s_and_not1_b32 exec_lo, exec_lo, s22
	s_cbranch_execz .LBB24_10
.LBB24_15:                              ;   Parent Loop BB24_11 Depth=1
                                        ; =>  This Loop Header: Depth=2
                                        ;       Child Loop BB24_18 Depth 3
	s_clause 0x1
	global_load_b32 v7, v17, s[12:13] scale_offset
	global_load_b64 v[10:11], v17, s[14:15] scale_offset
	s_mov_b32 s23, exec_lo
	s_wait_loadcnt 0x1
	v_subrev_nc_u32_e32 v18, s9, v7
	s_delay_alu instid0(VALU_DEP_1) | instskip(NEXT) | instid1(VALU_DEP_1)
	v_mul_lo_u32 v7, 0x89, v18
	v_and_b32_e32 v7, 0x1ff, v7
	s_delay_alu instid0(VALU_DEP_1)
	v_lshl_add_u32 v19, v7, 2, 0
	ds_load_b32 v20, v19
	s_wait_dscnt 0x0
	s_wait_xcnt 0x0
	v_cmpx_ne_u32_e64 v20, v18
	s_cbranch_execz .LBB24_14
; %bb.16:                               ;   in Loop: Header=BB24_15 Depth=2
	s_mov_b32 s34, 0
	s_branch .LBB24_18
.LBB24_17:                              ;   in Loop: Header=BB24_18 Depth=3
	s_or_b32 exec_lo, exec_lo, s38
	s_delay_alu instid0(SALU_CYCLE_1) | instskip(NEXT) | instid1(SALU_CYCLE_1)
	s_and_b32 s35, exec_lo, s37
	s_or_b32 s34, s35, s34
	s_delay_alu instid0(SALU_CYCLE_1)
	s_and_not1_b32 exec_lo, exec_lo, s34
	s_cbranch_execz .LBB24_13
.LBB24_18:                              ;   Parent Loop BB24_11 Depth=1
                                        ;     Parent Loop BB24_15 Depth=2
                                        ; =>    This Inner Loop Header: Depth=3
	s_mov_b32 s35, 0
	s_mov_b32 s37, exec_lo
	v_cmpx_ne_u32_e64 s33, v20
	s_xor_b32 s37, exec_lo, s37
	s_cbranch_execz .LBB24_20
; %bb.19:                               ;   in Loop: Header=BB24_18 Depth=3
	v_add_nc_u32_e32 v7, 1, v7
	s_mov_b32 s35, exec_lo
                                        ; implicit-def: $vgpr19
	s_delay_alu instid0(VALU_DEP_1)
	v_and_b32_e32 v7, 0x1ff, v7
	s_and_not1_saveexec_b32 s37, s37
	s_cbranch_execz .LBB24_22
	s_branch .LBB24_21
.LBB24_20:                              ;   in Loop: Header=BB24_18 Depth=3
	s_and_not1_saveexec_b32 s37, s37
	s_cbranch_execz .LBB24_22
.LBB24_21:                              ;   in Loop: Header=BB24_18 Depth=3
	v_mov_b32_e32 v20, s33
	s_and_not1_b32 s35, s35, exec_lo
	ds_cmpstore_rtn_b32 v19, v19, v18, v20
	s_wait_dscnt 0x0
	v_cmp_ne_u32_e32 vcc_lo, s33, v19
	s_and_b32 s38, vcc_lo, exec_lo
	s_delay_alu instid0(SALU_CYCLE_1)
	s_or_b32 s35, s35, s38
.LBB24_22:                              ;   in Loop: Header=BB24_18 Depth=3
	s_or_b32 exec_lo, exec_lo, s37
	s_mov_b32 s37, -1
                                        ; implicit-def: $vgpr19
                                        ; implicit-def: $vgpr20
	s_and_saveexec_b32 s38, s35
	s_cbranch_execz .LBB24_17
; %bb.23:                               ;   in Loop: Header=BB24_18 Depth=3
	v_lshl_add_u32 v19, v7, 2, 0
	ds_load_b32 v20, v19
	s_wait_dscnt 0x0
	v_cmp_eq_u32_e32 vcc_lo, v20, v18
	s_or_not1_b32 s37, vcc_lo, exec_lo
	s_branch .LBB24_17
.LBB24_24:
	s_or_b32 exec_lo, exec_lo, s1
.LBB24_25:
	s_delay_alu instid0(SALU_CYCLE_1)
	s_and_not1_b32 vcc_lo, exec_lo, s36
	s_cbranch_vccnz .LBB24_40
; %bb.26:
	s_wait_kmcnt 0x0
	s_ashr_i32 s21, s20, 31
	v_subrev_nc_u32_e32 v4, s11, v0
	s_lshl_b64 s[0:1], s[20:21], 2
	s_delay_alu instid0(SALU_CYCLE_1)
	s_add_nc_u64 s[0:1], s[30:31], s[0:1]
	s_load_b64 s[8:9], s[0:1], 0x0
	s_wait_xcnt 0x0
	s_mov_b32 s1, exec_lo
	s_wait_kmcnt 0x0
	v_add_nc_u32_e32 v6, s8, v4
	s_sub_co_i32 s0, s9, s11
	s_delay_alu instid0(VALU_DEP_1) | instid1(SALU_CYCLE_1)
	v_cmpx_gt_i32_e64 s0, v6
	s_cbranch_execz .LBB24_39
; %bb.27:
	s_mov_b32 s3, 0
	s_branch .LBB24_30
.LBB24_28:                              ;   in Loop: Header=BB24_30 Depth=1
	s_or_b32 exec_lo, exec_lo, s9
.LBB24_29:                              ;   in Loop: Header=BB24_30 Depth=1
	s_delay_alu instid0(SALU_CYCLE_1) | instskip(SKIP_4) | instid1(VALU_DEP_1)
	s_or_b32 exec_lo, exec_lo, s8
	s_wait_loadcnt 0x0
	v_mul_f64_e32 v[4:5], v[2:3], v[4:5]
	v_lshl_add_u32 v7, v7, 3, 0
	v_add_nc_u32_e32 v6, 0x100, v6
	v_cmp_le_i32_e32 vcc_lo, s0, v6
	s_or_b32 s3, vcc_lo, s3
	ds_add_f64 v7, v[4:5] offset:2048
	s_and_not1_b32 exec_lo, exec_lo, s3
	s_cbranch_execz .LBB24_39
.LBB24_30:                              ; =>This Loop Header: Depth=1
                                        ;     Child Loop BB24_33 Depth 2
	s_clause 0x1
	global_load_b32 v7, v6, s[4:5] scale_offset
	global_load_b64 v[4:5], v6, s[6:7] scale_offset
	s_mov_b32 s8, exec_lo
	s_wait_loadcnt 0x1
	v_subrev_nc_u32_e32 v8, s11, v7
	s_delay_alu instid0(VALU_DEP_1) | instskip(NEXT) | instid1(VALU_DEP_1)
	v_mul_lo_u32 v7, 0x89, v8
	v_and_b32_e32 v7, 0x1ff, v7
	s_delay_alu instid0(VALU_DEP_1)
	v_lshl_add_u32 v9, v7, 2, 0
	ds_load_b32 v10, v9
	s_wait_dscnt 0x0
	s_wait_xcnt 0x0
	v_cmpx_ne_u32_e64 v10, v8
	s_cbranch_execz .LBB24_29
; %bb.31:                               ;   in Loop: Header=BB24_30 Depth=1
	s_mov_b32 s9, 0
	s_branch .LBB24_33
.LBB24_32:                              ;   in Loop: Header=BB24_33 Depth=2
	s_or_b32 exec_lo, exec_lo, s14
	s_delay_alu instid0(SALU_CYCLE_1) | instskip(NEXT) | instid1(SALU_CYCLE_1)
	s_and_b32 s12, exec_lo, s13
	s_or_b32 s9, s12, s9
	s_delay_alu instid0(SALU_CYCLE_1)
	s_and_not1_b32 exec_lo, exec_lo, s9
	s_cbranch_execz .LBB24_28
.LBB24_33:                              ;   Parent Loop BB24_30 Depth=1
                                        ; =>  This Inner Loop Header: Depth=2
	s_mov_b32 s12, 0
	s_mov_b32 s13, exec_lo
	v_cmpx_ne_u32_e64 s33, v10
	s_xor_b32 s13, exec_lo, s13
	s_cbranch_execz .LBB24_35
; %bb.34:                               ;   in Loop: Header=BB24_33 Depth=2
	v_add_nc_u32_e32 v7, 1, v7
	s_mov_b32 s12, exec_lo
                                        ; implicit-def: $vgpr9
	s_delay_alu instid0(VALU_DEP_1)
	v_and_b32_e32 v7, 0x1ff, v7
	s_and_not1_saveexec_b32 s13, s13
	s_cbranch_execz .LBB24_37
	s_branch .LBB24_36
.LBB24_35:                              ;   in Loop: Header=BB24_33 Depth=2
	s_and_not1_saveexec_b32 s13, s13
	s_cbranch_execz .LBB24_37
.LBB24_36:                              ;   in Loop: Header=BB24_33 Depth=2
	v_mov_b32_e32 v10, s33
	s_and_not1_b32 s12, s12, exec_lo
	ds_cmpstore_rtn_b32 v9, v9, v8, v10
	s_wait_dscnt 0x0
	v_cmp_ne_u32_e32 vcc_lo, s33, v9
	s_and_b32 s14, vcc_lo, exec_lo
	s_delay_alu instid0(SALU_CYCLE_1)
	s_or_b32 s12, s12, s14
.LBB24_37:                              ;   in Loop: Header=BB24_33 Depth=2
	s_or_b32 exec_lo, exec_lo, s13
	s_mov_b32 s13, -1
                                        ; implicit-def: $vgpr9
                                        ; implicit-def: $vgpr10
	s_and_saveexec_b32 s14, s12
	s_cbranch_execz .LBB24_32
; %bb.38:                               ;   in Loop: Header=BB24_33 Depth=2
	v_lshl_add_u32 v9, v7, 2, 0
	ds_load_b32 v10, v9
	s_wait_dscnt 0x0
	v_cmp_eq_u32_e32 vcc_lo, v10, v8
	s_or_not1_b32 s13, vcc_lo, exec_lo
	s_branch .LBB24_32
.LBB24_39:
	s_or_b32 exec_lo, exec_lo, s1
.LBB24_40:
	s_wait_dscnt 0x0
	s_barrier_signal -1
	s_barrier_wait -1
	s_and_saveexec_b32 s8, s2
	s_cbranch_execz .LBB24_61
; %bb.41:
	v_mbcnt_lo_u32_b32 v2, -1, 0
	v_mov_b32_e32 v3, 0
	v_lshl_add_u32 v6, v14, 2, 0
	s_wait_xcnt 0x0
	v_cmp_lt_u32_e64 s0, 31, v0
	v_cmp_lt_u32_e64 s1, 63, v0
	v_xor_b32_e32 v2, 31, v2
	v_cmp_lt_u32_e64 s2, 0x5f, v0
	v_cmp_lt_u32_e64 s3, 0x7f, v0
	;; [unrolled: 1-line block ×4, first 2 shown]
	v_lshrrev_b32_e64 v2, v2, -1
	v_cmp_lt_u32_e64 s6, 0xdf, v0
	v_add3_u32 v7, v13, 0, 0x800
	v_mov_b32_e32 v8, 0
	s_mov_b32 s9, 0
	v_cmp_eq_u32_e32 vcc_lo, 0xff, v0
	s_branch .LBB24_43
.LBB24_42:                              ;   in Loop: Header=BB24_43 Depth=1
	s_or_b32 exec_lo, exec_lo, s7
	s_wait_dscnt 0x0
	s_barrier_signal -1
	s_barrier_wait -1
	ds_load_b32 v4, v3 offset:6172
	v_add_co_u32 v1, s7, 0x100, v1
	s_xor_b32 s7, s7, -1
	v_add_nc_u32_e32 v7, 0x800, v7
	v_add_nc_u32_e32 v12, 0x400, v12
	s_and_b32 s7, exec_lo, s7
	s_delay_alu instid0(SALU_CYCLE_1)
	s_or_b32 s9, s7, s9
	s_wait_dscnt 0x0
	v_add_nc_u32_e32 v8, v4, v8
	s_and_not1_b32 exec_lo, exec_lo, s9
	s_cbranch_execz .LBB24_61
.LBB24_43:                              ; =>This Inner Loop Header: Depth=1
	ds_load_b32 v9, v12
	ds_load_b64 v[4:5], v7
	s_wait_dscnt 0x0
	s_barrier_signal -1
	s_barrier_wait -1
	v_cmp_gt_i32_e64 s7, s33, v9
	s_bcnt1_i32_b32 s11, s7
	s_delay_alu instid0(SALU_CYCLE_1) | instskip(NEXT) | instid1(VALU_DEP_1)
	v_dual_mov_b32 v11, s11 :: v_dual_bitop2_b32 v10, s7, v2 bitop3:0x40
	v_bcnt_u32_b32 v10, v10, 0
	ds_store_b32 v6, v11 offset:6144
	s_wait_dscnt 0x0
	s_barrier_signal -1
	s_barrier_wait -1
	s_and_saveexec_b32 s11, s0
	s_cbranch_execz .LBB24_52
; %bb.44:                               ;   in Loop: Header=BB24_43 Depth=1
	ds_load_b32 v11, v3 offset:6144
	s_wait_dscnt 0x0
	v_add_nc_u32_e32 v10, v11, v10
	s_or_b32 exec_lo, exec_lo, s11
	s_and_saveexec_b32 s11, s1
	s_cbranch_execnz .LBB24_53
.LBB24_45:                              ;   in Loop: Header=BB24_43 Depth=1
	s_or_b32 exec_lo, exec_lo, s11
	s_and_saveexec_b32 s11, s2
	s_cbranch_execz .LBB24_54
.LBB24_46:                              ;   in Loop: Header=BB24_43 Depth=1
	ds_load_b32 v11, v3 offset:6152
	s_wait_dscnt 0x0
	v_add_nc_u32_e32 v10, v11, v10
	s_or_b32 exec_lo, exec_lo, s11
	s_and_saveexec_b32 s11, s3
	s_cbranch_execnz .LBB24_55
.LBB24_47:                              ;   in Loop: Header=BB24_43 Depth=1
	s_or_b32 exec_lo, exec_lo, s11
	s_and_saveexec_b32 s11, s4
	s_cbranch_execz .LBB24_56
.LBB24_48:                              ;   in Loop: Header=BB24_43 Depth=1
	ds_load_b32 v11, v3 offset:6160
	s_wait_dscnt 0x0
	v_add_nc_u32_e32 v10, v11, v10
	s_or_b32 exec_lo, exec_lo, s11
	s_and_saveexec_b32 s11, s5
	s_cbranch_execnz .LBB24_57
.LBB24_49:                              ;   in Loop: Header=BB24_43 Depth=1
	s_or_b32 exec_lo, exec_lo, s11
	s_and_saveexec_b32 s11, s6
	s_cbranch_execz .LBB24_58
.LBB24_50:                              ;   in Loop: Header=BB24_43 Depth=1
	ds_load_b32 v11, v3 offset:6168
	s_wait_dscnt 0x0
	v_add_nc_u32_e32 v10, v11, v10
	s_or_b32 exec_lo, exec_lo, s11
	s_and_saveexec_b32 s11, s7
	s_cbranch_execnz .LBB24_59
.LBB24_51:                              ;   in Loop: Header=BB24_43 Depth=1
	s_or_b32 exec_lo, exec_lo, s11
	s_and_saveexec_b32 s7, vcc_lo
	s_cbranch_execz .LBB24_42
	s_branch .LBB24_60
.LBB24_52:                              ;   in Loop: Header=BB24_43 Depth=1
	s_or_b32 exec_lo, exec_lo, s11
	s_and_saveexec_b32 s11, s1
	s_cbranch_execz .LBB24_45
.LBB24_53:                              ;   in Loop: Header=BB24_43 Depth=1
	ds_load_b32 v11, v3 offset:6148
	s_wait_dscnt 0x0
	v_add_nc_u32_e32 v10, v11, v10
	s_or_b32 exec_lo, exec_lo, s11
	s_and_saveexec_b32 s11, s2
	s_cbranch_execnz .LBB24_46
.LBB24_54:                              ;   in Loop: Header=BB24_43 Depth=1
	s_or_b32 exec_lo, exec_lo, s11
	s_and_saveexec_b32 s11, s3
	s_cbranch_execz .LBB24_47
.LBB24_55:                              ;   in Loop: Header=BB24_43 Depth=1
	ds_load_b32 v11, v3 offset:6156
	s_wait_dscnt 0x0
	v_add_nc_u32_e32 v10, v11, v10
	s_or_b32 exec_lo, exec_lo, s11
	s_and_saveexec_b32 s11, s4
	s_cbranch_execnz .LBB24_48
.LBB24_56:                              ;   in Loop: Header=BB24_43 Depth=1
	s_or_b32 exec_lo, exec_lo, s11
	s_and_saveexec_b32 s11, s5
	s_cbranch_execz .LBB24_49
.LBB24_57:                              ;   in Loop: Header=BB24_43 Depth=1
	ds_load_b32 v11, v3 offset:6164
	s_wait_dscnt 0x0
	v_add_nc_u32_e32 v10, v11, v10
	s_or_b32 exec_lo, exec_lo, s11
	s_and_saveexec_b32 s11, s6
	s_cbranch_execnz .LBB24_50
.LBB24_58:                              ;   in Loop: Header=BB24_43 Depth=1
	s_or_b32 exec_lo, exec_lo, s11
	s_and_saveexec_b32 s11, s7
	s_cbranch_execz .LBB24_51
.LBB24_59:                              ;   in Loop: Header=BB24_43 Depth=1
	s_delay_alu instid0(VALU_DEP_1) | instskip(SKIP_1) | instid1(VALU_DEP_2)
	v_add3_u32 v11, v8, -1, v10
	v_add_nc_u32_e32 v13, v8, v10
	v_lshl_add_u32 v11, v11, 2, 0
	s_delay_alu instid0(VALU_DEP_2)
	v_lshl_add_u32 v13, v13, 3, 0
	ds_store_b32 v11, v9
	ds_store_b64 v13, v[4:5] offset:2040
	s_or_b32 exec_lo, exec_lo, s11
	s_and_saveexec_b32 s7, vcc_lo
	s_cbranch_execz .LBB24_42
.LBB24_60:                              ;   in Loop: Header=BB24_43 Depth=1
	ds_store_b32 v3, v10 offset:6172
	s_branch .LBB24_42
.LBB24_61:
	s_or_b32 exec_lo, exec_lo, s8
	s_wait_kmcnt 0x0
	s_ashr_i32 s21, s20, 31
	s_delay_alu instid0(SALU_CYCLE_1) | instskip(NEXT) | instid1(SALU_CYCLE_1)
	s_lshl_b64 s[0:1], s[20:21], 2
	s_add_nc_u64 s[2:3], s[26:27], s[0:1]
	s_load_b64 s[0:1], s[2:3], 0x0
	s_wait_kmcnt 0x0
	s_sub_co_i32 s4, s1, s0
	s_mov_b32 s1, exec_lo
	v_cmpx_gt_i32_e64 s4, v0
	s_cbranch_execz .LBB24_75
; %bb.62:
	v_sub_co_u32 v1, s1, s4, 2
	s_sub_co_i32 s2, s0, s10
	s_xor_b32 s6, s1, -1
	s_and_b32 s5, s4, -2
	v_readfirstlane_b32 s3, v1
	s_lshr_b32 s0, s3, 1
	s_mov_b32 s3, 0
	s_add_co_i32 s0, s0, 1
	s_mov_b32 s11, s3
	s_and_b32 s1, s0, 7
	s_and_b32 s7, s0, -8
	s_cmp_lg_u32 s1, 0
	v_cmp_lt_u32_e64 s0, 13, v1
	s_cselect_b32 s8, -1, 0
	s_cmp_lg_u32 s4, s5
	s_cselect_b32 s9, -1, 0
	s_lshl_b32 s10, s1, 3
	s_branch .LBB24_64
.LBB24_63:                              ;   in Loop: Header=BB24_64 Depth=1
	v_add_nc_u32_e32 v0, 0x100, v0
	s_wait_dscnt 0x0
	global_store_b64 v4, v[2:3], s[24:25] scale_offset
	v_cmp_le_i32_e32 vcc_lo, s4, v0
	s_or_b32 s11, vcc_lo, s11
	s_wait_xcnt 0x0
	s_and_not1_b32 exec_lo, exec_lo, s11
	s_cbranch_execz .LBB24_75
.LBB24_64:                              ; =>This Loop Header: Depth=1
                                        ;     Child Loop BB24_67 Depth 2
                                        ;     Child Loop BB24_70 Depth 2
	;; [unrolled: 1-line block ×3, first 2 shown]
	v_dual_mov_b32 v4, s2 :: v_dual_lshlrev_b32 v1, 2, v0
	s_and_not1_b32 vcc_lo, exec_lo, s6
	s_mov_b32 s1, 0
	s_mov_b32 s12, -1
	s_delay_alu instid0(VALU_DEP_1) | instskip(NEXT) | instid1(VALU_DEP_1)
	v_add_nc_u32_e32 v2, 0, v1
	v_add_nc_u32_e32 v3, v2, v1
	ds_load_b32 v1, v2
	ds_load_b64 v[2:3], v3 offset:2048
	s_cbranch_vccnz .LBB24_72
; %bb.65:                               ;   in Loop: Header=BB24_64 Depth=1
	v_mov_b64_e32 v[4:5], s[2:3]
	s_and_not1_b32 vcc_lo, exec_lo, s0
	s_mov_b32 s12, 0
	s_cbranch_vccnz .LBB24_68
; %bb.66:                               ;   in Loop: Header=BB24_64 Depth=1
	v_dual_mov_b32 v4, s2 :: v_dual_mov_b32 v5, 0
	s_mov_b32 s13, 0
	s_mov_b32 s14, s7
.LBB24_67:                              ;   Parent Loop BB24_64 Depth=1
                                        ; =>  This Inner Loop Header: Depth=2
	v_mov_b32_e32 v20, s13
	s_add_co_i32 s14, s14, -8
	s_add_co_i32 s12, s12, 16
	s_add_co_i32 s13, s13, 64
	s_cmp_lg_u32 s14, 0
	ds_load_2addr_b32 v[6:7], v20 offset1:1
	ds_load_2addr_b32 v[8:9], v20 offset0:2 offset1:3
	ds_load_2addr_b32 v[10:11], v20 offset0:4 offset1:5
	;; [unrolled: 1-line block ×7, first 2 shown]
	s_wait_dscnt 0x7
	v_cmp_gt_i32_e32 vcc_lo, v1, v7
	s_wait_dscnt 0x5
	v_cmp_gt_i32_e64 s1, v1, v10
	v_cndmask_b32_e64 v7, 0, 1, vcc_lo
	v_cmp_gt_i32_e32 vcc_lo, v1, v6
	v_cndmask_b32_e64 v6, 0, 1, vcc_lo
	v_cmp_gt_i32_e32 vcc_lo, v1, v8
	v_cndmask_b32_e64 v8, 0, 1, s1
	v_cmp_gt_i32_e64 s1, v1, v11
	s_delay_alu instid0(VALU_DEP_4) | instskip(NEXT) | instid1(VALU_DEP_2)
	v_add_co_ci_u32_e64 v4, null, v4, v6, vcc_lo
	v_cndmask_b32_e64 v10, 0, 1, s1
	s_wait_dscnt 0x4
	v_cmp_gt_i32_e64 s1, v1, v13
	s_wait_dscnt 0x2
	v_cmp_gt_i32_e32 vcc_lo, v1, v16
	s_delay_alu instid0(VALU_DEP_2) | instskip(SKIP_4) | instid1(VALU_DEP_3)
	v_cndmask_b32_e64 v11, 0, 1, s1
	v_cmp_gt_i32_e64 s1, v1, v12
	v_add_co_ci_u32_e64 v4, null, v4, v8, vcc_lo
	s_wait_dscnt 0x1
	v_cmp_gt_i32_e32 vcc_lo, v1, v18
	v_cndmask_b32_e64 v12, 0, 1, s1
	v_cmp_gt_i32_e64 s1, v1, v14
	s_delay_alu instid0(VALU_DEP_2) | instskip(NEXT) | instid1(VALU_DEP_2)
	v_add_co_ci_u32_e64 v4, null, v4, v12, vcc_lo
	v_cndmask_b32_e64 v13, 0, 1, s1
	v_cmp_gt_i32_e64 s1, v1, v15
	s_wait_dscnt 0x0
	v_cmp_gt_i32_e32 vcc_lo, v1, v20
	s_delay_alu instid0(VALU_DEP_2) | instskip(SKIP_2) | instid1(VALU_DEP_2)
	v_cndmask_b32_e64 v14, 0, 1, s1
	v_cmp_gt_i32_e64 s1, v1, v9
	v_add_co_ci_u32_e64 v4, null, v4, v13, vcc_lo
	v_add_co_ci_u32_e64 v5, null, v5, v7, s1
	v_cmp_gt_i32_e64 s1, v1, v17
	s_delay_alu instid0(VALU_DEP_1) | instskip(SKIP_1) | instid1(VALU_DEP_1)
	v_add_co_ci_u32_e64 v5, null, v5, v10, s1
	v_cmp_gt_i32_e64 s1, v1, v19
	v_add_co_ci_u32_e64 v5, null, v5, v11, s1
	v_cmp_gt_i32_e64 s1, v1, v21
	s_delay_alu instid0(VALU_DEP_1)
	v_add_co_ci_u32_e64 v5, null, v5, v14, s1
	s_cbranch_scc1 .LBB24_67
.LBB24_68:                              ;   in Loop: Header=BB24_64 Depth=1
	s_and_not1_b32 vcc_lo, exec_lo, s8
	s_cbranch_vccnz .LBB24_71
; %bb.69:                               ;   in Loop: Header=BB24_64 Depth=1
	s_lshl_b32 s1, s12, 2
	s_mov_b32 s12, s10
	s_add_co_i32 s1, s1, 0
.LBB24_70:                              ;   Parent Loop BB24_64 Depth=1
                                        ; =>  This Inner Loop Header: Depth=2
	s_delay_alu instid0(SALU_CYCLE_1)
	v_mov_b32_e32 v6, s1
	s_add_co_i32 s12, s12, -8
	s_add_co_i32 s1, s1, 8
	s_cmp_lg_u32 s12, 0
	ds_load_2addr_b32 v[6:7], v6 offset1:1
	s_wait_dscnt 0x0
	v_cmp_gt_i32_e32 vcc_lo, v1, v7
	v_add_co_ci_u32_e64 v5, null, 0, v5, vcc_lo
	v_cmp_gt_i32_e32 vcc_lo, v1, v6
	v_add_co_ci_u32_e64 v4, null, 0, v4, vcc_lo
	s_cbranch_scc1 .LBB24_70
.LBB24_71:                              ;   in Loop: Header=BB24_64 Depth=1
	s_delay_alu instid0(VALU_DEP_1)
	v_add_nc_u32_e32 v4, v4, v5
	s_mov_b32 s1, s5
	s_mov_b32 s12, s9
.LBB24_72:                              ;   in Loop: Header=BB24_64 Depth=1
	s_delay_alu instid0(SALU_CYCLE_1)
	s_and_b32 vcc_lo, exec_lo, s12
	s_cbranch_vccz .LBB24_63
; %bb.73:                               ;   in Loop: Header=BB24_64 Depth=1
	s_lshl_b32 s12, s1, 2
	s_delay_alu instid0(SALU_CYCLE_1)
	s_add_co_i32 s12, s12, 0
.LBB24_74:                              ;   Parent Loop BB24_64 Depth=1
                                        ; =>  This Inner Loop Header: Depth=2
	s_delay_alu instid0(SALU_CYCLE_1)
	v_mov_b32_e32 v5, s12
	s_add_co_i32 s1, s1, 1
	s_add_co_i32 s12, s12, 4
	s_cmp_ge_i32 s1, s4
	ds_load_b32 v5, v5
	s_wait_dscnt 0x0
	v_cmp_gt_i32_e32 vcc_lo, v1, v5
	v_add_co_ci_u32_e64 v4, null, 0, v4, vcc_lo
	s_cbranch_scc0 .LBB24_74
	s_branch .LBB24_63
.LBB24_75:
	s_endpgm
	.section	.rodata,"a",@progbits
	.p2align	6, 0x0
	.amdhsa_kernel _ZN9rocsparseL41csrgemm_numeric_fill_block_per_row_kernelILj256ELj32ELj512ELj137ELj32EiidEEvT5_PKS1_S3_NS_24const_host_device_scalarIT6_EEPKT4_S3_PKS5_S9_S3_SB_S6_S9_S3_SB_S9_S3_PS5_21rocsparse_index_base_SD_SD_SD_bbb
		.amdhsa_group_segment_fixed_size 0
		.amdhsa_private_segment_fixed_size 0
		.amdhsa_kernarg_size 156
		.amdhsa_user_sgpr_count 2
		.amdhsa_user_sgpr_dispatch_ptr 0
		.amdhsa_user_sgpr_queue_ptr 0
		.amdhsa_user_sgpr_kernarg_segment_ptr 1
		.amdhsa_user_sgpr_dispatch_id 0
		.amdhsa_user_sgpr_kernarg_preload_length 0
		.amdhsa_user_sgpr_kernarg_preload_offset 0
		.amdhsa_user_sgpr_private_segment_size 0
		.amdhsa_wavefront_size32 1
		.amdhsa_uses_dynamic_stack 0
		.amdhsa_enable_private_segment 0
		.amdhsa_system_sgpr_workgroup_id_x 1
		.amdhsa_system_sgpr_workgroup_id_y 0
		.amdhsa_system_sgpr_workgroup_id_z 0
		.amdhsa_system_sgpr_workgroup_info 0
		.amdhsa_system_vgpr_workitem_id 0
		.amdhsa_next_free_vgpr 22
		.amdhsa_next_free_sgpr 39
		.amdhsa_named_barrier_count 0
		.amdhsa_reserve_vcc 1
		.amdhsa_float_round_mode_32 0
		.amdhsa_float_round_mode_16_64 0
		.amdhsa_float_denorm_mode_32 3
		.amdhsa_float_denorm_mode_16_64 3
		.amdhsa_fp16_overflow 0
		.amdhsa_memory_ordered 1
		.amdhsa_forward_progress 1
		.amdhsa_inst_pref_size 24
		.amdhsa_round_robin_scheduling 0
		.amdhsa_exception_fp_ieee_invalid_op 0
		.amdhsa_exception_fp_denorm_src 0
		.amdhsa_exception_fp_ieee_div_zero 0
		.amdhsa_exception_fp_ieee_overflow 0
		.amdhsa_exception_fp_ieee_underflow 0
		.amdhsa_exception_fp_ieee_inexact 0
		.amdhsa_exception_int_div_zero 0
	.end_amdhsa_kernel
	.section	.text._ZN9rocsparseL41csrgemm_numeric_fill_block_per_row_kernelILj256ELj32ELj512ELj137ELj32EiidEEvT5_PKS1_S3_NS_24const_host_device_scalarIT6_EEPKT4_S3_PKS5_S9_S3_SB_S6_S9_S3_SB_S9_S3_PS5_21rocsparse_index_base_SD_SD_SD_bbb,"axG",@progbits,_ZN9rocsparseL41csrgemm_numeric_fill_block_per_row_kernelILj256ELj32ELj512ELj137ELj32EiidEEvT5_PKS1_S3_NS_24const_host_device_scalarIT6_EEPKT4_S3_PKS5_S9_S3_SB_S6_S9_S3_SB_S9_S3_PS5_21rocsparse_index_base_SD_SD_SD_bbb,comdat
.Lfunc_end24:
	.size	_ZN9rocsparseL41csrgemm_numeric_fill_block_per_row_kernelILj256ELj32ELj512ELj137ELj32EiidEEvT5_PKS1_S3_NS_24const_host_device_scalarIT6_EEPKT4_S3_PKS5_S9_S3_SB_S6_S9_S3_SB_S9_S3_PS5_21rocsparse_index_base_SD_SD_SD_bbb, .Lfunc_end24-_ZN9rocsparseL41csrgemm_numeric_fill_block_per_row_kernelILj256ELj32ELj512ELj137ELj32EiidEEvT5_PKS1_S3_NS_24const_host_device_scalarIT6_EEPKT4_S3_PKS5_S9_S3_SB_S6_S9_S3_SB_S9_S3_PS5_21rocsparse_index_base_SD_SD_SD_bbb
                                        ; -- End function
	.set _ZN9rocsparseL41csrgemm_numeric_fill_block_per_row_kernelILj256ELj32ELj512ELj137ELj32EiidEEvT5_PKS1_S3_NS_24const_host_device_scalarIT6_EEPKT4_S3_PKS5_S9_S3_SB_S6_S9_S3_SB_S9_S3_PS5_21rocsparse_index_base_SD_SD_SD_bbb.num_vgpr, 22
	.set _ZN9rocsparseL41csrgemm_numeric_fill_block_per_row_kernelILj256ELj32ELj512ELj137ELj32EiidEEvT5_PKS1_S3_NS_24const_host_device_scalarIT6_EEPKT4_S3_PKS5_S9_S3_SB_S6_S9_S3_SB_S9_S3_PS5_21rocsparse_index_base_SD_SD_SD_bbb.num_agpr, 0
	.set _ZN9rocsparseL41csrgemm_numeric_fill_block_per_row_kernelILj256ELj32ELj512ELj137ELj32EiidEEvT5_PKS1_S3_NS_24const_host_device_scalarIT6_EEPKT4_S3_PKS5_S9_S3_SB_S6_S9_S3_SB_S9_S3_PS5_21rocsparse_index_base_SD_SD_SD_bbb.numbered_sgpr, 39
	.set _ZN9rocsparseL41csrgemm_numeric_fill_block_per_row_kernelILj256ELj32ELj512ELj137ELj32EiidEEvT5_PKS1_S3_NS_24const_host_device_scalarIT6_EEPKT4_S3_PKS5_S9_S3_SB_S6_S9_S3_SB_S9_S3_PS5_21rocsparse_index_base_SD_SD_SD_bbb.num_named_barrier, 0
	.set _ZN9rocsparseL41csrgemm_numeric_fill_block_per_row_kernelILj256ELj32ELj512ELj137ELj32EiidEEvT5_PKS1_S3_NS_24const_host_device_scalarIT6_EEPKT4_S3_PKS5_S9_S3_SB_S6_S9_S3_SB_S9_S3_PS5_21rocsparse_index_base_SD_SD_SD_bbb.private_seg_size, 0
	.set _ZN9rocsparseL41csrgemm_numeric_fill_block_per_row_kernelILj256ELj32ELj512ELj137ELj32EiidEEvT5_PKS1_S3_NS_24const_host_device_scalarIT6_EEPKT4_S3_PKS5_S9_S3_SB_S6_S9_S3_SB_S9_S3_PS5_21rocsparse_index_base_SD_SD_SD_bbb.uses_vcc, 1
	.set _ZN9rocsparseL41csrgemm_numeric_fill_block_per_row_kernelILj256ELj32ELj512ELj137ELj32EiidEEvT5_PKS1_S3_NS_24const_host_device_scalarIT6_EEPKT4_S3_PKS5_S9_S3_SB_S6_S9_S3_SB_S9_S3_PS5_21rocsparse_index_base_SD_SD_SD_bbb.uses_flat_scratch, 0
	.set _ZN9rocsparseL41csrgemm_numeric_fill_block_per_row_kernelILj256ELj32ELj512ELj137ELj32EiidEEvT5_PKS1_S3_NS_24const_host_device_scalarIT6_EEPKT4_S3_PKS5_S9_S3_SB_S6_S9_S3_SB_S9_S3_PS5_21rocsparse_index_base_SD_SD_SD_bbb.has_dyn_sized_stack, 0
	.set _ZN9rocsparseL41csrgemm_numeric_fill_block_per_row_kernelILj256ELj32ELj512ELj137ELj32EiidEEvT5_PKS1_S3_NS_24const_host_device_scalarIT6_EEPKT4_S3_PKS5_S9_S3_SB_S6_S9_S3_SB_S9_S3_PS5_21rocsparse_index_base_SD_SD_SD_bbb.has_recursion, 0
	.set _ZN9rocsparseL41csrgemm_numeric_fill_block_per_row_kernelILj256ELj32ELj512ELj137ELj32EiidEEvT5_PKS1_S3_NS_24const_host_device_scalarIT6_EEPKT4_S3_PKS5_S9_S3_SB_S6_S9_S3_SB_S9_S3_PS5_21rocsparse_index_base_SD_SD_SD_bbb.has_indirect_call, 0
	.section	.AMDGPU.csdata,"",@progbits
; Kernel info:
; codeLenInByte = 3064
; TotalNumSgprs: 41
; NumVgprs: 22
; ScratchSize: 0
; MemoryBound: 0
; FloatMode: 240
; IeeeMode: 1
; LDSByteSize: 0 bytes/workgroup (compile time only)
; SGPRBlocks: 0
; VGPRBlocks: 1
; NumSGPRsForWavesPerEU: 41
; NumVGPRsForWavesPerEU: 22
; NamedBarCnt: 0
; Occupancy: 16
; WaveLimiterHint : 1
; COMPUTE_PGM_RSRC2:SCRATCH_EN: 0
; COMPUTE_PGM_RSRC2:USER_SGPR: 2
; COMPUTE_PGM_RSRC2:TRAP_HANDLER: 0
; COMPUTE_PGM_RSRC2:TGID_X_EN: 1
; COMPUTE_PGM_RSRC2:TGID_Y_EN: 0
; COMPUTE_PGM_RSRC2:TGID_Z_EN: 0
; COMPUTE_PGM_RSRC2:TIDIG_COMP_CNT: 0
	.section	.text._ZN9rocsparseL41csrgemm_numeric_fill_block_per_row_kernelILj256ELj32ELj512ELj137ELj64EiidEEvT5_PKS1_S3_NS_24const_host_device_scalarIT6_EEPKT4_S3_PKS5_S9_S3_SB_S6_S9_S3_SB_S9_S3_PS5_21rocsparse_index_base_SD_SD_SD_bbb,"axG",@progbits,_ZN9rocsparseL41csrgemm_numeric_fill_block_per_row_kernelILj256ELj32ELj512ELj137ELj64EiidEEvT5_PKS1_S3_NS_24const_host_device_scalarIT6_EEPKT4_S3_PKS5_S9_S3_SB_S6_S9_S3_SB_S9_S3_PS5_21rocsparse_index_base_SD_SD_SD_bbb,comdat
	.globl	_ZN9rocsparseL41csrgemm_numeric_fill_block_per_row_kernelILj256ELj32ELj512ELj137ELj64EiidEEvT5_PKS1_S3_NS_24const_host_device_scalarIT6_EEPKT4_S3_PKS5_S9_S3_SB_S6_S9_S3_SB_S9_S3_PS5_21rocsparse_index_base_SD_SD_SD_bbb ; -- Begin function _ZN9rocsparseL41csrgemm_numeric_fill_block_per_row_kernelILj256ELj32ELj512ELj137ELj64EiidEEvT5_PKS1_S3_NS_24const_host_device_scalarIT6_EEPKT4_S3_PKS5_S9_S3_SB_S6_S9_S3_SB_S9_S3_PS5_21rocsparse_index_base_SD_SD_SD_bbb
	.p2align	8
	.type	_ZN9rocsparseL41csrgemm_numeric_fill_block_per_row_kernelILj256ELj32ELj512ELj137ELj64EiidEEvT5_PKS1_S3_NS_24const_host_device_scalarIT6_EEPKT4_S3_PKS5_S9_S3_SB_S6_S9_S3_SB_S9_S3_PS5_21rocsparse_index_base_SD_SD_SD_bbb,@function
_ZN9rocsparseL41csrgemm_numeric_fill_block_per_row_kernelILj256ELj32ELj512ELj137ELj64EiidEEvT5_PKS1_S3_NS_24const_host_device_scalarIT6_EEPKT4_S3_PKS5_S9_S3_SB_S6_S9_S3_SB_S9_S3_PS5_21rocsparse_index_base_SD_SD_SD_bbb: ; @_ZN9rocsparseL41csrgemm_numeric_fill_block_per_row_kernelILj256ELj32ELj512ELj137ELj64EiidEEvT5_PKS1_S3_NS_24const_host_device_scalarIT6_EEPKT4_S3_PKS5_S9_S3_SB_S6_S9_S3_SB_S9_S3_PS5_21rocsparse_index_base_SD_SD_SD_bbb
; %bb.0:
	s_clause 0x2
	s_load_b32 s8, s[0:1], 0x98
	s_load_b64 s[4:5], s[0:1], 0x18
	s_load_b64 s[2:3], s[0:1], 0x50
	s_wait_kmcnt 0x0
	s_bitcmp1_b32 s8, 0
	s_cselect_b32 s37, -1, 0
	s_bitcmp1_b32 s8, 16
	s_cselect_b32 s9, -1, 0
	s_xor_b32 s6, s37, -1
	s_delay_alu instid0(SALU_CYCLE_1)
	s_or_b32 s10, s9, s6
	s_and_b32 s6, s37, exec_lo
	s_cselect_b32 s7, s5, 0
	s_cselect_b32 s6, s4, 0
	s_and_b32 vcc_lo, exec_lo, s10
	v_mov_b64_e32 v[4:5], s[6:7]
	s_cbranch_vccnz .LBB25_2
; %bb.1:
	v_mov_b32_e32 v1, 0
	flat_load_b64 v[4:5], v1, s[4:5]
.LBB25_2:
	s_wait_xcnt 0x0
	s_load_b128 s[4:7], s[0:1], 0x88
	s_bitcmp1_b32 s8, 8
	s_cselect_b32 s36, -1, 0
	s_delay_alu instid0(SALU_CYCLE_1) | instskip(NEXT) | instid1(SALU_CYCLE_1)
	s_xor_b32 s8, s36, -1
	s_or_b32 s10, s9, s8
	s_and_b32 s8, s36, exec_lo
	s_cselect_b32 s9, s3, 0
	s_cselect_b32 s8, s2, 0
	s_and_b32 vcc_lo, exec_lo, s10
	v_mov_b64_e32 v[2:3], s[8:9]
	s_cbranch_vccnz .LBB25_4
; %bb.3:
	v_mov_b32_e32 v1, 0
	flat_load_b64 v[2:3], v1, s[2:3]
.LBB25_4:
	s_clause 0x5
	s_load_b64 s[24:25], s[0:1], 0x80
	s_load_b128 s[8:11], s[0:1], 0x60
	s_load_b128 s[12:15], s[0:1], 0x40
	s_load_b64 s[28:29], s[0:1], 0x28
	s_load_b128 s[20:23], s[0:1], 0x8
	s_load_b32 s33, s[0:1], 0x0
	v_cmp_gt_u32_e64 s2, 0x200, v0
	v_lshlrev_b32_e32 v13, 3, v0
	v_or_b32_e32 v1, 0xffffff00, v0
	v_lshl_add_u32 v12, v0, 2, 0
	s_and_saveexec_b32 s3, s2
	s_cbranch_execz .LBB25_7
; %bb.5:
	v_mov_b64_e32 v[6:7], 0
	v_add3_u32 v8, v13, 0, 0x800
	v_or_b32_e32 v9, 0xffffff00, v0
	v_lshl_add_u32 v10, v0, 2, 0
	s_wait_kmcnt 0x0
	v_mov_b32_e32 v11, s33
	s_mov_b32 s16, 0
.LBB25_6:                               ; =>This Inner Loop Header: Depth=1
	v_add_co_u32 v9, s17, 0x100, v9
	s_xor_b32 s17, s17, -1
	ds_store_b32 v10, v11
	ds_store_b64 v8, v[6:7]
	v_add_nc_u32_e32 v8, 0x800, v8
	v_add_nc_u32_e32 v10, 0x400, v10
	s_and_b32 s17, exec_lo, s17
	s_delay_alu instid0(SALU_CYCLE_1) | instskip(NEXT) | instid1(SALU_CYCLE_1)
	s_or_b32 s16, s17, s16
	s_and_not1_b32 exec_lo, exec_lo, s16
	s_cbranch_execnz .LBB25_6
.LBB25_7:
	s_or_b32 exec_lo, exec_lo, s3
	s_clause 0x3
	s_load_b64 s[26:27], s[0:1], 0x70
	s_load_b64 s[30:31], s[0:1], 0x58
	;; [unrolled: 1-line block ×3, first 2 shown]
	s_load_b128 s[16:19], s[0:1], 0x30
	s_wait_loadcnt_dscnt 0x0
	s_barrier_signal -1
	s_barrier_wait -1
	s_wait_kmcnt 0x0
	s_load_b32 s0, s[20:21], 0x0
	s_bfe_u32 s1, ttmp6, 0x4000c
	s_and_b32 s3, ttmp6, 15
	s_add_co_i32 s1, s1, 1
	s_wait_xcnt 0x0
	s_getreg_b32 s20, hwreg(HW_REG_IB_STS2, 6, 4)
	s_mul_i32 s1, ttmp9, s1
	s_delay_alu instid0(SALU_CYCLE_1)
	s_add_co_i32 s3, s3, s1
	s_cmp_eq_u32 s20, 0
	s_cselect_b32 s1, ttmp9, s3
	s_and_b32 vcc_lo, exec_lo, s37
	s_wait_kmcnt 0x0
	s_add_co_i32 s0, s0, s1
	s_load_b32 s20, s[22:23], s0 offset:0x0 scale_offset
	s_cbranch_vccz .LBB25_25
; %bb.8:
	s_wait_kmcnt 0x0
	s_ashr_i32 s21, s20, 31
	v_lshrrev_b32_e32 v6, 5, v0
	s_lshl_b64 s[0:1], s[20:21], 2
	s_delay_alu instid0(SALU_CYCLE_1) | instskip(NEXT) | instid1(VALU_DEP_1)
	s_add_nc_u64 s[0:1], s[34:35], s[0:1]
	v_subrev_nc_u32_e32 v6, s4, v6
	s_load_b64 s[22:23], s[0:1], 0x0
	s_wait_xcnt 0x0
	s_mov_b32 s1, exec_lo
	s_wait_kmcnt 0x0
	v_add_nc_u32_e32 v6, s22, v6
	s_sub_co_i32 s0, s23, s4
	s_delay_alu instid0(VALU_DEP_1) | instid1(SALU_CYCLE_1)
	v_cmpx_gt_i32_e64 s0, v6
	s_cbranch_execz .LBB25_24
; %bb.9:
	v_and_b32_e32 v7, 31, v0
	s_mov_b32 s3, 0
	s_delay_alu instid0(VALU_DEP_1)
	v_subrev_nc_u32_e32 v14, s5, v7
	s_branch .LBB25_11
.LBB25_10:                              ;   in Loop: Header=BB25_11 Depth=1
	s_or_b32 exec_lo, exec_lo, s21
	v_add_nc_u32_e32 v6, 8, v6
	s_delay_alu instid0(VALU_DEP_1) | instskip(SKIP_1) | instid1(SALU_CYCLE_1)
	v_cmp_le_i32_e32 vcc_lo, s0, v6
	s_or_b32 s3, vcc_lo, s3
	s_and_not1_b32 exec_lo, exec_lo, s3
	s_cbranch_execz .LBB25_24
.LBB25_11:                              ; =>This Loop Header: Depth=1
                                        ;     Child Loop BB25_15 Depth 2
                                        ;       Child Loop BB25_18 Depth 3
	global_load_b32 v7, v6, s[28:29] scale_offset
	s_mov_b32 s21, exec_lo
	s_wait_loadcnt 0x0
	v_subrev_nc_u32_e32 v8, s4, v7
	s_delay_alu instid0(VALU_DEP_1) | instskip(NEXT) | instid1(VALU_DEP_1)
	v_ashrrev_i32_e32 v9, 31, v8
	v_lshl_add_u64 v[8:9], v[8:9], 2, s[18:19]
	global_load_b64 v[8:9], v[8:9], off
	s_wait_loadcnt 0x0
	v_subrev_nc_u32_e32 v15, s5, v9
	v_add_nc_u32_e32 v16, v8, v14
	s_wait_xcnt 0x0
	s_delay_alu instid0(VALU_DEP_1)
	v_cmpx_lt_i32_e64 v16, v15
	s_cbranch_execz .LBB25_10
; %bb.12:                               ;   in Loop: Header=BB25_11 Depth=1
	v_ashrrev_i32_e32 v7, 31, v6
	s_mov_b32 s22, 0
	s_delay_alu instid0(VALU_DEP_1)
	v_lshl_add_u64 v[8:9], v[6:7], 3, s[16:17]
	global_load_b64 v[8:9], v[8:9], off
	s_wait_loadcnt 0x0
	s_wait_xcnt 0x0
	v_mul_f64_e32 v[8:9], v[4:5], v[8:9]
	s_branch .LBB25_15
.LBB25_13:                              ;   in Loop: Header=BB25_15 Depth=2
	s_or_b32 exec_lo, exec_lo, s34
.LBB25_14:                              ;   in Loop: Header=BB25_15 Depth=2
	s_delay_alu instid0(SALU_CYCLE_1) | instskip(SKIP_3) | instid1(VALU_DEP_2)
	s_or_b32 exec_lo, exec_lo, s23
	s_wait_loadcnt 0x0
	v_dual_mul_f64 v[10:11], v[8:9], v[10:11] :: v_dual_add_nc_u32 v16, 32, v16
	v_lshl_add_u32 v7, v7, 3, 0
	v_cmp_ge_i32_e32 vcc_lo, v16, v15
	s_or_b32 s22, vcc_lo, s22
	ds_add_f64 v7, v[10:11] offset:2048
	s_and_not1_b32 exec_lo, exec_lo, s22
	s_cbranch_execz .LBB25_10
.LBB25_15:                              ;   Parent Loop BB25_11 Depth=1
                                        ; =>  This Loop Header: Depth=2
                                        ;       Child Loop BB25_18 Depth 3
	s_clause 0x1
	global_load_b32 v7, v16, s[12:13] scale_offset
	global_load_b64 v[10:11], v16, s[14:15] scale_offset
	s_mov_b32 s23, exec_lo
	s_wait_loadcnt 0x1
	v_subrev_nc_u32_e32 v17, s5, v7
	s_delay_alu instid0(VALU_DEP_1) | instskip(NEXT) | instid1(VALU_DEP_1)
	v_mul_lo_u32 v7, 0x89, v17
	v_and_b32_e32 v7, 0x1ff, v7
	s_delay_alu instid0(VALU_DEP_1)
	v_lshl_add_u32 v18, v7, 2, 0
	ds_load_b32 v19, v18
	s_wait_dscnt 0x0
	s_wait_xcnt 0x0
	v_cmpx_ne_u32_e64 v19, v17
	s_cbranch_execz .LBB25_14
; %bb.16:                               ;   in Loop: Header=BB25_15 Depth=2
	s_mov_b32 s34, 0
	s_branch .LBB25_18
.LBB25_17:                              ;   in Loop: Header=BB25_18 Depth=3
	s_or_b32 exec_lo, exec_lo, s38
	s_delay_alu instid0(SALU_CYCLE_1) | instskip(NEXT) | instid1(SALU_CYCLE_1)
	s_and_b32 s35, exec_lo, s37
	s_or_b32 s34, s35, s34
	s_delay_alu instid0(SALU_CYCLE_1)
	s_and_not1_b32 exec_lo, exec_lo, s34
	s_cbranch_execz .LBB25_13
.LBB25_18:                              ;   Parent Loop BB25_11 Depth=1
                                        ;     Parent Loop BB25_15 Depth=2
                                        ; =>    This Inner Loop Header: Depth=3
	s_mov_b32 s35, 0
	s_mov_b32 s37, exec_lo
	v_cmpx_ne_u32_e64 s33, v19
	s_xor_b32 s37, exec_lo, s37
	s_cbranch_execz .LBB25_20
; %bb.19:                               ;   in Loop: Header=BB25_18 Depth=3
	v_add_nc_u32_e32 v7, 1, v7
	s_mov_b32 s35, exec_lo
                                        ; implicit-def: $vgpr18
	s_delay_alu instid0(VALU_DEP_1)
	v_and_b32_e32 v7, 0x1ff, v7
	s_and_not1_saveexec_b32 s37, s37
	s_cbranch_execz .LBB25_22
	s_branch .LBB25_21
.LBB25_20:                              ;   in Loop: Header=BB25_18 Depth=3
	s_and_not1_saveexec_b32 s37, s37
	s_cbranch_execz .LBB25_22
.LBB25_21:                              ;   in Loop: Header=BB25_18 Depth=3
	v_mov_b32_e32 v19, s33
	s_and_not1_b32 s35, s35, exec_lo
	ds_cmpstore_rtn_b32 v18, v18, v17, v19
	s_wait_dscnt 0x0
	v_cmp_ne_u32_e32 vcc_lo, s33, v18
	s_and_b32 s38, vcc_lo, exec_lo
	s_delay_alu instid0(SALU_CYCLE_1)
	s_or_b32 s35, s35, s38
.LBB25_22:                              ;   in Loop: Header=BB25_18 Depth=3
	s_or_b32 exec_lo, exec_lo, s37
	s_mov_b32 s37, -1
                                        ; implicit-def: $vgpr18
                                        ; implicit-def: $vgpr19
	s_and_saveexec_b32 s38, s35
	s_cbranch_execz .LBB25_17
; %bb.23:                               ;   in Loop: Header=BB25_18 Depth=3
	v_lshl_add_u32 v18, v7, 2, 0
	ds_load_b32 v19, v18
	s_wait_dscnt 0x0
	v_cmp_eq_u32_e32 vcc_lo, v19, v17
	s_or_not1_b32 s37, vcc_lo, exec_lo
	s_branch .LBB25_17
.LBB25_24:
	s_or_b32 exec_lo, exec_lo, s1
.LBB25_25:
	s_delay_alu instid0(SALU_CYCLE_1)
	s_and_not1_b32 vcc_lo, exec_lo, s36
	s_cbranch_vccnz .LBB25_40
; %bb.26:
	s_wait_kmcnt 0x0
	s_ashr_i32 s21, s20, 31
	v_subrev_nc_u32_e32 v4, s7, v0
	s_lshl_b64 s[0:1], s[20:21], 2
	s_delay_alu instid0(SALU_CYCLE_1)
	s_add_nc_u64 s[0:1], s[30:31], s[0:1]
	s_load_b64 s[4:5], s[0:1], 0x0
	s_wait_xcnt 0x0
	s_mov_b32 s1, exec_lo
	s_wait_kmcnt 0x0
	v_add_nc_u32_e32 v6, s4, v4
	s_sub_co_i32 s0, s5, s7
	s_delay_alu instid0(VALU_DEP_1) | instid1(SALU_CYCLE_1)
	v_cmpx_gt_i32_e64 s0, v6
	s_cbranch_execz .LBB25_39
; %bb.27:
	s_mov_b32 s3, 0
	s_branch .LBB25_30
.LBB25_28:                              ;   in Loop: Header=BB25_30 Depth=1
	s_or_b32 exec_lo, exec_lo, s5
.LBB25_29:                              ;   in Loop: Header=BB25_30 Depth=1
	s_delay_alu instid0(SALU_CYCLE_1) | instskip(SKIP_4) | instid1(VALU_DEP_1)
	s_or_b32 exec_lo, exec_lo, s4
	s_wait_loadcnt 0x0
	v_mul_f64_e32 v[4:5], v[2:3], v[4:5]
	v_lshl_add_u32 v7, v7, 3, 0
	v_add_nc_u32_e32 v6, 0x100, v6
	v_cmp_le_i32_e32 vcc_lo, s0, v6
	s_or_b32 s3, vcc_lo, s3
	ds_add_f64 v7, v[4:5] offset:2048
	s_and_not1_b32 exec_lo, exec_lo, s3
	s_cbranch_execz .LBB25_39
.LBB25_30:                              ; =>This Loop Header: Depth=1
                                        ;     Child Loop BB25_33 Depth 2
	s_clause 0x1
	global_load_b32 v7, v6, s[8:9] scale_offset
	global_load_b64 v[4:5], v6, s[10:11] scale_offset
	s_mov_b32 s4, exec_lo
	s_wait_loadcnt 0x1
	v_subrev_nc_u32_e32 v8, s7, v7
	s_delay_alu instid0(VALU_DEP_1) | instskip(NEXT) | instid1(VALU_DEP_1)
	v_mul_lo_u32 v7, 0x89, v8
	v_and_b32_e32 v7, 0x1ff, v7
	s_delay_alu instid0(VALU_DEP_1)
	v_lshl_add_u32 v9, v7, 2, 0
	ds_load_b32 v10, v9
	s_wait_dscnt 0x0
	s_wait_xcnt 0x0
	v_cmpx_ne_u32_e64 v10, v8
	s_cbranch_execz .LBB25_29
; %bb.31:                               ;   in Loop: Header=BB25_30 Depth=1
	s_mov_b32 s5, 0
	s_branch .LBB25_33
.LBB25_32:                              ;   in Loop: Header=BB25_33 Depth=2
	s_or_b32 exec_lo, exec_lo, s14
	s_delay_alu instid0(SALU_CYCLE_1) | instskip(NEXT) | instid1(SALU_CYCLE_1)
	s_and_b32 s12, exec_lo, s13
	s_or_b32 s5, s12, s5
	s_delay_alu instid0(SALU_CYCLE_1)
	s_and_not1_b32 exec_lo, exec_lo, s5
	s_cbranch_execz .LBB25_28
.LBB25_33:                              ;   Parent Loop BB25_30 Depth=1
                                        ; =>  This Inner Loop Header: Depth=2
	s_mov_b32 s12, 0
	s_mov_b32 s13, exec_lo
	v_cmpx_ne_u32_e64 s33, v10
	s_xor_b32 s13, exec_lo, s13
	s_cbranch_execz .LBB25_35
; %bb.34:                               ;   in Loop: Header=BB25_33 Depth=2
	v_add_nc_u32_e32 v7, 1, v7
	s_mov_b32 s12, exec_lo
                                        ; implicit-def: $vgpr9
	s_delay_alu instid0(VALU_DEP_1)
	v_and_b32_e32 v7, 0x1ff, v7
	s_and_not1_saveexec_b32 s13, s13
	s_cbranch_execz .LBB25_37
	s_branch .LBB25_36
.LBB25_35:                              ;   in Loop: Header=BB25_33 Depth=2
	s_and_not1_saveexec_b32 s13, s13
	s_cbranch_execz .LBB25_37
.LBB25_36:                              ;   in Loop: Header=BB25_33 Depth=2
	v_mov_b32_e32 v10, s33
	s_and_not1_b32 s12, s12, exec_lo
	ds_cmpstore_rtn_b32 v9, v9, v8, v10
	s_wait_dscnt 0x0
	v_cmp_ne_u32_e32 vcc_lo, s33, v9
	s_and_b32 s14, vcc_lo, exec_lo
	s_delay_alu instid0(SALU_CYCLE_1)
	s_or_b32 s12, s12, s14
.LBB25_37:                              ;   in Loop: Header=BB25_33 Depth=2
	s_or_b32 exec_lo, exec_lo, s13
	s_mov_b32 s13, -1
                                        ; implicit-def: $vgpr9
                                        ; implicit-def: $vgpr10
	s_and_saveexec_b32 s14, s12
	s_cbranch_execz .LBB25_32
; %bb.38:                               ;   in Loop: Header=BB25_33 Depth=2
	v_lshl_add_u32 v9, v7, 2, 0
	ds_load_b32 v10, v9
	s_wait_dscnt 0x0
	v_cmp_eq_u32_e32 vcc_lo, v10, v8
	s_or_not1_b32 s13, vcc_lo, exec_lo
	s_branch .LBB25_32
.LBB25_39:
	s_or_b32 exec_lo, exec_lo, s1
.LBB25_40:
	s_wait_dscnt 0x0
	s_barrier_signal -1
	s_barrier_wait -1
	s_and_saveexec_b32 s4, s2
	s_cbranch_execz .LBB25_53
; %bb.41:
	v_mbcnt_lo_u32_b32 v2, -1, 0
	v_dual_mov_b32 v3, 0 :: v_dual_lshrrev_b32 v4, 4, v0
	s_wait_xcnt 0x0
	v_cmp_lt_u32_e64 s0, 63, v0
	v_cmp_lt_u32_e64 s1, 0x7f, v0
	s_delay_alu instid0(VALU_DEP_3)
	v_dual_mov_b32 v8, 0 :: v_dual_bitop2_b32 v4, 12, v4 bitop3:0x40
	v_xor_b32_e32 v2, 31, v2
	v_cmp_lt_u32_e64 s2, 0xbf, v0
	v_add3_u32 v7, v13, 0, 0x800
	s_mov_b32 s5, 0
	v_add_nc_u32_e32 v6, 0, v4
	v_lshrrev_b32_e64 v2, v2, -1
	v_cmp_eq_u32_e32 vcc_lo, 0xff, v0
	s_branch .LBB25_43
.LBB25_42:                              ;   in Loop: Header=BB25_43 Depth=1
	s_or_b32 exec_lo, exec_lo, s3
	s_wait_dscnt 0x0
	s_barrier_signal -1
	s_barrier_wait -1
	ds_load_b32 v4, v3 offset:6156
	v_add_co_u32 v1, s3, 0x100, v1
	s_xor_b32 s3, s3, -1
	v_add_nc_u32_e32 v7, 0x800, v7
	v_add_nc_u32_e32 v12, 0x400, v12
	s_and_b32 s3, exec_lo, s3
	s_delay_alu instid0(SALU_CYCLE_1)
	s_or_b32 s5, s3, s5
	s_wait_dscnt 0x0
	v_add_nc_u32_e32 v8, v4, v8
	s_and_not1_b32 exec_lo, exec_lo, s5
	s_cbranch_execz .LBB25_53
.LBB25_43:                              ; =>This Inner Loop Header: Depth=1
	ds_load_b32 v9, v12
	ds_load_b64 v[4:5], v7
	s_wait_dscnt 0x0
	s_barrier_signal -1
	s_barrier_wait -1
	v_cmp_gt_i32_e64 s3, s33, v9
	s_bcnt1_i32_b32 s7, s3
	s_delay_alu instid0(SALU_CYCLE_1) | instskip(NEXT) | instid1(VALU_DEP_1)
	v_dual_mov_b32 v11, s7 :: v_dual_bitop2_b32 v10, s3, v2 bitop3:0x40
	v_bcnt_u32_b32 v10, v10, 0
	ds_store_b32 v6, v11 offset:6144
	s_wait_dscnt 0x0
	s_barrier_signal -1
	s_barrier_wait -1
	s_and_saveexec_b32 s7, s0
	s_cbranch_execz .LBB25_48
; %bb.44:                               ;   in Loop: Header=BB25_43 Depth=1
	ds_load_b32 v11, v3 offset:6144
	s_wait_dscnt 0x0
	v_add_nc_u32_e32 v10, v11, v10
	s_or_b32 exec_lo, exec_lo, s7
	s_and_saveexec_b32 s7, s1
	s_cbranch_execnz .LBB25_49
.LBB25_45:                              ;   in Loop: Header=BB25_43 Depth=1
	s_or_b32 exec_lo, exec_lo, s7
	s_and_saveexec_b32 s7, s2
	s_cbranch_execz .LBB25_50
.LBB25_46:                              ;   in Loop: Header=BB25_43 Depth=1
	ds_load_b32 v11, v3 offset:6152
	s_wait_dscnt 0x0
	v_add_nc_u32_e32 v10, v11, v10
	s_or_b32 exec_lo, exec_lo, s7
	s_and_saveexec_b32 s7, s3
	s_cbranch_execnz .LBB25_51
.LBB25_47:                              ;   in Loop: Header=BB25_43 Depth=1
	s_or_b32 exec_lo, exec_lo, s7
	s_and_saveexec_b32 s3, vcc_lo
	s_cbranch_execz .LBB25_42
	s_branch .LBB25_52
.LBB25_48:                              ;   in Loop: Header=BB25_43 Depth=1
	s_or_b32 exec_lo, exec_lo, s7
	s_and_saveexec_b32 s7, s1
	s_cbranch_execz .LBB25_45
.LBB25_49:                              ;   in Loop: Header=BB25_43 Depth=1
	ds_load_b32 v11, v3 offset:6148
	s_wait_dscnt 0x0
	v_add_nc_u32_e32 v10, v11, v10
	s_or_b32 exec_lo, exec_lo, s7
	s_and_saveexec_b32 s7, s2
	s_cbranch_execnz .LBB25_46
.LBB25_50:                              ;   in Loop: Header=BB25_43 Depth=1
	s_or_b32 exec_lo, exec_lo, s7
	s_and_saveexec_b32 s7, s3
	s_cbranch_execz .LBB25_47
.LBB25_51:                              ;   in Loop: Header=BB25_43 Depth=1
	s_delay_alu instid0(VALU_DEP_1) | instskip(SKIP_1) | instid1(VALU_DEP_2)
	v_add3_u32 v11, v8, -1, v10
	v_add_nc_u32_e32 v13, v8, v10
	v_lshl_add_u32 v11, v11, 2, 0
	s_delay_alu instid0(VALU_DEP_2)
	v_lshl_add_u32 v13, v13, 3, 0
	ds_store_b32 v11, v9
	ds_store_b64 v13, v[4:5] offset:2040
	s_or_b32 exec_lo, exec_lo, s7
	s_and_saveexec_b32 s3, vcc_lo
	s_cbranch_execz .LBB25_42
.LBB25_52:                              ;   in Loop: Header=BB25_43 Depth=1
	ds_store_b32 v3, v10 offset:6156
	s_branch .LBB25_42
.LBB25_53:
	s_or_b32 exec_lo, exec_lo, s4
	s_wait_kmcnt 0x0
	s_ashr_i32 s21, s20, 31
	s_delay_alu instid0(SALU_CYCLE_1) | instskip(NEXT) | instid1(SALU_CYCLE_1)
	s_lshl_b64 s[0:1], s[20:21], 2
	s_add_nc_u64 s[2:3], s[26:27], s[0:1]
	s_load_b64 s[0:1], s[2:3], 0x0
	s_wait_kmcnt 0x0
	s_sub_co_i32 s4, s1, s0
	s_mov_b32 s1, exec_lo
	v_cmpx_gt_i32_e64 s4, v0
	s_cbranch_execz .LBB25_67
; %bb.54:
	v_sub_co_u32 v1, s1, s4, 2
	s_sub_co_i32 s2, s0, s6
	s_xor_b32 s6, s1, -1
	s_and_b32 s5, s4, -2
	v_readfirstlane_b32 s3, v1
	s_lshr_b32 s0, s3, 1
	s_mov_b32 s3, 0
	s_add_co_i32 s0, s0, 1
	s_mov_b32 s11, s3
	s_and_b32 s1, s0, 7
	s_and_b32 s7, s0, -8
	s_cmp_lg_u32 s1, 0
	v_cmp_lt_u32_e64 s0, 13, v1
	s_cselect_b32 s8, -1, 0
	s_cmp_lg_u32 s4, s5
	s_cselect_b32 s9, -1, 0
	s_lshl_b32 s10, s1, 3
	s_branch .LBB25_56
.LBB25_55:                              ;   in Loop: Header=BB25_56 Depth=1
	v_add_nc_u32_e32 v0, 0x100, v0
	s_wait_dscnt 0x0
	global_store_b64 v4, v[2:3], s[24:25] scale_offset
	v_cmp_le_i32_e32 vcc_lo, s4, v0
	s_or_b32 s11, vcc_lo, s11
	s_wait_xcnt 0x0
	s_and_not1_b32 exec_lo, exec_lo, s11
	s_cbranch_execz .LBB25_67
.LBB25_56:                              ; =>This Loop Header: Depth=1
                                        ;     Child Loop BB25_59 Depth 2
                                        ;     Child Loop BB25_62 Depth 2
	;; [unrolled: 1-line block ×3, first 2 shown]
	v_dual_mov_b32 v4, s2 :: v_dual_lshlrev_b32 v1, 2, v0
	s_and_not1_b32 vcc_lo, exec_lo, s6
	s_mov_b32 s1, 0
	s_mov_b32 s12, -1
	s_delay_alu instid0(VALU_DEP_1) | instskip(NEXT) | instid1(VALU_DEP_1)
	v_add_nc_u32_e32 v2, 0, v1
	v_add_nc_u32_e32 v3, v2, v1
	ds_load_b32 v1, v2
	ds_load_b64 v[2:3], v3 offset:2048
	s_cbranch_vccnz .LBB25_64
; %bb.57:                               ;   in Loop: Header=BB25_56 Depth=1
	v_mov_b64_e32 v[4:5], s[2:3]
	s_and_not1_b32 vcc_lo, exec_lo, s0
	s_mov_b32 s12, 0
	s_cbranch_vccnz .LBB25_60
; %bb.58:                               ;   in Loop: Header=BB25_56 Depth=1
	v_dual_mov_b32 v4, s2 :: v_dual_mov_b32 v5, 0
	s_mov_b32 s13, 0
	s_mov_b32 s14, s7
.LBB25_59:                              ;   Parent Loop BB25_56 Depth=1
                                        ; =>  This Inner Loop Header: Depth=2
	v_mov_b32_e32 v20, s13
	s_add_co_i32 s14, s14, -8
	s_add_co_i32 s12, s12, 16
	s_add_co_i32 s13, s13, 64
	s_cmp_lg_u32 s14, 0
	ds_load_2addr_b32 v[6:7], v20 offset1:1
	ds_load_2addr_b32 v[8:9], v20 offset0:2 offset1:3
	ds_load_2addr_b32 v[10:11], v20 offset0:4 offset1:5
	;; [unrolled: 1-line block ×7, first 2 shown]
	s_wait_dscnt 0x7
	v_cmp_gt_i32_e32 vcc_lo, v1, v7
	s_wait_dscnt 0x5
	v_cmp_gt_i32_e64 s1, v1, v10
	v_cndmask_b32_e64 v7, 0, 1, vcc_lo
	v_cmp_gt_i32_e32 vcc_lo, v1, v6
	v_cndmask_b32_e64 v6, 0, 1, vcc_lo
	v_cmp_gt_i32_e32 vcc_lo, v1, v8
	v_cndmask_b32_e64 v8, 0, 1, s1
	v_cmp_gt_i32_e64 s1, v1, v11
	s_delay_alu instid0(VALU_DEP_4) | instskip(NEXT) | instid1(VALU_DEP_2)
	v_add_co_ci_u32_e64 v4, null, v4, v6, vcc_lo
	v_cndmask_b32_e64 v10, 0, 1, s1
	s_wait_dscnt 0x4
	v_cmp_gt_i32_e64 s1, v1, v13
	s_wait_dscnt 0x2
	v_cmp_gt_i32_e32 vcc_lo, v1, v16
	s_delay_alu instid0(VALU_DEP_2) | instskip(SKIP_4) | instid1(VALU_DEP_3)
	v_cndmask_b32_e64 v11, 0, 1, s1
	v_cmp_gt_i32_e64 s1, v1, v12
	v_add_co_ci_u32_e64 v4, null, v4, v8, vcc_lo
	s_wait_dscnt 0x1
	v_cmp_gt_i32_e32 vcc_lo, v1, v18
	v_cndmask_b32_e64 v12, 0, 1, s1
	v_cmp_gt_i32_e64 s1, v1, v14
	s_delay_alu instid0(VALU_DEP_2) | instskip(NEXT) | instid1(VALU_DEP_2)
	v_add_co_ci_u32_e64 v4, null, v4, v12, vcc_lo
	v_cndmask_b32_e64 v13, 0, 1, s1
	v_cmp_gt_i32_e64 s1, v1, v15
	s_wait_dscnt 0x0
	v_cmp_gt_i32_e32 vcc_lo, v1, v20
	s_delay_alu instid0(VALU_DEP_2) | instskip(SKIP_2) | instid1(VALU_DEP_2)
	v_cndmask_b32_e64 v14, 0, 1, s1
	v_cmp_gt_i32_e64 s1, v1, v9
	v_add_co_ci_u32_e64 v4, null, v4, v13, vcc_lo
	v_add_co_ci_u32_e64 v5, null, v5, v7, s1
	v_cmp_gt_i32_e64 s1, v1, v17
	s_delay_alu instid0(VALU_DEP_1) | instskip(SKIP_1) | instid1(VALU_DEP_1)
	v_add_co_ci_u32_e64 v5, null, v5, v10, s1
	v_cmp_gt_i32_e64 s1, v1, v19
	v_add_co_ci_u32_e64 v5, null, v5, v11, s1
	v_cmp_gt_i32_e64 s1, v1, v21
	s_delay_alu instid0(VALU_DEP_1)
	v_add_co_ci_u32_e64 v5, null, v5, v14, s1
	s_cbranch_scc1 .LBB25_59
.LBB25_60:                              ;   in Loop: Header=BB25_56 Depth=1
	s_and_not1_b32 vcc_lo, exec_lo, s8
	s_cbranch_vccnz .LBB25_63
; %bb.61:                               ;   in Loop: Header=BB25_56 Depth=1
	s_lshl_b32 s1, s12, 2
	s_mov_b32 s12, s10
	s_add_co_i32 s1, s1, 0
.LBB25_62:                              ;   Parent Loop BB25_56 Depth=1
                                        ; =>  This Inner Loop Header: Depth=2
	s_delay_alu instid0(SALU_CYCLE_1)
	v_mov_b32_e32 v6, s1
	s_add_co_i32 s12, s12, -8
	s_add_co_i32 s1, s1, 8
	s_cmp_lg_u32 s12, 0
	ds_load_2addr_b32 v[6:7], v6 offset1:1
	s_wait_dscnt 0x0
	v_cmp_gt_i32_e32 vcc_lo, v1, v7
	v_add_co_ci_u32_e64 v5, null, 0, v5, vcc_lo
	v_cmp_gt_i32_e32 vcc_lo, v1, v6
	v_add_co_ci_u32_e64 v4, null, 0, v4, vcc_lo
	s_cbranch_scc1 .LBB25_62
.LBB25_63:                              ;   in Loop: Header=BB25_56 Depth=1
	s_delay_alu instid0(VALU_DEP_1)
	v_add_nc_u32_e32 v4, v4, v5
	s_mov_b32 s1, s5
	s_mov_b32 s12, s9
.LBB25_64:                              ;   in Loop: Header=BB25_56 Depth=1
	s_delay_alu instid0(SALU_CYCLE_1)
	s_and_b32 vcc_lo, exec_lo, s12
	s_cbranch_vccz .LBB25_55
; %bb.65:                               ;   in Loop: Header=BB25_56 Depth=1
	s_lshl_b32 s12, s1, 2
	s_delay_alu instid0(SALU_CYCLE_1)
	s_add_co_i32 s12, s12, 0
.LBB25_66:                              ;   Parent Loop BB25_56 Depth=1
                                        ; =>  This Inner Loop Header: Depth=2
	s_delay_alu instid0(SALU_CYCLE_1)
	v_mov_b32_e32 v5, s12
	s_add_co_i32 s1, s1, 1
	s_add_co_i32 s12, s12, 4
	s_cmp_ge_i32 s1, s4
	ds_load_b32 v5, v5
	s_wait_dscnt 0x0
	v_cmp_gt_i32_e32 vcc_lo, v1, v5
	v_add_co_ci_u32_e64 v4, null, 0, v4, vcc_lo
	s_cbranch_scc0 .LBB25_66
	s_branch .LBB25_55
.LBB25_67:
	s_endpgm
	.section	.rodata,"a",@progbits
	.p2align	6, 0x0
	.amdhsa_kernel _ZN9rocsparseL41csrgemm_numeric_fill_block_per_row_kernelILj256ELj32ELj512ELj137ELj64EiidEEvT5_PKS1_S3_NS_24const_host_device_scalarIT6_EEPKT4_S3_PKS5_S9_S3_SB_S6_S9_S3_SB_S9_S3_PS5_21rocsparse_index_base_SD_SD_SD_bbb
		.amdhsa_group_segment_fixed_size 0
		.amdhsa_private_segment_fixed_size 0
		.amdhsa_kernarg_size 156
		.amdhsa_user_sgpr_count 2
		.amdhsa_user_sgpr_dispatch_ptr 0
		.amdhsa_user_sgpr_queue_ptr 0
		.amdhsa_user_sgpr_kernarg_segment_ptr 1
		.amdhsa_user_sgpr_dispatch_id 0
		.amdhsa_user_sgpr_kernarg_preload_length 0
		.amdhsa_user_sgpr_kernarg_preload_offset 0
		.amdhsa_user_sgpr_private_segment_size 0
		.amdhsa_wavefront_size32 1
		.amdhsa_uses_dynamic_stack 0
		.amdhsa_enable_private_segment 0
		.amdhsa_system_sgpr_workgroup_id_x 1
		.amdhsa_system_sgpr_workgroup_id_y 0
		.amdhsa_system_sgpr_workgroup_id_z 0
		.amdhsa_system_sgpr_workgroup_info 0
		.amdhsa_system_vgpr_workitem_id 0
		.amdhsa_next_free_vgpr 22
		.amdhsa_next_free_sgpr 39
		.amdhsa_named_barrier_count 0
		.amdhsa_reserve_vcc 1
		.amdhsa_float_round_mode_32 0
		.amdhsa_float_round_mode_16_64 0
		.amdhsa_float_denorm_mode_32 3
		.amdhsa_float_denorm_mode_16_64 3
		.amdhsa_fp16_overflow 0
		.amdhsa_memory_ordered 1
		.amdhsa_forward_progress 1
		.amdhsa_inst_pref_size 23
		.amdhsa_round_robin_scheduling 0
		.amdhsa_exception_fp_ieee_invalid_op 0
		.amdhsa_exception_fp_denorm_src 0
		.amdhsa_exception_fp_ieee_div_zero 0
		.amdhsa_exception_fp_ieee_overflow 0
		.amdhsa_exception_fp_ieee_underflow 0
		.amdhsa_exception_fp_ieee_inexact 0
		.amdhsa_exception_int_div_zero 0
	.end_amdhsa_kernel
	.section	.text._ZN9rocsparseL41csrgemm_numeric_fill_block_per_row_kernelILj256ELj32ELj512ELj137ELj64EiidEEvT5_PKS1_S3_NS_24const_host_device_scalarIT6_EEPKT4_S3_PKS5_S9_S3_SB_S6_S9_S3_SB_S9_S3_PS5_21rocsparse_index_base_SD_SD_SD_bbb,"axG",@progbits,_ZN9rocsparseL41csrgemm_numeric_fill_block_per_row_kernelILj256ELj32ELj512ELj137ELj64EiidEEvT5_PKS1_S3_NS_24const_host_device_scalarIT6_EEPKT4_S3_PKS5_S9_S3_SB_S6_S9_S3_SB_S9_S3_PS5_21rocsparse_index_base_SD_SD_SD_bbb,comdat
.Lfunc_end25:
	.size	_ZN9rocsparseL41csrgemm_numeric_fill_block_per_row_kernelILj256ELj32ELj512ELj137ELj64EiidEEvT5_PKS1_S3_NS_24const_host_device_scalarIT6_EEPKT4_S3_PKS5_S9_S3_SB_S6_S9_S3_SB_S9_S3_PS5_21rocsparse_index_base_SD_SD_SD_bbb, .Lfunc_end25-_ZN9rocsparseL41csrgemm_numeric_fill_block_per_row_kernelILj256ELj32ELj512ELj137ELj64EiidEEvT5_PKS1_S3_NS_24const_host_device_scalarIT6_EEPKT4_S3_PKS5_S9_S3_SB_S6_S9_S3_SB_S9_S3_PS5_21rocsparse_index_base_SD_SD_SD_bbb
                                        ; -- End function
	.set _ZN9rocsparseL41csrgemm_numeric_fill_block_per_row_kernelILj256ELj32ELj512ELj137ELj64EiidEEvT5_PKS1_S3_NS_24const_host_device_scalarIT6_EEPKT4_S3_PKS5_S9_S3_SB_S6_S9_S3_SB_S9_S3_PS5_21rocsparse_index_base_SD_SD_SD_bbb.num_vgpr, 22
	.set _ZN9rocsparseL41csrgemm_numeric_fill_block_per_row_kernelILj256ELj32ELj512ELj137ELj64EiidEEvT5_PKS1_S3_NS_24const_host_device_scalarIT6_EEPKT4_S3_PKS5_S9_S3_SB_S6_S9_S3_SB_S9_S3_PS5_21rocsparse_index_base_SD_SD_SD_bbb.num_agpr, 0
	.set _ZN9rocsparseL41csrgemm_numeric_fill_block_per_row_kernelILj256ELj32ELj512ELj137ELj64EiidEEvT5_PKS1_S3_NS_24const_host_device_scalarIT6_EEPKT4_S3_PKS5_S9_S3_SB_S6_S9_S3_SB_S9_S3_PS5_21rocsparse_index_base_SD_SD_SD_bbb.numbered_sgpr, 39
	.set _ZN9rocsparseL41csrgemm_numeric_fill_block_per_row_kernelILj256ELj32ELj512ELj137ELj64EiidEEvT5_PKS1_S3_NS_24const_host_device_scalarIT6_EEPKT4_S3_PKS5_S9_S3_SB_S6_S9_S3_SB_S9_S3_PS5_21rocsparse_index_base_SD_SD_SD_bbb.num_named_barrier, 0
	.set _ZN9rocsparseL41csrgemm_numeric_fill_block_per_row_kernelILj256ELj32ELj512ELj137ELj64EiidEEvT5_PKS1_S3_NS_24const_host_device_scalarIT6_EEPKT4_S3_PKS5_S9_S3_SB_S6_S9_S3_SB_S9_S3_PS5_21rocsparse_index_base_SD_SD_SD_bbb.private_seg_size, 0
	.set _ZN9rocsparseL41csrgemm_numeric_fill_block_per_row_kernelILj256ELj32ELj512ELj137ELj64EiidEEvT5_PKS1_S3_NS_24const_host_device_scalarIT6_EEPKT4_S3_PKS5_S9_S3_SB_S6_S9_S3_SB_S9_S3_PS5_21rocsparse_index_base_SD_SD_SD_bbb.uses_vcc, 1
	.set _ZN9rocsparseL41csrgemm_numeric_fill_block_per_row_kernelILj256ELj32ELj512ELj137ELj64EiidEEvT5_PKS1_S3_NS_24const_host_device_scalarIT6_EEPKT4_S3_PKS5_S9_S3_SB_S6_S9_S3_SB_S9_S3_PS5_21rocsparse_index_base_SD_SD_SD_bbb.uses_flat_scratch, 0
	.set _ZN9rocsparseL41csrgemm_numeric_fill_block_per_row_kernelILj256ELj32ELj512ELj137ELj64EiidEEvT5_PKS1_S3_NS_24const_host_device_scalarIT6_EEPKT4_S3_PKS5_S9_S3_SB_S6_S9_S3_SB_S9_S3_PS5_21rocsparse_index_base_SD_SD_SD_bbb.has_dyn_sized_stack, 0
	.set _ZN9rocsparseL41csrgemm_numeric_fill_block_per_row_kernelILj256ELj32ELj512ELj137ELj64EiidEEvT5_PKS1_S3_NS_24const_host_device_scalarIT6_EEPKT4_S3_PKS5_S9_S3_SB_S6_S9_S3_SB_S9_S3_PS5_21rocsparse_index_base_SD_SD_SD_bbb.has_recursion, 0
	.set _ZN9rocsparseL41csrgemm_numeric_fill_block_per_row_kernelILj256ELj32ELj512ELj137ELj64EiidEEvT5_PKS1_S3_NS_24const_host_device_scalarIT6_EEPKT4_S3_PKS5_S9_S3_SB_S6_S9_S3_SB_S9_S3_PS5_21rocsparse_index_base_SD_SD_SD_bbb.has_indirect_call, 0
	.section	.AMDGPU.csdata,"",@progbits
; Kernel info:
; codeLenInByte = 2880
; TotalNumSgprs: 41
; NumVgprs: 22
; ScratchSize: 0
; MemoryBound: 0
; FloatMode: 240
; IeeeMode: 1
; LDSByteSize: 0 bytes/workgroup (compile time only)
; SGPRBlocks: 0
; VGPRBlocks: 1
; NumSGPRsForWavesPerEU: 41
; NumVGPRsForWavesPerEU: 22
; NamedBarCnt: 0
; Occupancy: 16
; WaveLimiterHint : 1
; COMPUTE_PGM_RSRC2:SCRATCH_EN: 0
; COMPUTE_PGM_RSRC2:USER_SGPR: 2
; COMPUTE_PGM_RSRC2:TRAP_HANDLER: 0
; COMPUTE_PGM_RSRC2:TGID_X_EN: 1
; COMPUTE_PGM_RSRC2:TGID_Y_EN: 0
; COMPUTE_PGM_RSRC2:TGID_Z_EN: 0
; COMPUTE_PGM_RSRC2:TIDIG_COMP_CNT: 0
	.section	.text._ZN9rocsparseL41csrgemm_numeric_fill_block_per_row_kernelILj512ELj32ELj1024ELj137ELj32EiidEEvT5_PKS1_S3_NS_24const_host_device_scalarIT6_EEPKT4_S3_PKS5_S9_S3_SB_S6_S9_S3_SB_S9_S3_PS5_21rocsparse_index_base_SD_SD_SD_bbb,"axG",@progbits,_ZN9rocsparseL41csrgemm_numeric_fill_block_per_row_kernelILj512ELj32ELj1024ELj137ELj32EiidEEvT5_PKS1_S3_NS_24const_host_device_scalarIT6_EEPKT4_S3_PKS5_S9_S3_SB_S6_S9_S3_SB_S9_S3_PS5_21rocsparse_index_base_SD_SD_SD_bbb,comdat
	.globl	_ZN9rocsparseL41csrgemm_numeric_fill_block_per_row_kernelILj512ELj32ELj1024ELj137ELj32EiidEEvT5_PKS1_S3_NS_24const_host_device_scalarIT6_EEPKT4_S3_PKS5_S9_S3_SB_S6_S9_S3_SB_S9_S3_PS5_21rocsparse_index_base_SD_SD_SD_bbb ; -- Begin function _ZN9rocsparseL41csrgemm_numeric_fill_block_per_row_kernelILj512ELj32ELj1024ELj137ELj32EiidEEvT5_PKS1_S3_NS_24const_host_device_scalarIT6_EEPKT4_S3_PKS5_S9_S3_SB_S6_S9_S3_SB_S9_S3_PS5_21rocsparse_index_base_SD_SD_SD_bbb
	.p2align	8
	.type	_ZN9rocsparseL41csrgemm_numeric_fill_block_per_row_kernelILj512ELj32ELj1024ELj137ELj32EiidEEvT5_PKS1_S3_NS_24const_host_device_scalarIT6_EEPKT4_S3_PKS5_S9_S3_SB_S6_S9_S3_SB_S9_S3_PS5_21rocsparse_index_base_SD_SD_SD_bbb,@function
_ZN9rocsparseL41csrgemm_numeric_fill_block_per_row_kernelILj512ELj32ELj1024ELj137ELj32EiidEEvT5_PKS1_S3_NS_24const_host_device_scalarIT6_EEPKT4_S3_PKS5_S9_S3_SB_S6_S9_S3_SB_S9_S3_PS5_21rocsparse_index_base_SD_SD_SD_bbb: ; @_ZN9rocsparseL41csrgemm_numeric_fill_block_per_row_kernelILj512ELj32ELj1024ELj137ELj32EiidEEvT5_PKS1_S3_NS_24const_host_device_scalarIT6_EEPKT4_S3_PKS5_S9_S3_SB_S6_S9_S3_SB_S9_S3_PS5_21rocsparse_index_base_SD_SD_SD_bbb
; %bb.0:
	s_clause 0x3
	s_load_b32 s14, s[0:1], 0x98
	s_load_b64 s[2:3], s[0:1], 0x18
	s_load_b128 s[16:19], s[0:1], 0x88
	s_load_b64 s[12:13], s[0:1], 0x50
	s_wait_kmcnt 0x0
	s_bitcmp1_b32 s14, 0
	s_cselect_b32 s35, -1, 0
	s_bitcmp1_b32 s14, 16
	s_cselect_b32 s15, -1, 0
	s_xor_b32 s4, s35, -1
	s_delay_alu instid0(SALU_CYCLE_1)
	s_or_b32 s6, s15, s4
	s_and_b32 s4, s35, exec_lo
	s_cselect_b32 s5, s3, 0
	s_cselect_b32 s4, s2, 0
	s_and_b32 vcc_lo, exec_lo, s6
	v_mov_b64_e32 v[4:5], s[4:5]
	s_cbranch_vccnz .LBB26_2
; %bb.1:
	v_mov_b32_e32 v1, 0
	flat_load_b64 v[4:5], v1, s[2:3]
.LBB26_2:
	s_clause 0x4
	s_load_b64 s[24:25], s[0:1], 0x80
	s_load_b128 s[4:7], s[0:1], 0x60
	s_load_b128 s[8:11], s[0:1], 0x40
	;; [unrolled: 1-line block ×3, first 2 shown]
	s_load_b64 s[2:3], s[0:1], 0x28
	s_bitcmp1_b32 s14, 8
	s_cselect_b32 s34, -1, 0
	s_delay_alu instid0(SALU_CYCLE_1) | instskip(NEXT) | instid1(SALU_CYCLE_1)
	s_xor_b32 s14, s34, -1
	s_or_b32 s26, s15, s14
	s_and_b32 s14, s34, exec_lo
	s_cselect_b32 s15, s13, 0
	s_cselect_b32 s14, s12, 0
	s_and_b32 vcc_lo, exec_lo, s26
	v_mov_b64_e32 v[2:3], s[14:15]
	s_cbranch_vccnz .LBB26_4
; %bb.3:
	v_mov_b32_e32 v1, 0
	flat_load_b64 v[2:3], v1, s[12:13]
.LBB26_4:
	s_clause 0x4
	s_load_b32 s33, s[0:1], 0x0
	s_load_b64 s[30:31], s[0:1], 0x20
	s_load_b64 s[26:27], s[0:1], 0x70
	s_load_b64 s[28:29], s[0:1], 0x58
	s_load_b128 s[12:15], s[0:1], 0x30
	v_lshl_add_u32 v1, v0, 2, 0
	v_lshlrev_b32_e32 v6, 3, v0
	v_or_b32_e32 v12, 0xfffffe00, v0
	s_wait_xcnt 0x0
	s_mov_b32 s0, 0
	v_mov_b32_e32 v8, v1
	v_add3_u32 v13, v6, 0, 0x1000
	v_mov_b64_e32 v[6:7], 0
	s_delay_alu instid0(VALU_DEP_2)
	v_dual_mov_b32 v9, v12 :: v_dual_mov_b32 v11, v13
	s_wait_kmcnt 0x0
	v_mov_b32_e32 v10, s33
.LBB26_5:                               ; =>This Inner Loop Header: Depth=1
	s_delay_alu instid0(VALU_DEP_2)
	v_add_co_u32 v9, s1, 0x200, v9
	s_xor_b32 s1, s1, -1
	ds_store_b32 v8, v10
	ds_store_b64 v11, v[6:7]
	v_add_nc_u32_e32 v11, 0x1000, v11
	v_add_nc_u32_e32 v8, 0x800, v8
	s_and_b32 s1, exec_lo, s1
	s_delay_alu instid0(SALU_CYCLE_1) | instskip(NEXT) | instid1(SALU_CYCLE_1)
	s_or_b32 s0, s1, s0
	s_and_not1_b32 exec_lo, exec_lo, s0
	s_cbranch_execnz .LBB26_5
; %bb.6:
	s_or_b32 exec_lo, exec_lo, s0
	s_wait_loadcnt_dscnt 0x0
	s_barrier_signal -1
	s_barrier_wait -1
	s_load_b32 s0, s[20:21], 0x0
	s_bfe_u32 s1, ttmp6, 0x4000c
	s_wait_xcnt 0x0
	s_and_b32 s20, ttmp6, 15
	s_add_co_i32 s1, s1, 1
	s_getreg_b32 s21, hwreg(HW_REG_IB_STS2, 6, 4)
	s_mul_i32 s1, ttmp9, s1
	v_lshrrev_b32_e32 v14, 5, v0
	s_add_co_i32 s20, s20, s1
	s_cmp_eq_u32 s21, 0
	s_cselect_b32 s1, ttmp9, s20
	s_and_b32 vcc_lo, exec_lo, s35
	s_wait_kmcnt 0x0
	s_add_co_i32 s0, s0, s1
	s_load_b32 s20, s[22:23], s0 offset:0x0 scale_offset
	s_cbranch_vccz .LBB26_24
; %bb.7:
	s_wait_kmcnt 0x0
	s_ashr_i32 s21, s20, 31
	v_subrev_nc_u32_e32 v6, s16, v14
	s_lshl_b64 s[0:1], s[20:21], 2
	s_delay_alu instid0(SALU_CYCLE_1)
	s_add_nc_u64 s[0:1], s[30:31], s[0:1]
	s_load_b64 s[22:23], s[0:1], 0x0
	s_wait_xcnt 0x0
	s_mov_b32 s1, exec_lo
	s_wait_kmcnt 0x0
	v_add_nc_u32_e32 v6, s22, v6
	s_sub_co_i32 s0, s23, s16
	s_delay_alu instid0(VALU_DEP_1) | instid1(SALU_CYCLE_1)
	v_cmpx_gt_i32_e64 s0, v6
	s_cbranch_execz .LBB26_23
; %bb.8:
	v_and_b32_e32 v7, 31, v0
	s_mov_b32 s21, 0
	s_delay_alu instid0(VALU_DEP_1)
	v_subrev_nc_u32_e32 v15, s17, v7
	s_branch .LBB26_10
.LBB26_9:                               ;   in Loop: Header=BB26_10 Depth=1
	s_or_b32 exec_lo, exec_lo, s22
	v_add_nc_u32_e32 v6, 16, v6
	s_delay_alu instid0(VALU_DEP_1) | instskip(SKIP_1) | instid1(SALU_CYCLE_1)
	v_cmp_le_i32_e32 vcc_lo, s0, v6
	s_or_b32 s21, vcc_lo, s21
	s_and_not1_b32 exec_lo, exec_lo, s21
	s_cbranch_execz .LBB26_23
.LBB26_10:                              ; =>This Loop Header: Depth=1
                                        ;     Child Loop BB26_14 Depth 2
                                        ;       Child Loop BB26_17 Depth 3
	global_load_b32 v7, v6, s[2:3] scale_offset
	s_mov_b32 s22, exec_lo
	s_wait_loadcnt 0x0
	v_subrev_nc_u32_e32 v8, s16, v7
	s_delay_alu instid0(VALU_DEP_1) | instskip(NEXT) | instid1(VALU_DEP_1)
	v_ashrrev_i32_e32 v9, 31, v8
	v_lshl_add_u64 v[8:9], v[8:9], 2, s[14:15]
	global_load_b64 v[8:9], v[8:9], off
	s_wait_loadcnt 0x0
	v_subrev_nc_u32_e32 v16, s17, v9
	v_add_nc_u32_e32 v17, v8, v15
	s_wait_xcnt 0x0
	s_delay_alu instid0(VALU_DEP_1)
	v_cmpx_lt_i32_e64 v17, v16
	s_cbranch_execz .LBB26_9
; %bb.11:                               ;   in Loop: Header=BB26_10 Depth=1
	v_ashrrev_i32_e32 v7, 31, v6
	s_mov_b32 s23, 0
	s_delay_alu instid0(VALU_DEP_1)
	v_lshl_add_u64 v[8:9], v[6:7], 3, s[12:13]
	global_load_b64 v[8:9], v[8:9], off
	s_wait_loadcnt 0x0
	s_wait_xcnt 0x0
	v_mul_f64_e32 v[8:9], v[4:5], v[8:9]
	s_branch .LBB26_14
.LBB26_12:                              ;   in Loop: Header=BB26_14 Depth=2
	s_or_b32 exec_lo, exec_lo, s31
.LBB26_13:                              ;   in Loop: Header=BB26_14 Depth=2
	s_delay_alu instid0(SALU_CYCLE_1) | instskip(SKIP_3) | instid1(VALU_DEP_2)
	s_or_b32 exec_lo, exec_lo, s30
	s_wait_loadcnt 0x0
	v_dual_mul_f64 v[10:11], v[8:9], v[10:11] :: v_dual_add_nc_u32 v17, 32, v17
	v_lshl_add_u32 v7, v7, 3, 0
	v_cmp_ge_i32_e32 vcc_lo, v17, v16
	s_or_b32 s23, vcc_lo, s23
	ds_add_f64 v7, v[10:11] offset:4096
	s_and_not1_b32 exec_lo, exec_lo, s23
	s_cbranch_execz .LBB26_9
.LBB26_14:                              ;   Parent Loop BB26_10 Depth=1
                                        ; =>  This Loop Header: Depth=2
                                        ;       Child Loop BB26_17 Depth 3
	s_clause 0x1
	global_load_b32 v7, v17, s[8:9] scale_offset
	global_load_b64 v[10:11], v17, s[10:11] scale_offset
	s_mov_b32 s30, exec_lo
	s_wait_loadcnt 0x1
	v_subrev_nc_u32_e32 v18, s17, v7
	s_delay_alu instid0(VALU_DEP_1) | instskip(NEXT) | instid1(VALU_DEP_1)
	v_mul_lo_u32 v7, 0x89, v18
	v_and_b32_e32 v7, 0x3ff, v7
	s_delay_alu instid0(VALU_DEP_1)
	v_lshl_add_u32 v19, v7, 2, 0
	ds_load_b32 v20, v19
	s_wait_dscnt 0x0
	s_wait_xcnt 0x0
	v_cmpx_ne_u32_e64 v20, v18
	s_cbranch_execz .LBB26_13
; %bb.15:                               ;   in Loop: Header=BB26_14 Depth=2
	s_mov_b32 s31, 0
	s_branch .LBB26_17
.LBB26_16:                              ;   in Loop: Header=BB26_17 Depth=3
	s_or_b32 exec_lo, exec_lo, s37
	s_delay_alu instid0(SALU_CYCLE_1) | instskip(NEXT) | instid1(SALU_CYCLE_1)
	s_and_b32 s35, exec_lo, s36
	s_or_b32 s31, s35, s31
	s_delay_alu instid0(SALU_CYCLE_1)
	s_and_not1_b32 exec_lo, exec_lo, s31
	s_cbranch_execz .LBB26_12
.LBB26_17:                              ;   Parent Loop BB26_10 Depth=1
                                        ;     Parent Loop BB26_14 Depth=2
                                        ; =>    This Inner Loop Header: Depth=3
	s_mov_b32 s35, 0
	s_mov_b32 s36, exec_lo
	v_cmpx_ne_u32_e64 s33, v20
	s_xor_b32 s36, exec_lo, s36
	s_cbranch_execz .LBB26_19
; %bb.18:                               ;   in Loop: Header=BB26_17 Depth=3
	v_add_nc_u32_e32 v7, 1, v7
	s_mov_b32 s35, exec_lo
                                        ; implicit-def: $vgpr19
	s_delay_alu instid0(VALU_DEP_1)
	v_and_b32_e32 v7, 0x3ff, v7
	s_and_not1_saveexec_b32 s36, s36
	s_cbranch_execz .LBB26_21
	s_branch .LBB26_20
.LBB26_19:                              ;   in Loop: Header=BB26_17 Depth=3
	s_and_not1_saveexec_b32 s36, s36
	s_cbranch_execz .LBB26_21
.LBB26_20:                              ;   in Loop: Header=BB26_17 Depth=3
	v_mov_b32_e32 v20, s33
	s_and_not1_b32 s35, s35, exec_lo
	ds_cmpstore_rtn_b32 v19, v19, v18, v20
	s_wait_dscnt 0x0
	v_cmp_ne_u32_e32 vcc_lo, s33, v19
	s_and_b32 s37, vcc_lo, exec_lo
	s_delay_alu instid0(SALU_CYCLE_1)
	s_or_b32 s35, s35, s37
.LBB26_21:                              ;   in Loop: Header=BB26_17 Depth=3
	s_or_b32 exec_lo, exec_lo, s36
	s_mov_b32 s36, -1
                                        ; implicit-def: $vgpr19
                                        ; implicit-def: $vgpr20
	s_and_saveexec_b32 s37, s35
	s_cbranch_execz .LBB26_16
; %bb.22:                               ;   in Loop: Header=BB26_17 Depth=3
	v_lshl_add_u32 v19, v7, 2, 0
	ds_load_b32 v20, v19
	s_wait_dscnt 0x0
	v_cmp_eq_u32_e32 vcc_lo, v20, v18
	s_or_not1_b32 s36, vcc_lo, exec_lo
	s_branch .LBB26_16
.LBB26_23:
	s_or_b32 exec_lo, exec_lo, s1
.LBB26_24:
	s_delay_alu instid0(SALU_CYCLE_1)
	s_and_not1_b32 vcc_lo, exec_lo, s34
	s_cbranch_vccnz .LBB26_39
; %bb.25:
	s_wait_kmcnt 0x0
	s_ashr_i32 s21, s20, 31
	v_subrev_nc_u32_e32 v4, s19, v0
	s_lshl_b64 s[0:1], s[20:21], 2
	s_delay_alu instid0(SALU_CYCLE_1)
	s_add_nc_u64 s[0:1], s[28:29], s[0:1]
	s_load_b64 s[2:3], s[0:1], 0x0
	s_wait_xcnt 0x0
	s_mov_b32 s1, exec_lo
	s_wait_kmcnt 0x0
	v_add_nc_u32_e32 v6, s2, v4
	s_sub_co_i32 s0, s3, s19
	s_delay_alu instid0(VALU_DEP_1) | instid1(SALU_CYCLE_1)
	v_cmpx_gt_i32_e64 s0, v6
	s_cbranch_execz .LBB26_38
; %bb.26:
	s_mov_b32 s2, 0
	s_branch .LBB26_29
.LBB26_27:                              ;   in Loop: Header=BB26_29 Depth=1
	s_or_b32 exec_lo, exec_lo, s8
.LBB26_28:                              ;   in Loop: Header=BB26_29 Depth=1
	s_delay_alu instid0(SALU_CYCLE_1) | instskip(SKIP_4) | instid1(VALU_DEP_1)
	s_or_b32 exec_lo, exec_lo, s3
	s_wait_loadcnt 0x0
	v_mul_f64_e32 v[4:5], v[2:3], v[4:5]
	v_lshl_add_u32 v7, v7, 3, 0
	v_add_nc_u32_e32 v6, 0x200, v6
	v_cmp_le_i32_e32 vcc_lo, s0, v6
	s_or_b32 s2, vcc_lo, s2
	ds_add_f64 v7, v[4:5] offset:4096
	s_and_not1_b32 exec_lo, exec_lo, s2
	s_cbranch_execz .LBB26_38
.LBB26_29:                              ; =>This Loop Header: Depth=1
                                        ;     Child Loop BB26_32 Depth 2
	s_clause 0x1
	global_load_b32 v7, v6, s[4:5] scale_offset
	global_load_b64 v[4:5], v6, s[6:7] scale_offset
	s_mov_b32 s3, exec_lo
	s_wait_loadcnt 0x1
	v_subrev_nc_u32_e32 v8, s19, v7
	s_delay_alu instid0(VALU_DEP_1) | instskip(NEXT) | instid1(VALU_DEP_1)
	v_mul_lo_u32 v7, 0x89, v8
	v_and_b32_e32 v7, 0x3ff, v7
	s_delay_alu instid0(VALU_DEP_1)
	v_lshl_add_u32 v9, v7, 2, 0
	ds_load_b32 v10, v9
	s_wait_dscnt 0x0
	s_wait_xcnt 0x0
	v_cmpx_ne_u32_e64 v10, v8
	s_cbranch_execz .LBB26_28
; %bb.30:                               ;   in Loop: Header=BB26_29 Depth=1
	s_mov_b32 s8, 0
	s_branch .LBB26_32
.LBB26_31:                              ;   in Loop: Header=BB26_32 Depth=2
	s_or_b32 exec_lo, exec_lo, s11
	s_delay_alu instid0(SALU_CYCLE_1) | instskip(NEXT) | instid1(SALU_CYCLE_1)
	s_and_b32 s9, exec_lo, s10
	s_or_b32 s8, s9, s8
	s_delay_alu instid0(SALU_CYCLE_1)
	s_and_not1_b32 exec_lo, exec_lo, s8
	s_cbranch_execz .LBB26_27
.LBB26_32:                              ;   Parent Loop BB26_29 Depth=1
                                        ; =>  This Inner Loop Header: Depth=2
	s_mov_b32 s9, 0
	s_mov_b32 s10, exec_lo
	v_cmpx_ne_u32_e64 s33, v10
	s_xor_b32 s10, exec_lo, s10
	s_cbranch_execz .LBB26_34
; %bb.33:                               ;   in Loop: Header=BB26_32 Depth=2
	v_add_nc_u32_e32 v7, 1, v7
	s_mov_b32 s9, exec_lo
                                        ; implicit-def: $vgpr9
	s_delay_alu instid0(VALU_DEP_1)
	v_and_b32_e32 v7, 0x3ff, v7
	s_and_not1_saveexec_b32 s10, s10
	s_cbranch_execz .LBB26_36
	s_branch .LBB26_35
.LBB26_34:                              ;   in Loop: Header=BB26_32 Depth=2
	s_and_not1_saveexec_b32 s10, s10
	s_cbranch_execz .LBB26_36
.LBB26_35:                              ;   in Loop: Header=BB26_32 Depth=2
	v_mov_b32_e32 v10, s33
	s_and_not1_b32 s9, s9, exec_lo
	ds_cmpstore_rtn_b32 v9, v9, v8, v10
	s_wait_dscnt 0x0
	v_cmp_ne_u32_e32 vcc_lo, s33, v9
	s_and_b32 s11, vcc_lo, exec_lo
	s_delay_alu instid0(SALU_CYCLE_1)
	s_or_b32 s9, s9, s11
.LBB26_36:                              ;   in Loop: Header=BB26_32 Depth=2
	s_or_b32 exec_lo, exec_lo, s10
	s_mov_b32 s10, -1
                                        ; implicit-def: $vgpr9
                                        ; implicit-def: $vgpr10
	s_and_saveexec_b32 s11, s9
	s_cbranch_execz .LBB26_31
; %bb.37:                               ;   in Loop: Header=BB26_32 Depth=2
	v_lshl_add_u32 v9, v7, 2, 0
	ds_load_b32 v10, v9
	s_wait_dscnt 0x0
	v_cmp_eq_u32_e32 vcc_lo, v10, v8
	s_or_not1_b32 s10, vcc_lo, exec_lo
	s_branch .LBB26_31
.LBB26_38:
	s_or_b32 exec_lo, exec_lo, s1
.LBB26_39:
	v_mbcnt_lo_u32_b32 v2, -1, 0
	v_mov_b32_e32 v3, 0
	v_lshl_add_u32 v6, v14, 2, 0
	s_wait_xcnt 0x0
	v_cmp_lt_u32_e64 s0, 31, v0
	v_cmp_lt_u32_e64 s1, 63, v0
	v_xor_b32_e32 v2, 31, v2
	v_cmp_lt_u32_e64 s2, 0x5f, v0
	v_cmp_lt_u32_e64 s3, 0x7f, v0
	;; [unrolled: 1-line block ×4, first 2 shown]
	v_lshrrev_b32_e64 v2, v2, -1
	v_cmp_lt_u32_e64 s6, 0xdf, v0
	v_cmp_lt_u32_e64 s7, 0xff, v0
	;; [unrolled: 1-line block ×9, first 2 shown]
	v_mov_b32_e32 v7, 0
	s_mov_b32 s16, 0
	s_wait_dscnt 0x0
	v_cmp_eq_u32_e32 vcc_lo, 0x1ff, v0
	s_barrier_signal -1
	s_barrier_wait -1
	s_branch .LBB26_41
.LBB26_40:                              ;   in Loop: Header=BB26_41 Depth=1
	s_or_b32 exec_lo, exec_lo, s15
	s_wait_dscnt 0x0
	s_barrier_signal -1
	s_barrier_wait -1
	ds_load_b32 v4, v3 offset:12348
	v_add_co_u32 v12, s15, 0x200, v12
	s_xor_b32 s15, s15, -1
	v_add_nc_u32_e32 v13, 0x1000, v13
	v_add_nc_u32_e32 v1, 0x800, v1
	s_and_b32 s15, exec_lo, s15
	s_delay_alu instid0(SALU_CYCLE_1)
	s_or_b32 s16, s15, s16
	s_wait_dscnt 0x0
	v_add_nc_u32_e32 v7, v4, v7
	s_and_not1_b32 exec_lo, exec_lo, s16
	s_cbranch_execz .LBB26_75
.LBB26_41:                              ; =>This Inner Loop Header: Depth=1
	ds_load_b32 v8, v1
	ds_load_b64 v[4:5], v13
	s_wait_dscnt 0x0
	s_barrier_signal -1
	s_barrier_wait -1
	v_cmp_gt_i32_e64 s15, s33, v8
	s_bcnt1_i32_b32 s17, s15
	s_delay_alu instid0(SALU_CYCLE_1) | instskip(NEXT) | instid1(VALU_DEP_1)
	v_dual_mov_b32 v10, s17 :: v_dual_bitop2_b32 v9, s15, v2 bitop3:0x40
	v_bcnt_u32_b32 v9, v9, 0
	ds_store_b32 v6, v10 offset:12288
	s_wait_dscnt 0x0
	s_barrier_signal -1
	s_barrier_wait -1
	s_and_saveexec_b32 s17, s0
	s_cbranch_execz .LBB26_58
; %bb.42:                               ;   in Loop: Header=BB26_41 Depth=1
	ds_load_b32 v10, v3 offset:12288
	s_wait_dscnt 0x0
	v_add_nc_u32_e32 v9, v10, v9
	s_or_b32 exec_lo, exec_lo, s17
	s_and_saveexec_b32 s17, s1
	s_cbranch_execnz .LBB26_59
.LBB26_43:                              ;   in Loop: Header=BB26_41 Depth=1
	s_or_b32 exec_lo, exec_lo, s17
	s_and_saveexec_b32 s17, s2
	s_cbranch_execz .LBB26_60
.LBB26_44:                              ;   in Loop: Header=BB26_41 Depth=1
	ds_load_b32 v10, v3 offset:12296
	s_wait_dscnt 0x0
	v_add_nc_u32_e32 v9, v10, v9
	s_or_b32 exec_lo, exec_lo, s17
	s_and_saveexec_b32 s17, s3
	s_cbranch_execnz .LBB26_61
.LBB26_45:                              ;   in Loop: Header=BB26_41 Depth=1
	s_or_b32 exec_lo, exec_lo, s17
	s_and_saveexec_b32 s17, s4
	s_cbranch_execz .LBB26_62
.LBB26_46:                              ;   in Loop: Header=BB26_41 Depth=1
	ds_load_b32 v10, v3 offset:12304
	s_wait_dscnt 0x0
	v_add_nc_u32_e32 v9, v10, v9
	s_or_b32 exec_lo, exec_lo, s17
	s_and_saveexec_b32 s17, s5
	s_cbranch_execnz .LBB26_63
.LBB26_47:                              ;   in Loop: Header=BB26_41 Depth=1
	s_or_b32 exec_lo, exec_lo, s17
	s_and_saveexec_b32 s17, s6
	s_cbranch_execz .LBB26_64
.LBB26_48:                              ;   in Loop: Header=BB26_41 Depth=1
	ds_load_b32 v10, v3 offset:12312
	s_wait_dscnt 0x0
	v_add_nc_u32_e32 v9, v10, v9
	s_or_b32 exec_lo, exec_lo, s17
	s_and_saveexec_b32 s17, s7
	s_cbranch_execnz .LBB26_65
.LBB26_49:                              ;   in Loop: Header=BB26_41 Depth=1
	s_or_b32 exec_lo, exec_lo, s17
	s_and_saveexec_b32 s17, s8
	s_cbranch_execz .LBB26_66
.LBB26_50:                              ;   in Loop: Header=BB26_41 Depth=1
	ds_load_b32 v10, v3 offset:12320
	s_wait_dscnt 0x0
	v_add_nc_u32_e32 v9, v10, v9
	s_or_b32 exec_lo, exec_lo, s17
	s_and_saveexec_b32 s17, s9
	s_cbranch_execnz .LBB26_67
.LBB26_51:                              ;   in Loop: Header=BB26_41 Depth=1
	s_or_b32 exec_lo, exec_lo, s17
	s_and_saveexec_b32 s17, s10
	s_cbranch_execz .LBB26_68
.LBB26_52:                              ;   in Loop: Header=BB26_41 Depth=1
	ds_load_b32 v10, v3 offset:12328
	s_wait_dscnt 0x0
	v_add_nc_u32_e32 v9, v10, v9
	s_or_b32 exec_lo, exec_lo, s17
	s_and_saveexec_b32 s17, s11
	s_cbranch_execnz .LBB26_69
.LBB26_53:                              ;   in Loop: Header=BB26_41 Depth=1
	s_or_b32 exec_lo, exec_lo, s17
	s_and_saveexec_b32 s17, s12
	s_cbranch_execz .LBB26_70
.LBB26_54:                              ;   in Loop: Header=BB26_41 Depth=1
	ds_load_b32 v10, v3 offset:12336
	s_wait_dscnt 0x0
	v_add_nc_u32_e32 v9, v10, v9
	s_or_b32 exec_lo, exec_lo, s17
	s_and_saveexec_b32 s17, s13
	s_cbranch_execnz .LBB26_71
.LBB26_55:                              ;   in Loop: Header=BB26_41 Depth=1
	s_or_b32 exec_lo, exec_lo, s17
	s_and_saveexec_b32 s17, s14
	s_cbranch_execz .LBB26_72
.LBB26_56:                              ;   in Loop: Header=BB26_41 Depth=1
	ds_load_b32 v10, v3 offset:12344
	s_wait_dscnt 0x0
	v_add_nc_u32_e32 v9, v10, v9
	s_or_b32 exec_lo, exec_lo, s17
	s_and_saveexec_b32 s17, s15
	s_cbranch_execnz .LBB26_73
.LBB26_57:                              ;   in Loop: Header=BB26_41 Depth=1
	s_or_b32 exec_lo, exec_lo, s17
	s_and_saveexec_b32 s15, vcc_lo
	s_cbranch_execz .LBB26_40
	s_branch .LBB26_74
.LBB26_58:                              ;   in Loop: Header=BB26_41 Depth=1
	s_or_b32 exec_lo, exec_lo, s17
	s_and_saveexec_b32 s17, s1
	s_cbranch_execz .LBB26_43
.LBB26_59:                              ;   in Loop: Header=BB26_41 Depth=1
	ds_load_b32 v10, v3 offset:12292
	s_wait_dscnt 0x0
	v_add_nc_u32_e32 v9, v10, v9
	s_or_b32 exec_lo, exec_lo, s17
	s_and_saveexec_b32 s17, s2
	s_cbranch_execnz .LBB26_44
.LBB26_60:                              ;   in Loop: Header=BB26_41 Depth=1
	s_or_b32 exec_lo, exec_lo, s17
	s_and_saveexec_b32 s17, s3
	s_cbranch_execz .LBB26_45
.LBB26_61:                              ;   in Loop: Header=BB26_41 Depth=1
	ds_load_b32 v10, v3 offset:12300
	s_wait_dscnt 0x0
	v_add_nc_u32_e32 v9, v10, v9
	s_or_b32 exec_lo, exec_lo, s17
	s_and_saveexec_b32 s17, s4
	s_cbranch_execnz .LBB26_46
.LBB26_62:                              ;   in Loop: Header=BB26_41 Depth=1
	s_or_b32 exec_lo, exec_lo, s17
	s_and_saveexec_b32 s17, s5
	s_cbranch_execz .LBB26_47
.LBB26_63:                              ;   in Loop: Header=BB26_41 Depth=1
	ds_load_b32 v10, v3 offset:12308
	s_wait_dscnt 0x0
	v_add_nc_u32_e32 v9, v10, v9
	s_or_b32 exec_lo, exec_lo, s17
	s_and_saveexec_b32 s17, s6
	s_cbranch_execnz .LBB26_48
.LBB26_64:                              ;   in Loop: Header=BB26_41 Depth=1
	s_or_b32 exec_lo, exec_lo, s17
	s_and_saveexec_b32 s17, s7
	s_cbranch_execz .LBB26_49
.LBB26_65:                              ;   in Loop: Header=BB26_41 Depth=1
	ds_load_b32 v10, v3 offset:12316
	s_wait_dscnt 0x0
	v_add_nc_u32_e32 v9, v10, v9
	s_or_b32 exec_lo, exec_lo, s17
	s_and_saveexec_b32 s17, s8
	s_cbranch_execnz .LBB26_50
.LBB26_66:                              ;   in Loop: Header=BB26_41 Depth=1
	s_or_b32 exec_lo, exec_lo, s17
	s_and_saveexec_b32 s17, s9
	s_cbranch_execz .LBB26_51
.LBB26_67:                              ;   in Loop: Header=BB26_41 Depth=1
	ds_load_b32 v10, v3 offset:12324
	s_wait_dscnt 0x0
	v_add_nc_u32_e32 v9, v10, v9
	s_or_b32 exec_lo, exec_lo, s17
	s_and_saveexec_b32 s17, s10
	s_cbranch_execnz .LBB26_52
.LBB26_68:                              ;   in Loop: Header=BB26_41 Depth=1
	s_or_b32 exec_lo, exec_lo, s17
	s_and_saveexec_b32 s17, s11
	s_cbranch_execz .LBB26_53
.LBB26_69:                              ;   in Loop: Header=BB26_41 Depth=1
	ds_load_b32 v10, v3 offset:12332
	s_wait_dscnt 0x0
	v_add_nc_u32_e32 v9, v10, v9
	s_or_b32 exec_lo, exec_lo, s17
	s_and_saveexec_b32 s17, s12
	s_cbranch_execnz .LBB26_54
.LBB26_70:                              ;   in Loop: Header=BB26_41 Depth=1
	s_or_b32 exec_lo, exec_lo, s17
	s_and_saveexec_b32 s17, s13
	s_cbranch_execz .LBB26_55
.LBB26_71:                              ;   in Loop: Header=BB26_41 Depth=1
	ds_load_b32 v10, v3 offset:12340
	s_wait_dscnt 0x0
	v_add_nc_u32_e32 v9, v10, v9
	s_or_b32 exec_lo, exec_lo, s17
	s_and_saveexec_b32 s17, s14
	s_cbranch_execnz .LBB26_56
.LBB26_72:                              ;   in Loop: Header=BB26_41 Depth=1
	s_or_b32 exec_lo, exec_lo, s17
	s_and_saveexec_b32 s17, s15
	s_cbranch_execz .LBB26_57
.LBB26_73:                              ;   in Loop: Header=BB26_41 Depth=1
	s_delay_alu instid0(VALU_DEP_1) | instskip(SKIP_1) | instid1(VALU_DEP_2)
	v_add3_u32 v10, v7, -1, v9
	v_add_nc_u32_e32 v11, v7, v9
	v_lshl_add_u32 v10, v10, 2, 0
	s_delay_alu instid0(VALU_DEP_2)
	v_lshl_add_u32 v11, v11, 3, 0
	ds_store_b32 v10, v8
	ds_store_b64 v11, v[4:5] offset:4088
	s_or_b32 exec_lo, exec_lo, s17
	s_and_saveexec_b32 s15, vcc_lo
	s_cbranch_execz .LBB26_40
.LBB26_74:                              ;   in Loop: Header=BB26_41 Depth=1
	ds_store_b32 v3, v9 offset:12348
	s_branch .LBB26_40
.LBB26_75:
	s_or_b32 exec_lo, exec_lo, s16
	s_wait_kmcnt 0x0
	s_ashr_i32 s21, s20, 31
	s_delay_alu instid0(SALU_CYCLE_1) | instskip(NEXT) | instid1(SALU_CYCLE_1)
	s_lshl_b64 s[0:1], s[20:21], 2
	s_add_nc_u64 s[2:3], s[26:27], s[0:1]
	s_load_b64 s[0:1], s[2:3], 0x0
	s_wait_kmcnt 0x0
	s_sub_co_i32 s4, s1, s0
	s_mov_b32 s1, exec_lo
	v_cmpx_gt_i32_e64 s4, v0
	s_cbranch_execz .LBB26_89
; %bb.76:
	v_sub_co_u32 v1, s1, s4, 2
	s_sub_co_i32 s2, s0, s18
	s_xor_b32 s6, s1, -1
	s_and_b32 s5, s4, -2
	v_readfirstlane_b32 s3, v1
	s_lshr_b32 s0, s3, 1
	s_mov_b32 s3, 0
	s_add_co_i32 s0, s0, 1
	s_mov_b32 s11, s3
	s_and_b32 s1, s0, 7
	s_and_b32 s7, s0, -8
	s_cmp_lg_u32 s1, 0
	v_cmp_lt_u32_e64 s0, 13, v1
	s_cselect_b32 s8, -1, 0
	s_cmp_lg_u32 s4, s5
	s_cselect_b32 s9, -1, 0
	s_lshl_b32 s10, s1, 3
	s_branch .LBB26_78
.LBB26_77:                              ;   in Loop: Header=BB26_78 Depth=1
	v_add_nc_u32_e32 v0, 0x200, v0
	s_wait_dscnt 0x0
	global_store_b64 v4, v[2:3], s[24:25] scale_offset
	v_cmp_le_i32_e32 vcc_lo, s4, v0
	s_or_b32 s11, vcc_lo, s11
	s_wait_xcnt 0x0
	s_and_not1_b32 exec_lo, exec_lo, s11
	s_cbranch_execz .LBB26_89
.LBB26_78:                              ; =>This Loop Header: Depth=1
                                        ;     Child Loop BB26_81 Depth 2
                                        ;     Child Loop BB26_84 Depth 2
                                        ;     Child Loop BB26_88 Depth 2
	v_dual_mov_b32 v4, s2 :: v_dual_lshlrev_b32 v1, 2, v0
	s_and_not1_b32 vcc_lo, exec_lo, s6
	s_mov_b32 s1, 0
	s_mov_b32 s12, -1
	s_delay_alu instid0(VALU_DEP_1) | instskip(NEXT) | instid1(VALU_DEP_1)
	v_add_nc_u32_e32 v2, 0, v1
	v_add_nc_u32_e32 v3, v2, v1
	ds_load_b32 v1, v2
	ds_load_b64 v[2:3], v3 offset:4096
	s_cbranch_vccnz .LBB26_86
; %bb.79:                               ;   in Loop: Header=BB26_78 Depth=1
	v_mov_b64_e32 v[4:5], s[2:3]
	s_and_not1_b32 vcc_lo, exec_lo, s0
	s_mov_b32 s12, 0
	s_cbranch_vccnz .LBB26_82
; %bb.80:                               ;   in Loop: Header=BB26_78 Depth=1
	v_dual_mov_b32 v4, s2 :: v_dual_mov_b32 v5, 0
	s_mov_b32 s13, 0
	s_mov_b32 s14, s7
.LBB26_81:                              ;   Parent Loop BB26_78 Depth=1
                                        ; =>  This Inner Loop Header: Depth=2
	v_mov_b32_e32 v20, s13
	s_add_co_i32 s14, s14, -8
	s_add_co_i32 s12, s12, 16
	s_add_co_i32 s13, s13, 64
	s_cmp_lg_u32 s14, 0
	ds_load_2addr_b32 v[6:7], v20 offset1:1
	ds_load_2addr_b32 v[8:9], v20 offset0:2 offset1:3
	ds_load_2addr_b32 v[10:11], v20 offset0:4 offset1:5
	ds_load_2addr_b32 v[12:13], v20 offset0:8 offset1:9
	ds_load_2addr_b32 v[14:15], v20 offset0:12 offset1:13
	ds_load_2addr_b32 v[16:17], v20 offset0:6 offset1:7
	ds_load_2addr_b32 v[18:19], v20 offset0:10 offset1:11
	ds_load_2addr_b32 v[20:21], v20 offset0:14 offset1:15
	s_wait_dscnt 0x7
	v_cmp_gt_i32_e32 vcc_lo, v1, v7
	s_wait_dscnt 0x5
	v_cmp_gt_i32_e64 s1, v1, v10
	v_cndmask_b32_e64 v7, 0, 1, vcc_lo
	v_cmp_gt_i32_e32 vcc_lo, v1, v6
	v_cndmask_b32_e64 v6, 0, 1, vcc_lo
	v_cmp_gt_i32_e32 vcc_lo, v1, v8
	v_cndmask_b32_e64 v8, 0, 1, s1
	v_cmp_gt_i32_e64 s1, v1, v11
	s_delay_alu instid0(VALU_DEP_4) | instskip(NEXT) | instid1(VALU_DEP_2)
	v_add_co_ci_u32_e64 v4, null, v4, v6, vcc_lo
	v_cndmask_b32_e64 v10, 0, 1, s1
	s_wait_dscnt 0x4
	v_cmp_gt_i32_e64 s1, v1, v13
	s_wait_dscnt 0x2
	v_cmp_gt_i32_e32 vcc_lo, v1, v16
	s_delay_alu instid0(VALU_DEP_2) | instskip(SKIP_4) | instid1(VALU_DEP_3)
	v_cndmask_b32_e64 v11, 0, 1, s1
	v_cmp_gt_i32_e64 s1, v1, v12
	v_add_co_ci_u32_e64 v4, null, v4, v8, vcc_lo
	s_wait_dscnt 0x1
	v_cmp_gt_i32_e32 vcc_lo, v1, v18
	v_cndmask_b32_e64 v12, 0, 1, s1
	v_cmp_gt_i32_e64 s1, v1, v14
	s_delay_alu instid0(VALU_DEP_2) | instskip(NEXT) | instid1(VALU_DEP_2)
	v_add_co_ci_u32_e64 v4, null, v4, v12, vcc_lo
	v_cndmask_b32_e64 v13, 0, 1, s1
	v_cmp_gt_i32_e64 s1, v1, v15
	s_wait_dscnt 0x0
	v_cmp_gt_i32_e32 vcc_lo, v1, v20
	s_delay_alu instid0(VALU_DEP_2) | instskip(SKIP_2) | instid1(VALU_DEP_2)
	v_cndmask_b32_e64 v14, 0, 1, s1
	v_cmp_gt_i32_e64 s1, v1, v9
	v_add_co_ci_u32_e64 v4, null, v4, v13, vcc_lo
	v_add_co_ci_u32_e64 v5, null, v5, v7, s1
	v_cmp_gt_i32_e64 s1, v1, v17
	s_delay_alu instid0(VALU_DEP_1) | instskip(SKIP_1) | instid1(VALU_DEP_1)
	v_add_co_ci_u32_e64 v5, null, v5, v10, s1
	v_cmp_gt_i32_e64 s1, v1, v19
	v_add_co_ci_u32_e64 v5, null, v5, v11, s1
	v_cmp_gt_i32_e64 s1, v1, v21
	s_delay_alu instid0(VALU_DEP_1)
	v_add_co_ci_u32_e64 v5, null, v5, v14, s1
	s_cbranch_scc1 .LBB26_81
.LBB26_82:                              ;   in Loop: Header=BB26_78 Depth=1
	s_and_not1_b32 vcc_lo, exec_lo, s8
	s_cbranch_vccnz .LBB26_85
; %bb.83:                               ;   in Loop: Header=BB26_78 Depth=1
	s_lshl_b32 s1, s12, 2
	s_mov_b32 s12, s10
	s_add_co_i32 s1, s1, 0
.LBB26_84:                              ;   Parent Loop BB26_78 Depth=1
                                        ; =>  This Inner Loop Header: Depth=2
	s_delay_alu instid0(SALU_CYCLE_1)
	v_mov_b32_e32 v6, s1
	s_add_co_i32 s12, s12, -8
	s_add_co_i32 s1, s1, 8
	s_cmp_lg_u32 s12, 0
	ds_load_2addr_b32 v[6:7], v6 offset1:1
	s_wait_dscnt 0x0
	v_cmp_gt_i32_e32 vcc_lo, v1, v7
	v_add_co_ci_u32_e64 v5, null, 0, v5, vcc_lo
	v_cmp_gt_i32_e32 vcc_lo, v1, v6
	v_add_co_ci_u32_e64 v4, null, 0, v4, vcc_lo
	s_cbranch_scc1 .LBB26_84
.LBB26_85:                              ;   in Loop: Header=BB26_78 Depth=1
	s_delay_alu instid0(VALU_DEP_1)
	v_add_nc_u32_e32 v4, v4, v5
	s_mov_b32 s1, s5
	s_mov_b32 s12, s9
.LBB26_86:                              ;   in Loop: Header=BB26_78 Depth=1
	s_delay_alu instid0(SALU_CYCLE_1)
	s_and_b32 vcc_lo, exec_lo, s12
	s_cbranch_vccz .LBB26_77
; %bb.87:                               ;   in Loop: Header=BB26_78 Depth=1
	s_lshl_b32 s12, s1, 2
	s_delay_alu instid0(SALU_CYCLE_1)
	s_add_co_i32 s12, s12, 0
.LBB26_88:                              ;   Parent Loop BB26_78 Depth=1
                                        ; =>  This Inner Loop Header: Depth=2
	s_delay_alu instid0(SALU_CYCLE_1)
	v_mov_b32_e32 v5, s12
	s_add_co_i32 s1, s1, 1
	s_add_co_i32 s12, s12, 4
	s_cmp_ge_i32 s1, s4
	ds_load_b32 v5, v5
	s_wait_dscnt 0x0
	v_cmp_gt_i32_e32 vcc_lo, v1, v5
	v_add_co_ci_u32_e64 v4, null, 0, v4, vcc_lo
	s_cbranch_scc0 .LBB26_88
	s_branch .LBB26_77
.LBB26_89:
	s_endpgm
	.section	.rodata,"a",@progbits
	.p2align	6, 0x0
	.amdhsa_kernel _ZN9rocsparseL41csrgemm_numeric_fill_block_per_row_kernelILj512ELj32ELj1024ELj137ELj32EiidEEvT5_PKS1_S3_NS_24const_host_device_scalarIT6_EEPKT4_S3_PKS5_S9_S3_SB_S6_S9_S3_SB_S9_S3_PS5_21rocsparse_index_base_SD_SD_SD_bbb
		.amdhsa_group_segment_fixed_size 0
		.amdhsa_private_segment_fixed_size 0
		.amdhsa_kernarg_size 156
		.amdhsa_user_sgpr_count 2
		.amdhsa_user_sgpr_dispatch_ptr 0
		.amdhsa_user_sgpr_queue_ptr 0
		.amdhsa_user_sgpr_kernarg_segment_ptr 1
		.amdhsa_user_sgpr_dispatch_id 0
		.amdhsa_user_sgpr_kernarg_preload_length 0
		.amdhsa_user_sgpr_kernarg_preload_offset 0
		.amdhsa_user_sgpr_private_segment_size 0
		.amdhsa_wavefront_size32 1
		.amdhsa_uses_dynamic_stack 0
		.amdhsa_enable_private_segment 0
		.amdhsa_system_sgpr_workgroup_id_x 1
		.amdhsa_system_sgpr_workgroup_id_y 0
		.amdhsa_system_sgpr_workgroup_id_z 0
		.amdhsa_system_sgpr_workgroup_info 0
		.amdhsa_system_vgpr_workitem_id 0
		.amdhsa_next_free_vgpr 22
		.amdhsa_next_free_sgpr 38
		.amdhsa_named_barrier_count 0
		.amdhsa_reserve_vcc 1
		.amdhsa_float_round_mode_32 0
		.amdhsa_float_round_mode_16_64 0
		.amdhsa_float_denorm_mode_32 3
		.amdhsa_float_denorm_mode_16_64 3
		.amdhsa_fp16_overflow 0
		.amdhsa_memory_ordered 1
		.amdhsa_forward_progress 1
		.amdhsa_inst_pref_size 27
		.amdhsa_round_robin_scheduling 0
		.amdhsa_exception_fp_ieee_invalid_op 0
		.amdhsa_exception_fp_denorm_src 0
		.amdhsa_exception_fp_ieee_div_zero 0
		.amdhsa_exception_fp_ieee_overflow 0
		.amdhsa_exception_fp_ieee_underflow 0
		.amdhsa_exception_fp_ieee_inexact 0
		.amdhsa_exception_int_div_zero 0
	.end_amdhsa_kernel
	.section	.text._ZN9rocsparseL41csrgemm_numeric_fill_block_per_row_kernelILj512ELj32ELj1024ELj137ELj32EiidEEvT5_PKS1_S3_NS_24const_host_device_scalarIT6_EEPKT4_S3_PKS5_S9_S3_SB_S6_S9_S3_SB_S9_S3_PS5_21rocsparse_index_base_SD_SD_SD_bbb,"axG",@progbits,_ZN9rocsparseL41csrgemm_numeric_fill_block_per_row_kernelILj512ELj32ELj1024ELj137ELj32EiidEEvT5_PKS1_S3_NS_24const_host_device_scalarIT6_EEPKT4_S3_PKS5_S9_S3_SB_S6_S9_S3_SB_S9_S3_PS5_21rocsparse_index_base_SD_SD_SD_bbb,comdat
.Lfunc_end26:
	.size	_ZN9rocsparseL41csrgemm_numeric_fill_block_per_row_kernelILj512ELj32ELj1024ELj137ELj32EiidEEvT5_PKS1_S3_NS_24const_host_device_scalarIT6_EEPKT4_S3_PKS5_S9_S3_SB_S6_S9_S3_SB_S9_S3_PS5_21rocsparse_index_base_SD_SD_SD_bbb, .Lfunc_end26-_ZN9rocsparseL41csrgemm_numeric_fill_block_per_row_kernelILj512ELj32ELj1024ELj137ELj32EiidEEvT5_PKS1_S3_NS_24const_host_device_scalarIT6_EEPKT4_S3_PKS5_S9_S3_SB_S6_S9_S3_SB_S9_S3_PS5_21rocsparse_index_base_SD_SD_SD_bbb
                                        ; -- End function
	.set _ZN9rocsparseL41csrgemm_numeric_fill_block_per_row_kernelILj512ELj32ELj1024ELj137ELj32EiidEEvT5_PKS1_S3_NS_24const_host_device_scalarIT6_EEPKT4_S3_PKS5_S9_S3_SB_S6_S9_S3_SB_S9_S3_PS5_21rocsparse_index_base_SD_SD_SD_bbb.num_vgpr, 22
	.set _ZN9rocsparseL41csrgemm_numeric_fill_block_per_row_kernelILj512ELj32ELj1024ELj137ELj32EiidEEvT5_PKS1_S3_NS_24const_host_device_scalarIT6_EEPKT4_S3_PKS5_S9_S3_SB_S6_S9_S3_SB_S9_S3_PS5_21rocsparse_index_base_SD_SD_SD_bbb.num_agpr, 0
	.set _ZN9rocsparseL41csrgemm_numeric_fill_block_per_row_kernelILj512ELj32ELj1024ELj137ELj32EiidEEvT5_PKS1_S3_NS_24const_host_device_scalarIT6_EEPKT4_S3_PKS5_S9_S3_SB_S6_S9_S3_SB_S9_S3_PS5_21rocsparse_index_base_SD_SD_SD_bbb.numbered_sgpr, 38
	.set _ZN9rocsparseL41csrgemm_numeric_fill_block_per_row_kernelILj512ELj32ELj1024ELj137ELj32EiidEEvT5_PKS1_S3_NS_24const_host_device_scalarIT6_EEPKT4_S3_PKS5_S9_S3_SB_S6_S9_S3_SB_S9_S3_PS5_21rocsparse_index_base_SD_SD_SD_bbb.num_named_barrier, 0
	.set _ZN9rocsparseL41csrgemm_numeric_fill_block_per_row_kernelILj512ELj32ELj1024ELj137ELj32EiidEEvT5_PKS1_S3_NS_24const_host_device_scalarIT6_EEPKT4_S3_PKS5_S9_S3_SB_S6_S9_S3_SB_S9_S3_PS5_21rocsparse_index_base_SD_SD_SD_bbb.private_seg_size, 0
	.set _ZN9rocsparseL41csrgemm_numeric_fill_block_per_row_kernelILj512ELj32ELj1024ELj137ELj32EiidEEvT5_PKS1_S3_NS_24const_host_device_scalarIT6_EEPKT4_S3_PKS5_S9_S3_SB_S6_S9_S3_SB_S9_S3_PS5_21rocsparse_index_base_SD_SD_SD_bbb.uses_vcc, 1
	.set _ZN9rocsparseL41csrgemm_numeric_fill_block_per_row_kernelILj512ELj32ELj1024ELj137ELj32EiidEEvT5_PKS1_S3_NS_24const_host_device_scalarIT6_EEPKT4_S3_PKS5_S9_S3_SB_S6_S9_S3_SB_S9_S3_PS5_21rocsparse_index_base_SD_SD_SD_bbb.uses_flat_scratch, 0
	.set _ZN9rocsparseL41csrgemm_numeric_fill_block_per_row_kernelILj512ELj32ELj1024ELj137ELj32EiidEEvT5_PKS1_S3_NS_24const_host_device_scalarIT6_EEPKT4_S3_PKS5_S9_S3_SB_S6_S9_S3_SB_S9_S3_PS5_21rocsparse_index_base_SD_SD_SD_bbb.has_dyn_sized_stack, 0
	.set _ZN9rocsparseL41csrgemm_numeric_fill_block_per_row_kernelILj512ELj32ELj1024ELj137ELj32EiidEEvT5_PKS1_S3_NS_24const_host_device_scalarIT6_EEPKT4_S3_PKS5_S9_S3_SB_S6_S9_S3_SB_S9_S3_PS5_21rocsparse_index_base_SD_SD_SD_bbb.has_recursion, 0
	.set _ZN9rocsparseL41csrgemm_numeric_fill_block_per_row_kernelILj512ELj32ELj1024ELj137ELj32EiidEEvT5_PKS1_S3_NS_24const_host_device_scalarIT6_EEPKT4_S3_PKS5_S9_S3_SB_S6_S9_S3_SB_S9_S3_PS5_21rocsparse_index_base_SD_SD_SD_bbb.has_indirect_call, 0
	.section	.AMDGPU.csdata,"",@progbits
; Kernel info:
; codeLenInByte = 3448
; TotalNumSgprs: 40
; NumVgprs: 22
; ScratchSize: 0
; MemoryBound: 0
; FloatMode: 240
; IeeeMode: 1
; LDSByteSize: 0 bytes/workgroup (compile time only)
; SGPRBlocks: 0
; VGPRBlocks: 1
; NumSGPRsForWavesPerEU: 40
; NumVGPRsForWavesPerEU: 22
; NamedBarCnt: 0
; Occupancy: 16
; WaveLimiterHint : 1
; COMPUTE_PGM_RSRC2:SCRATCH_EN: 0
; COMPUTE_PGM_RSRC2:USER_SGPR: 2
; COMPUTE_PGM_RSRC2:TRAP_HANDLER: 0
; COMPUTE_PGM_RSRC2:TGID_X_EN: 1
; COMPUTE_PGM_RSRC2:TGID_Y_EN: 0
; COMPUTE_PGM_RSRC2:TGID_Z_EN: 0
; COMPUTE_PGM_RSRC2:TIDIG_COMP_CNT: 0
	.section	.text._ZN9rocsparseL41csrgemm_numeric_fill_block_per_row_kernelILj512ELj32ELj1024ELj137ELj64EiidEEvT5_PKS1_S3_NS_24const_host_device_scalarIT6_EEPKT4_S3_PKS5_S9_S3_SB_S6_S9_S3_SB_S9_S3_PS5_21rocsparse_index_base_SD_SD_SD_bbb,"axG",@progbits,_ZN9rocsparseL41csrgemm_numeric_fill_block_per_row_kernelILj512ELj32ELj1024ELj137ELj64EiidEEvT5_PKS1_S3_NS_24const_host_device_scalarIT6_EEPKT4_S3_PKS5_S9_S3_SB_S6_S9_S3_SB_S9_S3_PS5_21rocsparse_index_base_SD_SD_SD_bbb,comdat
	.globl	_ZN9rocsparseL41csrgemm_numeric_fill_block_per_row_kernelILj512ELj32ELj1024ELj137ELj64EiidEEvT5_PKS1_S3_NS_24const_host_device_scalarIT6_EEPKT4_S3_PKS5_S9_S3_SB_S6_S9_S3_SB_S9_S3_PS5_21rocsparse_index_base_SD_SD_SD_bbb ; -- Begin function _ZN9rocsparseL41csrgemm_numeric_fill_block_per_row_kernelILj512ELj32ELj1024ELj137ELj64EiidEEvT5_PKS1_S3_NS_24const_host_device_scalarIT6_EEPKT4_S3_PKS5_S9_S3_SB_S6_S9_S3_SB_S9_S3_PS5_21rocsparse_index_base_SD_SD_SD_bbb
	.p2align	8
	.type	_ZN9rocsparseL41csrgemm_numeric_fill_block_per_row_kernelILj512ELj32ELj1024ELj137ELj64EiidEEvT5_PKS1_S3_NS_24const_host_device_scalarIT6_EEPKT4_S3_PKS5_S9_S3_SB_S6_S9_S3_SB_S9_S3_PS5_21rocsparse_index_base_SD_SD_SD_bbb,@function
_ZN9rocsparseL41csrgemm_numeric_fill_block_per_row_kernelILj512ELj32ELj1024ELj137ELj64EiidEEvT5_PKS1_S3_NS_24const_host_device_scalarIT6_EEPKT4_S3_PKS5_S9_S3_SB_S6_S9_S3_SB_S9_S3_PS5_21rocsparse_index_base_SD_SD_SD_bbb: ; @_ZN9rocsparseL41csrgemm_numeric_fill_block_per_row_kernelILj512ELj32ELj1024ELj137ELj64EiidEEvT5_PKS1_S3_NS_24const_host_device_scalarIT6_EEPKT4_S3_PKS5_S9_S3_SB_S6_S9_S3_SB_S9_S3_PS5_21rocsparse_index_base_SD_SD_SD_bbb
; %bb.0:
	s_clause 0x3
	s_load_b32 s18, s[0:1], 0x98
	s_load_b64 s[2:3], s[0:1], 0x18
	s_load_b128 s[8:11], s[0:1], 0x88
	s_load_b64 s[16:17], s[0:1], 0x50
	s_wait_kmcnt 0x0
	s_bitcmp1_b32 s18, 0
	s_cselect_b32 s35, -1, 0
	s_bitcmp1_b32 s18, 16
	s_cselect_b32 s19, -1, 0
	s_xor_b32 s4, s35, -1
	s_delay_alu instid0(SALU_CYCLE_1)
	s_or_b32 s6, s19, s4
	s_and_b32 s4, s35, exec_lo
	s_cselect_b32 s5, s3, 0
	s_cselect_b32 s4, s2, 0
	s_and_b32 vcc_lo, exec_lo, s6
	v_mov_b64_e32 v[4:5], s[4:5]
	s_cbranch_vccnz .LBB27_2
; %bb.1:
	v_mov_b32_e32 v1, 0
	flat_load_b64 v[4:5], v1, s[2:3]
.LBB27_2:
	s_clause 0x4
	s_load_b64 s[24:25], s[0:1], 0x80
	s_load_b128 s[4:7], s[0:1], 0x60
	s_load_b128 s[12:15], s[0:1], 0x40
	s_load_b128 s[20:23], s[0:1], 0x8
	s_load_b64 s[2:3], s[0:1], 0x28
	s_bitcmp1_b32 s18, 8
	s_cselect_b32 s34, -1, 0
	s_delay_alu instid0(SALU_CYCLE_1) | instskip(NEXT) | instid1(SALU_CYCLE_1)
	s_xor_b32 s18, s34, -1
	s_or_b32 s26, s19, s18
	s_and_b32 s18, s34, exec_lo
	s_cselect_b32 s19, s17, 0
	s_cselect_b32 s18, s16, 0
	s_and_b32 vcc_lo, exec_lo, s26
	v_mov_b64_e32 v[2:3], s[18:19]
	s_cbranch_vccnz .LBB27_4
; %bb.3:
	v_mov_b32_e32 v1, 0
	flat_load_b64 v[2:3], v1, s[16:17]
.LBB27_4:
	s_clause 0x4
	s_load_b32 s33, s[0:1], 0x0
	s_load_b64 s[30:31], s[0:1], 0x20
	s_load_b64 s[26:27], s[0:1], 0x70
	;; [unrolled: 1-line block ×3, first 2 shown]
	s_load_b128 s[16:19], s[0:1], 0x30
	v_lshl_add_u32 v1, v0, 2, 0
	v_lshlrev_b32_e32 v6, 3, v0
	v_or_b32_e32 v12, 0xfffffe00, v0
	s_wait_xcnt 0x0
	s_mov_b32 s0, 0
	v_mov_b32_e32 v8, v1
	v_add3_u32 v13, v6, 0, 0x1000
	v_mov_b64_e32 v[6:7], 0
	s_delay_alu instid0(VALU_DEP_2)
	v_dual_mov_b32 v9, v12 :: v_dual_mov_b32 v11, v13
	s_wait_kmcnt 0x0
	v_mov_b32_e32 v10, s33
.LBB27_5:                               ; =>This Inner Loop Header: Depth=1
	s_delay_alu instid0(VALU_DEP_2)
	v_add_co_u32 v9, s1, 0x200, v9
	s_xor_b32 s1, s1, -1
	ds_store_b32 v8, v10
	ds_store_b64 v11, v[6:7]
	v_add_nc_u32_e32 v11, 0x1000, v11
	v_add_nc_u32_e32 v8, 0x800, v8
	s_and_b32 s1, exec_lo, s1
	s_delay_alu instid0(SALU_CYCLE_1) | instskip(NEXT) | instid1(SALU_CYCLE_1)
	s_or_b32 s0, s1, s0
	s_and_not1_b32 exec_lo, exec_lo, s0
	s_cbranch_execnz .LBB27_5
; %bb.6:
	s_or_b32 exec_lo, exec_lo, s0
	s_wait_loadcnt_dscnt 0x0
	s_barrier_signal -1
	s_barrier_wait -1
	s_load_b32 s0, s[20:21], 0x0
	s_bfe_u32 s1, ttmp6, 0x4000c
	s_wait_xcnt 0x0
	s_and_b32 s20, ttmp6, 15
	s_add_co_i32 s1, s1, 1
	s_getreg_b32 s21, hwreg(HW_REG_IB_STS2, 6, 4)
	s_mul_i32 s1, ttmp9, s1
	s_delay_alu instid0(SALU_CYCLE_1)
	s_add_co_i32 s20, s20, s1
	s_cmp_eq_u32 s21, 0
	s_cselect_b32 s1, ttmp9, s20
	s_and_b32 vcc_lo, exec_lo, s35
	s_wait_kmcnt 0x0
	s_add_co_i32 s0, s0, s1
	s_load_b32 s20, s[22:23], s0 offset:0x0 scale_offset
	s_cbranch_vccz .LBB27_24
; %bb.7:
	s_wait_kmcnt 0x0
	s_ashr_i32 s21, s20, 31
	v_lshrrev_b32_e32 v6, 5, v0
	s_lshl_b64 s[0:1], s[20:21], 2
	s_delay_alu instid0(SALU_CYCLE_1) | instskip(NEXT) | instid1(VALU_DEP_1)
	s_add_nc_u64 s[0:1], s[30:31], s[0:1]
	v_subrev_nc_u32_e32 v6, s8, v6
	s_load_b64 s[22:23], s[0:1], 0x0
	s_wait_xcnt 0x0
	s_mov_b32 s1, exec_lo
	s_wait_kmcnt 0x0
	v_add_nc_u32_e32 v6, s22, v6
	s_sub_co_i32 s0, s23, s8
	s_delay_alu instid0(VALU_DEP_1) | instid1(SALU_CYCLE_1)
	v_cmpx_gt_i32_e64 s0, v6
	s_cbranch_execz .LBB27_23
; %bb.8:
	v_and_b32_e32 v7, 31, v0
	s_mov_b32 s21, 0
	s_delay_alu instid0(VALU_DEP_1)
	v_subrev_nc_u32_e32 v14, s9, v7
	s_branch .LBB27_10
.LBB27_9:                               ;   in Loop: Header=BB27_10 Depth=1
	s_or_b32 exec_lo, exec_lo, s22
	v_add_nc_u32_e32 v6, 16, v6
	s_delay_alu instid0(VALU_DEP_1) | instskip(SKIP_1) | instid1(SALU_CYCLE_1)
	v_cmp_le_i32_e32 vcc_lo, s0, v6
	s_or_b32 s21, vcc_lo, s21
	s_and_not1_b32 exec_lo, exec_lo, s21
	s_cbranch_execz .LBB27_23
.LBB27_10:                              ; =>This Loop Header: Depth=1
                                        ;     Child Loop BB27_14 Depth 2
                                        ;       Child Loop BB27_17 Depth 3
	global_load_b32 v7, v6, s[2:3] scale_offset
	s_mov_b32 s22, exec_lo
	s_wait_loadcnt 0x0
	v_subrev_nc_u32_e32 v8, s8, v7
	s_delay_alu instid0(VALU_DEP_1) | instskip(NEXT) | instid1(VALU_DEP_1)
	v_ashrrev_i32_e32 v9, 31, v8
	v_lshl_add_u64 v[8:9], v[8:9], 2, s[18:19]
	global_load_b64 v[8:9], v[8:9], off
	s_wait_loadcnt 0x0
	v_subrev_nc_u32_e32 v15, s9, v9
	v_add_nc_u32_e32 v16, v8, v14
	s_wait_xcnt 0x0
	s_delay_alu instid0(VALU_DEP_1)
	v_cmpx_lt_i32_e64 v16, v15
	s_cbranch_execz .LBB27_9
; %bb.11:                               ;   in Loop: Header=BB27_10 Depth=1
	v_ashrrev_i32_e32 v7, 31, v6
	s_mov_b32 s23, 0
	s_delay_alu instid0(VALU_DEP_1)
	v_lshl_add_u64 v[8:9], v[6:7], 3, s[16:17]
	global_load_b64 v[8:9], v[8:9], off
	s_wait_loadcnt 0x0
	s_wait_xcnt 0x0
	v_mul_f64_e32 v[8:9], v[4:5], v[8:9]
	s_branch .LBB27_14
.LBB27_12:                              ;   in Loop: Header=BB27_14 Depth=2
	s_or_b32 exec_lo, exec_lo, s31
.LBB27_13:                              ;   in Loop: Header=BB27_14 Depth=2
	s_delay_alu instid0(SALU_CYCLE_1) | instskip(SKIP_3) | instid1(VALU_DEP_2)
	s_or_b32 exec_lo, exec_lo, s30
	s_wait_loadcnt 0x0
	v_dual_mul_f64 v[10:11], v[8:9], v[10:11] :: v_dual_add_nc_u32 v16, 32, v16
	v_lshl_add_u32 v7, v7, 3, 0
	v_cmp_ge_i32_e32 vcc_lo, v16, v15
	s_or_b32 s23, vcc_lo, s23
	ds_add_f64 v7, v[10:11] offset:4096
	s_and_not1_b32 exec_lo, exec_lo, s23
	s_cbranch_execz .LBB27_9
.LBB27_14:                              ;   Parent Loop BB27_10 Depth=1
                                        ; =>  This Loop Header: Depth=2
                                        ;       Child Loop BB27_17 Depth 3
	s_clause 0x1
	global_load_b32 v7, v16, s[12:13] scale_offset
	global_load_b64 v[10:11], v16, s[14:15] scale_offset
	s_mov_b32 s30, exec_lo
	s_wait_loadcnt 0x1
	v_subrev_nc_u32_e32 v17, s9, v7
	s_delay_alu instid0(VALU_DEP_1) | instskip(NEXT) | instid1(VALU_DEP_1)
	v_mul_lo_u32 v7, 0x89, v17
	v_and_b32_e32 v7, 0x3ff, v7
	s_delay_alu instid0(VALU_DEP_1)
	v_lshl_add_u32 v18, v7, 2, 0
	ds_load_b32 v19, v18
	s_wait_dscnt 0x0
	s_wait_xcnt 0x0
	v_cmpx_ne_u32_e64 v19, v17
	s_cbranch_execz .LBB27_13
; %bb.15:                               ;   in Loop: Header=BB27_14 Depth=2
	s_mov_b32 s31, 0
	s_branch .LBB27_17
.LBB27_16:                              ;   in Loop: Header=BB27_17 Depth=3
	s_or_b32 exec_lo, exec_lo, s37
	s_delay_alu instid0(SALU_CYCLE_1) | instskip(NEXT) | instid1(SALU_CYCLE_1)
	s_and_b32 s35, exec_lo, s36
	s_or_b32 s31, s35, s31
	s_delay_alu instid0(SALU_CYCLE_1)
	s_and_not1_b32 exec_lo, exec_lo, s31
	s_cbranch_execz .LBB27_12
.LBB27_17:                              ;   Parent Loop BB27_10 Depth=1
                                        ;     Parent Loop BB27_14 Depth=2
                                        ; =>    This Inner Loop Header: Depth=3
	s_mov_b32 s35, 0
	s_mov_b32 s36, exec_lo
	v_cmpx_ne_u32_e64 s33, v19
	s_xor_b32 s36, exec_lo, s36
	s_cbranch_execz .LBB27_19
; %bb.18:                               ;   in Loop: Header=BB27_17 Depth=3
	v_add_nc_u32_e32 v7, 1, v7
	s_mov_b32 s35, exec_lo
                                        ; implicit-def: $vgpr18
	s_delay_alu instid0(VALU_DEP_1)
	v_and_b32_e32 v7, 0x3ff, v7
	s_and_not1_saveexec_b32 s36, s36
	s_cbranch_execz .LBB27_21
	s_branch .LBB27_20
.LBB27_19:                              ;   in Loop: Header=BB27_17 Depth=3
	s_and_not1_saveexec_b32 s36, s36
	s_cbranch_execz .LBB27_21
.LBB27_20:                              ;   in Loop: Header=BB27_17 Depth=3
	v_mov_b32_e32 v19, s33
	s_and_not1_b32 s35, s35, exec_lo
	ds_cmpstore_rtn_b32 v18, v18, v17, v19
	s_wait_dscnt 0x0
	v_cmp_ne_u32_e32 vcc_lo, s33, v18
	s_and_b32 s37, vcc_lo, exec_lo
	s_delay_alu instid0(SALU_CYCLE_1)
	s_or_b32 s35, s35, s37
.LBB27_21:                              ;   in Loop: Header=BB27_17 Depth=3
	s_or_b32 exec_lo, exec_lo, s36
	s_mov_b32 s36, -1
                                        ; implicit-def: $vgpr18
                                        ; implicit-def: $vgpr19
	s_and_saveexec_b32 s37, s35
	s_cbranch_execz .LBB27_16
; %bb.22:                               ;   in Loop: Header=BB27_17 Depth=3
	v_lshl_add_u32 v18, v7, 2, 0
	ds_load_b32 v19, v18
	s_wait_dscnt 0x0
	v_cmp_eq_u32_e32 vcc_lo, v19, v17
	s_or_not1_b32 s36, vcc_lo, exec_lo
	s_branch .LBB27_16
.LBB27_23:
	s_or_b32 exec_lo, exec_lo, s1
.LBB27_24:
	s_delay_alu instid0(SALU_CYCLE_1)
	s_and_not1_b32 vcc_lo, exec_lo, s34
	s_cbranch_vccnz .LBB27_39
; %bb.25:
	s_wait_kmcnt 0x0
	s_ashr_i32 s21, s20, 31
	v_subrev_nc_u32_e32 v4, s11, v0
	s_lshl_b64 s[0:1], s[20:21], 2
	s_delay_alu instid0(SALU_CYCLE_1)
	s_add_nc_u64 s[0:1], s[28:29], s[0:1]
	s_load_b64 s[2:3], s[0:1], 0x0
	s_wait_xcnt 0x0
	s_mov_b32 s1, exec_lo
	s_wait_kmcnt 0x0
	v_add_nc_u32_e32 v6, s2, v4
	s_sub_co_i32 s0, s3, s11
	s_delay_alu instid0(VALU_DEP_1) | instid1(SALU_CYCLE_1)
	v_cmpx_gt_i32_e64 s0, v6
	s_cbranch_execz .LBB27_38
; %bb.26:
	s_mov_b32 s2, 0
	s_branch .LBB27_29
.LBB27_27:                              ;   in Loop: Header=BB27_29 Depth=1
	s_or_b32 exec_lo, exec_lo, s8
.LBB27_28:                              ;   in Loop: Header=BB27_29 Depth=1
	s_delay_alu instid0(SALU_CYCLE_1) | instskip(SKIP_4) | instid1(VALU_DEP_1)
	s_or_b32 exec_lo, exec_lo, s3
	s_wait_loadcnt 0x0
	v_mul_f64_e32 v[4:5], v[2:3], v[4:5]
	v_lshl_add_u32 v7, v7, 3, 0
	v_add_nc_u32_e32 v6, 0x200, v6
	v_cmp_le_i32_e32 vcc_lo, s0, v6
	s_or_b32 s2, vcc_lo, s2
	ds_add_f64 v7, v[4:5] offset:4096
	s_and_not1_b32 exec_lo, exec_lo, s2
	s_cbranch_execz .LBB27_38
.LBB27_29:                              ; =>This Loop Header: Depth=1
                                        ;     Child Loop BB27_32 Depth 2
	s_clause 0x1
	global_load_b32 v7, v6, s[4:5] scale_offset
	global_load_b64 v[4:5], v6, s[6:7] scale_offset
	s_mov_b32 s3, exec_lo
	s_wait_loadcnt 0x1
	v_subrev_nc_u32_e32 v8, s11, v7
	s_delay_alu instid0(VALU_DEP_1) | instskip(NEXT) | instid1(VALU_DEP_1)
	v_mul_lo_u32 v7, 0x89, v8
	v_and_b32_e32 v7, 0x3ff, v7
	s_delay_alu instid0(VALU_DEP_1)
	v_lshl_add_u32 v9, v7, 2, 0
	ds_load_b32 v10, v9
	s_wait_dscnt 0x0
	s_wait_xcnt 0x0
	v_cmpx_ne_u32_e64 v10, v8
	s_cbranch_execz .LBB27_28
; %bb.30:                               ;   in Loop: Header=BB27_29 Depth=1
	s_mov_b32 s8, 0
	s_branch .LBB27_32
.LBB27_31:                              ;   in Loop: Header=BB27_32 Depth=2
	s_or_b32 exec_lo, exec_lo, s13
	s_delay_alu instid0(SALU_CYCLE_1) | instskip(NEXT) | instid1(SALU_CYCLE_1)
	s_and_b32 s9, exec_lo, s12
	s_or_b32 s8, s9, s8
	s_delay_alu instid0(SALU_CYCLE_1)
	s_and_not1_b32 exec_lo, exec_lo, s8
	s_cbranch_execz .LBB27_27
.LBB27_32:                              ;   Parent Loop BB27_29 Depth=1
                                        ; =>  This Inner Loop Header: Depth=2
	s_mov_b32 s9, 0
	s_mov_b32 s12, exec_lo
	v_cmpx_ne_u32_e64 s33, v10
	s_xor_b32 s12, exec_lo, s12
	s_cbranch_execz .LBB27_34
; %bb.33:                               ;   in Loop: Header=BB27_32 Depth=2
	v_add_nc_u32_e32 v7, 1, v7
	s_mov_b32 s9, exec_lo
                                        ; implicit-def: $vgpr9
	s_delay_alu instid0(VALU_DEP_1)
	v_and_b32_e32 v7, 0x3ff, v7
	s_and_not1_saveexec_b32 s12, s12
	s_cbranch_execz .LBB27_36
	s_branch .LBB27_35
.LBB27_34:                              ;   in Loop: Header=BB27_32 Depth=2
	s_and_not1_saveexec_b32 s12, s12
	s_cbranch_execz .LBB27_36
.LBB27_35:                              ;   in Loop: Header=BB27_32 Depth=2
	v_mov_b32_e32 v10, s33
	s_and_not1_b32 s9, s9, exec_lo
	ds_cmpstore_rtn_b32 v9, v9, v8, v10
	s_wait_dscnt 0x0
	v_cmp_ne_u32_e32 vcc_lo, s33, v9
	s_and_b32 s13, vcc_lo, exec_lo
	s_delay_alu instid0(SALU_CYCLE_1)
	s_or_b32 s9, s9, s13
.LBB27_36:                              ;   in Loop: Header=BB27_32 Depth=2
	s_or_b32 exec_lo, exec_lo, s12
	s_mov_b32 s12, -1
                                        ; implicit-def: $vgpr9
                                        ; implicit-def: $vgpr10
	s_and_saveexec_b32 s13, s9
	s_cbranch_execz .LBB27_31
; %bb.37:                               ;   in Loop: Header=BB27_32 Depth=2
	v_lshl_add_u32 v9, v7, 2, 0
	ds_load_b32 v10, v9
	s_wait_dscnt 0x0
	v_cmp_eq_u32_e32 vcc_lo, v10, v8
	s_or_not1_b32 s12, vcc_lo, exec_lo
	s_branch .LBB27_31
.LBB27_38:
	s_or_b32 exec_lo, exec_lo, s1
.LBB27_39:
	v_mbcnt_lo_u32_b32 v2, -1, 0
	v_dual_mov_b32 v3, 0 :: v_dual_lshrrev_b32 v4, 4, v0
	s_wait_xcnt 0x0
	v_cmp_lt_u32_e64 s0, 63, v0
	v_cmp_lt_u32_e64 s1, 0x7f, v0
	s_delay_alu instid0(VALU_DEP_3)
	v_dual_mov_b32 v7, 0 :: v_dual_bitop2_b32 v4, 28, v4 bitop3:0x40
	v_xor_b32_e32 v2, 31, v2
	v_cmp_lt_u32_e64 s2, 0xbf, v0
	v_cmp_lt_u32_e64 s3, 0xff, v0
	;; [unrolled: 1-line block ×3, first 2 shown]
	v_add_nc_u32_e32 v6, 0, v4
	v_lshrrev_b32_e64 v2, v2, -1
	v_cmp_lt_u32_e64 s5, 0x17f, v0
	v_cmp_lt_u32_e64 s6, 0x1bf, v0
	s_mov_b32 s8, 0
	s_wait_dscnt 0x0
	v_cmp_eq_u32_e32 vcc_lo, 0x1ff, v0
	s_barrier_signal -1
	s_barrier_wait -1
	s_branch .LBB27_41
.LBB27_40:                              ;   in Loop: Header=BB27_41 Depth=1
	s_or_b32 exec_lo, exec_lo, s7
	s_wait_dscnt 0x0
	s_barrier_signal -1
	s_barrier_wait -1
	ds_load_b32 v4, v3 offset:12316
	v_add_co_u32 v12, s7, 0x200, v12
	s_xor_b32 s7, s7, -1
	v_add_nc_u32_e32 v13, 0x1000, v13
	v_add_nc_u32_e32 v1, 0x800, v1
	s_and_b32 s7, exec_lo, s7
	s_delay_alu instid0(SALU_CYCLE_1)
	s_or_b32 s8, s7, s8
	s_wait_dscnt 0x0
	v_add_nc_u32_e32 v7, v4, v7
	s_and_not1_b32 exec_lo, exec_lo, s8
	s_cbranch_execz .LBB27_59
.LBB27_41:                              ; =>This Inner Loop Header: Depth=1
	ds_load_b32 v8, v1
	ds_load_b64 v[4:5], v13
	s_wait_dscnt 0x0
	s_barrier_signal -1
	s_barrier_wait -1
	v_cmp_gt_i32_e64 s7, s33, v8
	s_bcnt1_i32_b32 s9, s7
	s_delay_alu instid0(SALU_CYCLE_1) | instskip(NEXT) | instid1(VALU_DEP_1)
	v_dual_mov_b32 v10, s9 :: v_dual_bitop2_b32 v9, s7, v2 bitop3:0x40
	v_bcnt_u32_b32 v9, v9, 0
	ds_store_b32 v6, v10 offset:12288
	s_wait_dscnt 0x0
	s_barrier_signal -1
	s_barrier_wait -1
	s_and_saveexec_b32 s9, s0
	s_cbranch_execz .LBB27_50
; %bb.42:                               ;   in Loop: Header=BB27_41 Depth=1
	ds_load_b32 v10, v3 offset:12288
	s_wait_dscnt 0x0
	v_add_nc_u32_e32 v9, v10, v9
	s_or_b32 exec_lo, exec_lo, s9
	s_and_saveexec_b32 s9, s1
	s_cbranch_execnz .LBB27_51
.LBB27_43:                              ;   in Loop: Header=BB27_41 Depth=1
	s_or_b32 exec_lo, exec_lo, s9
	s_and_saveexec_b32 s9, s2
	s_cbranch_execz .LBB27_52
.LBB27_44:                              ;   in Loop: Header=BB27_41 Depth=1
	ds_load_b32 v10, v3 offset:12296
	s_wait_dscnt 0x0
	v_add_nc_u32_e32 v9, v10, v9
	s_or_b32 exec_lo, exec_lo, s9
	s_and_saveexec_b32 s9, s3
	s_cbranch_execnz .LBB27_53
.LBB27_45:                              ;   in Loop: Header=BB27_41 Depth=1
	s_or_b32 exec_lo, exec_lo, s9
	s_and_saveexec_b32 s9, s4
	s_cbranch_execz .LBB27_54
.LBB27_46:                              ;   in Loop: Header=BB27_41 Depth=1
	ds_load_b32 v10, v3 offset:12304
	s_wait_dscnt 0x0
	v_add_nc_u32_e32 v9, v10, v9
	s_or_b32 exec_lo, exec_lo, s9
	s_and_saveexec_b32 s9, s5
	s_cbranch_execnz .LBB27_55
.LBB27_47:                              ;   in Loop: Header=BB27_41 Depth=1
	s_or_b32 exec_lo, exec_lo, s9
	s_and_saveexec_b32 s9, s6
	s_cbranch_execz .LBB27_56
.LBB27_48:                              ;   in Loop: Header=BB27_41 Depth=1
	ds_load_b32 v10, v3 offset:12312
	s_wait_dscnt 0x0
	v_add_nc_u32_e32 v9, v10, v9
	s_or_b32 exec_lo, exec_lo, s9
	s_and_saveexec_b32 s9, s7
	s_cbranch_execnz .LBB27_57
.LBB27_49:                              ;   in Loop: Header=BB27_41 Depth=1
	s_or_b32 exec_lo, exec_lo, s9
	s_and_saveexec_b32 s7, vcc_lo
	s_cbranch_execz .LBB27_40
	s_branch .LBB27_58
.LBB27_50:                              ;   in Loop: Header=BB27_41 Depth=1
	s_or_b32 exec_lo, exec_lo, s9
	s_and_saveexec_b32 s9, s1
	s_cbranch_execz .LBB27_43
.LBB27_51:                              ;   in Loop: Header=BB27_41 Depth=1
	ds_load_b32 v10, v3 offset:12292
	s_wait_dscnt 0x0
	v_add_nc_u32_e32 v9, v10, v9
	s_or_b32 exec_lo, exec_lo, s9
	s_and_saveexec_b32 s9, s2
	s_cbranch_execnz .LBB27_44
.LBB27_52:                              ;   in Loop: Header=BB27_41 Depth=1
	s_or_b32 exec_lo, exec_lo, s9
	s_and_saveexec_b32 s9, s3
	s_cbranch_execz .LBB27_45
.LBB27_53:                              ;   in Loop: Header=BB27_41 Depth=1
	ds_load_b32 v10, v3 offset:12300
	s_wait_dscnt 0x0
	v_add_nc_u32_e32 v9, v10, v9
	s_or_b32 exec_lo, exec_lo, s9
	s_and_saveexec_b32 s9, s4
	s_cbranch_execnz .LBB27_46
.LBB27_54:                              ;   in Loop: Header=BB27_41 Depth=1
	s_or_b32 exec_lo, exec_lo, s9
	s_and_saveexec_b32 s9, s5
	s_cbranch_execz .LBB27_47
.LBB27_55:                              ;   in Loop: Header=BB27_41 Depth=1
	ds_load_b32 v10, v3 offset:12308
	s_wait_dscnt 0x0
	v_add_nc_u32_e32 v9, v10, v9
	s_or_b32 exec_lo, exec_lo, s9
	s_and_saveexec_b32 s9, s6
	s_cbranch_execnz .LBB27_48
.LBB27_56:                              ;   in Loop: Header=BB27_41 Depth=1
	s_or_b32 exec_lo, exec_lo, s9
	s_and_saveexec_b32 s9, s7
	s_cbranch_execz .LBB27_49
.LBB27_57:                              ;   in Loop: Header=BB27_41 Depth=1
	s_delay_alu instid0(VALU_DEP_1) | instskip(SKIP_1) | instid1(VALU_DEP_2)
	v_add3_u32 v10, v7, -1, v9
	v_add_nc_u32_e32 v11, v7, v9
	v_lshl_add_u32 v10, v10, 2, 0
	s_delay_alu instid0(VALU_DEP_2)
	v_lshl_add_u32 v11, v11, 3, 0
	ds_store_b32 v10, v8
	ds_store_b64 v11, v[4:5] offset:4088
	s_or_b32 exec_lo, exec_lo, s9
	s_and_saveexec_b32 s7, vcc_lo
	s_cbranch_execz .LBB27_40
.LBB27_58:                              ;   in Loop: Header=BB27_41 Depth=1
	ds_store_b32 v3, v9 offset:12316
	s_branch .LBB27_40
.LBB27_59:
	s_or_b32 exec_lo, exec_lo, s8
	s_wait_kmcnt 0x0
	s_ashr_i32 s21, s20, 31
	s_delay_alu instid0(SALU_CYCLE_1) | instskip(NEXT) | instid1(SALU_CYCLE_1)
	s_lshl_b64 s[0:1], s[20:21], 2
	s_add_nc_u64 s[2:3], s[26:27], s[0:1]
	s_load_b64 s[0:1], s[2:3], 0x0
	s_wait_kmcnt 0x0
	s_sub_co_i32 s4, s1, s0
	s_mov_b32 s1, exec_lo
	v_cmpx_gt_i32_e64 s4, v0
	s_cbranch_execz .LBB27_73
; %bb.60:
	v_sub_co_u32 v1, s1, s4, 2
	s_sub_co_i32 s2, s0, s10
	s_xor_b32 s6, s1, -1
	s_and_b32 s5, s4, -2
	v_readfirstlane_b32 s3, v1
	s_lshr_b32 s0, s3, 1
	s_mov_b32 s3, 0
	s_add_co_i32 s0, s0, 1
	s_mov_b32 s11, s3
	s_and_b32 s1, s0, 7
	s_and_b32 s7, s0, -8
	s_cmp_lg_u32 s1, 0
	v_cmp_lt_u32_e64 s0, 13, v1
	s_cselect_b32 s8, -1, 0
	s_cmp_lg_u32 s4, s5
	s_cselect_b32 s9, -1, 0
	s_lshl_b32 s10, s1, 3
	s_branch .LBB27_62
.LBB27_61:                              ;   in Loop: Header=BB27_62 Depth=1
	v_add_nc_u32_e32 v0, 0x200, v0
	s_wait_dscnt 0x0
	global_store_b64 v4, v[2:3], s[24:25] scale_offset
	v_cmp_le_i32_e32 vcc_lo, s4, v0
	s_or_b32 s11, vcc_lo, s11
	s_wait_xcnt 0x0
	s_and_not1_b32 exec_lo, exec_lo, s11
	s_cbranch_execz .LBB27_73
.LBB27_62:                              ; =>This Loop Header: Depth=1
                                        ;     Child Loop BB27_65 Depth 2
                                        ;     Child Loop BB27_68 Depth 2
	;; [unrolled: 1-line block ×3, first 2 shown]
	v_dual_mov_b32 v4, s2 :: v_dual_lshlrev_b32 v1, 2, v0
	s_and_not1_b32 vcc_lo, exec_lo, s6
	s_mov_b32 s1, 0
	s_mov_b32 s12, -1
	s_delay_alu instid0(VALU_DEP_1) | instskip(NEXT) | instid1(VALU_DEP_1)
	v_add_nc_u32_e32 v2, 0, v1
	v_add_nc_u32_e32 v3, v2, v1
	ds_load_b32 v1, v2
	ds_load_b64 v[2:3], v3 offset:4096
	s_cbranch_vccnz .LBB27_70
; %bb.63:                               ;   in Loop: Header=BB27_62 Depth=1
	v_mov_b64_e32 v[4:5], s[2:3]
	s_and_not1_b32 vcc_lo, exec_lo, s0
	s_mov_b32 s12, 0
	s_cbranch_vccnz .LBB27_66
; %bb.64:                               ;   in Loop: Header=BB27_62 Depth=1
	v_dual_mov_b32 v4, s2 :: v_dual_mov_b32 v5, 0
	s_mov_b32 s13, 0
	s_mov_b32 s14, s7
.LBB27_65:                              ;   Parent Loop BB27_62 Depth=1
                                        ; =>  This Inner Loop Header: Depth=2
	v_mov_b32_e32 v20, s13
	s_add_co_i32 s14, s14, -8
	s_add_co_i32 s12, s12, 16
	s_add_co_i32 s13, s13, 64
	s_cmp_lg_u32 s14, 0
	ds_load_2addr_b32 v[6:7], v20 offset1:1
	ds_load_2addr_b32 v[8:9], v20 offset0:2 offset1:3
	ds_load_2addr_b32 v[10:11], v20 offset0:4 offset1:5
	;; [unrolled: 1-line block ×7, first 2 shown]
	s_wait_dscnt 0x7
	v_cmp_gt_i32_e32 vcc_lo, v1, v7
	s_wait_dscnt 0x5
	v_cmp_gt_i32_e64 s1, v1, v10
	v_cndmask_b32_e64 v7, 0, 1, vcc_lo
	v_cmp_gt_i32_e32 vcc_lo, v1, v6
	v_cndmask_b32_e64 v6, 0, 1, vcc_lo
	v_cmp_gt_i32_e32 vcc_lo, v1, v8
	v_cndmask_b32_e64 v8, 0, 1, s1
	v_cmp_gt_i32_e64 s1, v1, v11
	s_delay_alu instid0(VALU_DEP_4) | instskip(NEXT) | instid1(VALU_DEP_2)
	v_add_co_ci_u32_e64 v4, null, v4, v6, vcc_lo
	v_cndmask_b32_e64 v10, 0, 1, s1
	s_wait_dscnt 0x4
	v_cmp_gt_i32_e64 s1, v1, v13
	s_wait_dscnt 0x2
	v_cmp_gt_i32_e32 vcc_lo, v1, v16
	s_delay_alu instid0(VALU_DEP_2) | instskip(SKIP_4) | instid1(VALU_DEP_3)
	v_cndmask_b32_e64 v11, 0, 1, s1
	v_cmp_gt_i32_e64 s1, v1, v12
	v_add_co_ci_u32_e64 v4, null, v4, v8, vcc_lo
	s_wait_dscnt 0x1
	v_cmp_gt_i32_e32 vcc_lo, v1, v18
	v_cndmask_b32_e64 v12, 0, 1, s1
	v_cmp_gt_i32_e64 s1, v1, v14
	s_delay_alu instid0(VALU_DEP_2) | instskip(NEXT) | instid1(VALU_DEP_2)
	v_add_co_ci_u32_e64 v4, null, v4, v12, vcc_lo
	v_cndmask_b32_e64 v13, 0, 1, s1
	v_cmp_gt_i32_e64 s1, v1, v15
	s_wait_dscnt 0x0
	v_cmp_gt_i32_e32 vcc_lo, v1, v20
	s_delay_alu instid0(VALU_DEP_2) | instskip(SKIP_2) | instid1(VALU_DEP_2)
	v_cndmask_b32_e64 v14, 0, 1, s1
	v_cmp_gt_i32_e64 s1, v1, v9
	v_add_co_ci_u32_e64 v4, null, v4, v13, vcc_lo
	v_add_co_ci_u32_e64 v5, null, v5, v7, s1
	v_cmp_gt_i32_e64 s1, v1, v17
	s_delay_alu instid0(VALU_DEP_1) | instskip(SKIP_1) | instid1(VALU_DEP_1)
	v_add_co_ci_u32_e64 v5, null, v5, v10, s1
	v_cmp_gt_i32_e64 s1, v1, v19
	v_add_co_ci_u32_e64 v5, null, v5, v11, s1
	v_cmp_gt_i32_e64 s1, v1, v21
	s_delay_alu instid0(VALU_DEP_1)
	v_add_co_ci_u32_e64 v5, null, v5, v14, s1
	s_cbranch_scc1 .LBB27_65
.LBB27_66:                              ;   in Loop: Header=BB27_62 Depth=1
	s_and_not1_b32 vcc_lo, exec_lo, s8
	s_cbranch_vccnz .LBB27_69
; %bb.67:                               ;   in Loop: Header=BB27_62 Depth=1
	s_lshl_b32 s1, s12, 2
	s_mov_b32 s12, s10
	s_add_co_i32 s1, s1, 0
.LBB27_68:                              ;   Parent Loop BB27_62 Depth=1
                                        ; =>  This Inner Loop Header: Depth=2
	s_delay_alu instid0(SALU_CYCLE_1)
	v_mov_b32_e32 v6, s1
	s_add_co_i32 s12, s12, -8
	s_add_co_i32 s1, s1, 8
	s_cmp_lg_u32 s12, 0
	ds_load_2addr_b32 v[6:7], v6 offset1:1
	s_wait_dscnt 0x0
	v_cmp_gt_i32_e32 vcc_lo, v1, v7
	v_add_co_ci_u32_e64 v5, null, 0, v5, vcc_lo
	v_cmp_gt_i32_e32 vcc_lo, v1, v6
	v_add_co_ci_u32_e64 v4, null, 0, v4, vcc_lo
	s_cbranch_scc1 .LBB27_68
.LBB27_69:                              ;   in Loop: Header=BB27_62 Depth=1
	s_delay_alu instid0(VALU_DEP_1)
	v_add_nc_u32_e32 v4, v4, v5
	s_mov_b32 s1, s5
	s_mov_b32 s12, s9
.LBB27_70:                              ;   in Loop: Header=BB27_62 Depth=1
	s_delay_alu instid0(SALU_CYCLE_1)
	s_and_b32 vcc_lo, exec_lo, s12
	s_cbranch_vccz .LBB27_61
; %bb.71:                               ;   in Loop: Header=BB27_62 Depth=1
	s_lshl_b32 s12, s1, 2
	s_delay_alu instid0(SALU_CYCLE_1)
	s_add_co_i32 s12, s12, 0
.LBB27_72:                              ;   Parent Loop BB27_62 Depth=1
                                        ; =>  This Inner Loop Header: Depth=2
	s_delay_alu instid0(SALU_CYCLE_1)
	v_mov_b32_e32 v5, s12
	s_add_co_i32 s1, s1, 1
	s_add_co_i32 s12, s12, 4
	s_cmp_ge_i32 s1, s4
	ds_load_b32 v5, v5
	s_wait_dscnt 0x0
	v_cmp_gt_i32_e32 vcc_lo, v1, v5
	v_add_co_ci_u32_e64 v4, null, 0, v4, vcc_lo
	s_cbranch_scc0 .LBB27_72
	s_branch .LBB27_61
.LBB27_73:
	s_endpgm
	.section	.rodata,"a",@progbits
	.p2align	6, 0x0
	.amdhsa_kernel _ZN9rocsparseL41csrgemm_numeric_fill_block_per_row_kernelILj512ELj32ELj1024ELj137ELj64EiidEEvT5_PKS1_S3_NS_24const_host_device_scalarIT6_EEPKT4_S3_PKS5_S9_S3_SB_S6_S9_S3_SB_S9_S3_PS5_21rocsparse_index_base_SD_SD_SD_bbb
		.amdhsa_group_segment_fixed_size 0
		.amdhsa_private_segment_fixed_size 0
		.amdhsa_kernarg_size 156
		.amdhsa_user_sgpr_count 2
		.amdhsa_user_sgpr_dispatch_ptr 0
		.amdhsa_user_sgpr_queue_ptr 0
		.amdhsa_user_sgpr_kernarg_segment_ptr 1
		.amdhsa_user_sgpr_dispatch_id 0
		.amdhsa_user_sgpr_kernarg_preload_length 0
		.amdhsa_user_sgpr_kernarg_preload_offset 0
		.amdhsa_user_sgpr_private_segment_size 0
		.amdhsa_wavefront_size32 1
		.amdhsa_uses_dynamic_stack 0
		.amdhsa_enable_private_segment 0
		.amdhsa_system_sgpr_workgroup_id_x 1
		.amdhsa_system_sgpr_workgroup_id_y 0
		.amdhsa_system_sgpr_workgroup_id_z 0
		.amdhsa_system_sgpr_workgroup_info 0
		.amdhsa_system_vgpr_workitem_id 0
		.amdhsa_next_free_vgpr 22
		.amdhsa_next_free_sgpr 38
		.amdhsa_named_barrier_count 0
		.amdhsa_reserve_vcc 1
		.amdhsa_float_round_mode_32 0
		.amdhsa_float_round_mode_16_64 0
		.amdhsa_float_denorm_mode_32 3
		.amdhsa_float_denorm_mode_16_64 3
		.amdhsa_fp16_overflow 0
		.amdhsa_memory_ordered 1
		.amdhsa_forward_progress 1
		.amdhsa_inst_pref_size 24
		.amdhsa_round_robin_scheduling 0
		.amdhsa_exception_fp_ieee_invalid_op 0
		.amdhsa_exception_fp_denorm_src 0
		.amdhsa_exception_fp_ieee_div_zero 0
		.amdhsa_exception_fp_ieee_overflow 0
		.amdhsa_exception_fp_ieee_underflow 0
		.amdhsa_exception_fp_ieee_inexact 0
		.amdhsa_exception_int_div_zero 0
	.end_amdhsa_kernel
	.section	.text._ZN9rocsparseL41csrgemm_numeric_fill_block_per_row_kernelILj512ELj32ELj1024ELj137ELj64EiidEEvT5_PKS1_S3_NS_24const_host_device_scalarIT6_EEPKT4_S3_PKS5_S9_S3_SB_S6_S9_S3_SB_S9_S3_PS5_21rocsparse_index_base_SD_SD_SD_bbb,"axG",@progbits,_ZN9rocsparseL41csrgemm_numeric_fill_block_per_row_kernelILj512ELj32ELj1024ELj137ELj64EiidEEvT5_PKS1_S3_NS_24const_host_device_scalarIT6_EEPKT4_S3_PKS5_S9_S3_SB_S6_S9_S3_SB_S9_S3_PS5_21rocsparse_index_base_SD_SD_SD_bbb,comdat
.Lfunc_end27:
	.size	_ZN9rocsparseL41csrgemm_numeric_fill_block_per_row_kernelILj512ELj32ELj1024ELj137ELj64EiidEEvT5_PKS1_S3_NS_24const_host_device_scalarIT6_EEPKT4_S3_PKS5_S9_S3_SB_S6_S9_S3_SB_S9_S3_PS5_21rocsparse_index_base_SD_SD_SD_bbb, .Lfunc_end27-_ZN9rocsparseL41csrgemm_numeric_fill_block_per_row_kernelILj512ELj32ELj1024ELj137ELj64EiidEEvT5_PKS1_S3_NS_24const_host_device_scalarIT6_EEPKT4_S3_PKS5_S9_S3_SB_S6_S9_S3_SB_S9_S3_PS5_21rocsparse_index_base_SD_SD_SD_bbb
                                        ; -- End function
	.set _ZN9rocsparseL41csrgemm_numeric_fill_block_per_row_kernelILj512ELj32ELj1024ELj137ELj64EiidEEvT5_PKS1_S3_NS_24const_host_device_scalarIT6_EEPKT4_S3_PKS5_S9_S3_SB_S6_S9_S3_SB_S9_S3_PS5_21rocsparse_index_base_SD_SD_SD_bbb.num_vgpr, 22
	.set _ZN9rocsparseL41csrgemm_numeric_fill_block_per_row_kernelILj512ELj32ELj1024ELj137ELj64EiidEEvT5_PKS1_S3_NS_24const_host_device_scalarIT6_EEPKT4_S3_PKS5_S9_S3_SB_S6_S9_S3_SB_S9_S3_PS5_21rocsparse_index_base_SD_SD_SD_bbb.num_agpr, 0
	.set _ZN9rocsparseL41csrgemm_numeric_fill_block_per_row_kernelILj512ELj32ELj1024ELj137ELj64EiidEEvT5_PKS1_S3_NS_24const_host_device_scalarIT6_EEPKT4_S3_PKS5_S9_S3_SB_S6_S9_S3_SB_S9_S3_PS5_21rocsparse_index_base_SD_SD_SD_bbb.numbered_sgpr, 38
	.set _ZN9rocsparseL41csrgemm_numeric_fill_block_per_row_kernelILj512ELj32ELj1024ELj137ELj64EiidEEvT5_PKS1_S3_NS_24const_host_device_scalarIT6_EEPKT4_S3_PKS5_S9_S3_SB_S6_S9_S3_SB_S9_S3_PS5_21rocsparse_index_base_SD_SD_SD_bbb.num_named_barrier, 0
	.set _ZN9rocsparseL41csrgemm_numeric_fill_block_per_row_kernelILj512ELj32ELj1024ELj137ELj64EiidEEvT5_PKS1_S3_NS_24const_host_device_scalarIT6_EEPKT4_S3_PKS5_S9_S3_SB_S6_S9_S3_SB_S9_S3_PS5_21rocsparse_index_base_SD_SD_SD_bbb.private_seg_size, 0
	.set _ZN9rocsparseL41csrgemm_numeric_fill_block_per_row_kernelILj512ELj32ELj1024ELj137ELj64EiidEEvT5_PKS1_S3_NS_24const_host_device_scalarIT6_EEPKT4_S3_PKS5_S9_S3_SB_S6_S9_S3_SB_S9_S3_PS5_21rocsparse_index_base_SD_SD_SD_bbb.uses_vcc, 1
	.set _ZN9rocsparseL41csrgemm_numeric_fill_block_per_row_kernelILj512ELj32ELj1024ELj137ELj64EiidEEvT5_PKS1_S3_NS_24const_host_device_scalarIT6_EEPKT4_S3_PKS5_S9_S3_SB_S6_S9_S3_SB_S9_S3_PS5_21rocsparse_index_base_SD_SD_SD_bbb.uses_flat_scratch, 0
	.set _ZN9rocsparseL41csrgemm_numeric_fill_block_per_row_kernelILj512ELj32ELj1024ELj137ELj64EiidEEvT5_PKS1_S3_NS_24const_host_device_scalarIT6_EEPKT4_S3_PKS5_S9_S3_SB_S6_S9_S3_SB_S9_S3_PS5_21rocsparse_index_base_SD_SD_SD_bbb.has_dyn_sized_stack, 0
	.set _ZN9rocsparseL41csrgemm_numeric_fill_block_per_row_kernelILj512ELj32ELj1024ELj137ELj64EiidEEvT5_PKS1_S3_NS_24const_host_device_scalarIT6_EEPKT4_S3_PKS5_S9_S3_SB_S6_S9_S3_SB_S9_S3_PS5_21rocsparse_index_base_SD_SD_SD_bbb.has_recursion, 0
	.set _ZN9rocsparseL41csrgemm_numeric_fill_block_per_row_kernelILj512ELj32ELj1024ELj137ELj64EiidEEvT5_PKS1_S3_NS_24const_host_device_scalarIT6_EEPKT4_S3_PKS5_S9_S3_SB_S6_S9_S3_SB_S9_S3_PS5_21rocsparse_index_base_SD_SD_SD_bbb.has_indirect_call, 0
	.section	.AMDGPU.csdata,"",@progbits
; Kernel info:
; codeLenInByte = 3052
; TotalNumSgprs: 40
; NumVgprs: 22
; ScratchSize: 0
; MemoryBound: 0
; FloatMode: 240
; IeeeMode: 1
; LDSByteSize: 0 bytes/workgroup (compile time only)
; SGPRBlocks: 0
; VGPRBlocks: 1
; NumSGPRsForWavesPerEU: 40
; NumVGPRsForWavesPerEU: 22
; NamedBarCnt: 0
; Occupancy: 16
; WaveLimiterHint : 1
; COMPUTE_PGM_RSRC2:SCRATCH_EN: 0
; COMPUTE_PGM_RSRC2:USER_SGPR: 2
; COMPUTE_PGM_RSRC2:TRAP_HANDLER: 0
; COMPUTE_PGM_RSRC2:TGID_X_EN: 1
; COMPUTE_PGM_RSRC2:TGID_Y_EN: 0
; COMPUTE_PGM_RSRC2:TGID_Z_EN: 0
; COMPUTE_PGM_RSRC2:TIDIG_COMP_CNT: 0
	.section	.text._ZN9rocsparseL41csrgemm_numeric_fill_block_per_row_kernelILj1024ELj32ELj2048ELj137ELj32EiidEEvT5_PKS1_S3_NS_24const_host_device_scalarIT6_EEPKT4_S3_PKS5_S9_S3_SB_S6_S9_S3_SB_S9_S3_PS5_21rocsparse_index_base_SD_SD_SD_bbb,"axG",@progbits,_ZN9rocsparseL41csrgemm_numeric_fill_block_per_row_kernelILj1024ELj32ELj2048ELj137ELj32EiidEEvT5_PKS1_S3_NS_24const_host_device_scalarIT6_EEPKT4_S3_PKS5_S9_S3_SB_S6_S9_S3_SB_S9_S3_PS5_21rocsparse_index_base_SD_SD_SD_bbb,comdat
	.globl	_ZN9rocsparseL41csrgemm_numeric_fill_block_per_row_kernelILj1024ELj32ELj2048ELj137ELj32EiidEEvT5_PKS1_S3_NS_24const_host_device_scalarIT6_EEPKT4_S3_PKS5_S9_S3_SB_S6_S9_S3_SB_S9_S3_PS5_21rocsparse_index_base_SD_SD_SD_bbb ; -- Begin function _ZN9rocsparseL41csrgemm_numeric_fill_block_per_row_kernelILj1024ELj32ELj2048ELj137ELj32EiidEEvT5_PKS1_S3_NS_24const_host_device_scalarIT6_EEPKT4_S3_PKS5_S9_S3_SB_S6_S9_S3_SB_S9_S3_PS5_21rocsparse_index_base_SD_SD_SD_bbb
	.p2align	8
	.type	_ZN9rocsparseL41csrgemm_numeric_fill_block_per_row_kernelILj1024ELj32ELj2048ELj137ELj32EiidEEvT5_PKS1_S3_NS_24const_host_device_scalarIT6_EEPKT4_S3_PKS5_S9_S3_SB_S6_S9_S3_SB_S9_S3_PS5_21rocsparse_index_base_SD_SD_SD_bbb,@function
_ZN9rocsparseL41csrgemm_numeric_fill_block_per_row_kernelILj1024ELj32ELj2048ELj137ELj32EiidEEvT5_PKS1_S3_NS_24const_host_device_scalarIT6_EEPKT4_S3_PKS5_S9_S3_SB_S6_S9_S3_SB_S9_S3_PS5_21rocsparse_index_base_SD_SD_SD_bbb: ; @_ZN9rocsparseL41csrgemm_numeric_fill_block_per_row_kernelILj1024ELj32ELj2048ELj137ELj32EiidEEvT5_PKS1_S3_NS_24const_host_device_scalarIT6_EEPKT4_S3_PKS5_S9_S3_SB_S6_S9_S3_SB_S9_S3_PS5_21rocsparse_index_base_SD_SD_SD_bbb
; %bb.0:
	s_clause 0x3
	s_load_b32 s14, s[0:1], 0x98
	s_load_b64 s[2:3], s[0:1], 0x18
	s_load_b128 s[36:39], s[0:1], 0x88
	s_load_b64 s[12:13], s[0:1], 0x50
	s_wait_kmcnt 0x0
	s_bitcmp1_b32 s14, 0
	s_cselect_b32 s25, -1, 0
	s_bitcmp1_b32 s14, 16
	s_cselect_b32 s15, -1, 0
	s_xor_b32 s4, s25, -1
	s_delay_alu instid0(SALU_CYCLE_1)
	s_or_b32 s6, s15, s4
	s_and_b32 s4, s25, exec_lo
	s_cselect_b32 s5, s3, 0
	s_cselect_b32 s4, s2, 0
	s_and_b32 vcc_lo, exec_lo, s6
	v_mov_b64_e32 v[4:5], s[4:5]
	s_cbranch_vccnz .LBB28_2
; %bb.1:
	v_mov_b32_e32 v1, 0
	flat_load_b64 v[4:5], v1, s[2:3]
.LBB28_2:
	s_clause 0x4
	s_load_b64 s[34:35], s[0:1], 0x80
	s_load_b128 s[4:7], s[0:1], 0x60
	s_load_b128 s[8:11], s[0:1], 0x40
	s_load_b128 s[16:19], s[0:1], 0x8
	s_load_b64 s[2:3], s[0:1], 0x28
	s_bitcmp1_b32 s14, 8
	s_cselect_b32 s24, -1, 0
	s_delay_alu instid0(SALU_CYCLE_1) | instskip(NEXT) | instid1(SALU_CYCLE_1)
	s_xor_b32 s14, s24, -1
	s_or_b32 s20, s15, s14
	s_and_b32 s14, s24, exec_lo
	s_cselect_b32 s15, s13, 0
	s_cselect_b32 s14, s12, 0
	s_and_b32 vcc_lo, exec_lo, s20
	v_mov_b64_e32 v[2:3], s[14:15]
	s_cbranch_vccnz .LBB28_4
; %bb.3:
	v_mov_b32_e32 v1, 0
	flat_load_b64 v[2:3], v1, s[12:13]
.LBB28_4:
	s_clause 0x4
	s_load_b32 s33, s[0:1], 0x0
	s_load_b64 s[22:23], s[0:1], 0x20
	s_load_b64 s[40:41], s[0:1], 0x70
	;; [unrolled: 1-line block ×3, first 2 shown]
	s_load_b128 s[12:15], s[0:1], 0x30
	v_lshl_add_u32 v1, v0, 2, 0
	v_lshlrev_b32_e32 v6, 3, v0
	v_or_b32_e32 v12, 0xfffffc00, v0
	s_wait_xcnt 0x0
	s_mov_b32 s0, 0
	v_mov_b32_e32 v8, v1
	v_add3_u32 v13, v6, 0, 0x2000
	v_mov_b64_e32 v[6:7], 0
	s_delay_alu instid0(VALU_DEP_2)
	v_dual_mov_b32 v9, v12 :: v_dual_mov_b32 v11, v13
	s_wait_kmcnt 0x0
	v_mov_b32_e32 v10, s33
.LBB28_5:                               ; =>This Inner Loop Header: Depth=1
	s_delay_alu instid0(VALU_DEP_2)
	v_add_co_u32 v9, s1, 0x400, v9
	s_xor_b32 s1, s1, -1
	ds_store_b32 v8, v10
	ds_store_b64 v11, v[6:7]
	v_add_nc_u32_e32 v11, 0x2000, v11
	v_add_nc_u32_e32 v8, 0x1000, v8
	s_and_b32 s1, exec_lo, s1
	s_delay_alu instid0(SALU_CYCLE_1) | instskip(NEXT) | instid1(SALU_CYCLE_1)
	s_or_b32 s0, s1, s0
	s_and_not1_b32 exec_lo, exec_lo, s0
	s_cbranch_execnz .LBB28_5
; %bb.6:
	s_or_b32 exec_lo, exec_lo, s0
	s_wait_loadcnt_dscnt 0x0
	s_barrier_signal -1
	s_barrier_wait -1
	s_load_b32 s0, s[16:17], 0x0
	s_bfe_u32 s1, ttmp6, 0x4000c
	s_wait_xcnt 0x0
	s_and_b32 s16, ttmp6, 15
	s_add_co_i32 s1, s1, 1
	s_getreg_b32 s17, hwreg(HW_REG_IB_STS2, 6, 4)
	s_mul_i32 s1, ttmp9, s1
	v_lshrrev_b32_e32 v14, 5, v0
	s_add_co_i32 s16, s16, s1
	s_cmp_eq_u32 s17, 0
	s_cselect_b32 s1, ttmp9, s16
	s_and_b32 vcc_lo, exec_lo, s25
	s_wait_kmcnt 0x0
	s_add_co_i32 s0, s0, s1
	s_load_b32 s42, s[18:19], s0 offset:0x0 scale_offset
	s_cbranch_vccz .LBB28_24
; %bb.7:
	s_wait_kmcnt 0x0
	s_ashr_i32 s43, s42, 31
	v_subrev_nc_u32_e32 v6, s36, v14
	s_lshl_b64 s[0:1], s[42:43], 2
	s_delay_alu instid0(SALU_CYCLE_1)
	s_add_nc_u64 s[0:1], s[22:23], s[0:1]
	s_load_b64 s[16:17], s[0:1], 0x0
	s_wait_xcnt 0x0
	s_mov_b32 s1, exec_lo
	s_wait_kmcnt 0x0
	v_add_nc_u32_e32 v6, s16, v6
	s_sub_co_i32 s0, s17, s36
	s_delay_alu instid0(VALU_DEP_1) | instid1(SALU_CYCLE_1)
	v_cmpx_gt_i32_e64 s0, v6
	s_cbranch_execz .LBB28_23
; %bb.8:
	v_and_b32_e32 v7, 31, v0
	s_mov_b32 s16, 0
	s_delay_alu instid0(VALU_DEP_1)
	v_subrev_nc_u32_e32 v15, s37, v7
	s_branch .LBB28_10
.LBB28_9:                               ;   in Loop: Header=BB28_10 Depth=1
	s_or_b32 exec_lo, exec_lo, s17
	v_add_nc_u32_e32 v6, 32, v6
	s_delay_alu instid0(VALU_DEP_1) | instskip(SKIP_1) | instid1(SALU_CYCLE_1)
	v_cmp_le_i32_e32 vcc_lo, s0, v6
	s_or_b32 s16, vcc_lo, s16
	s_and_not1_b32 exec_lo, exec_lo, s16
	s_cbranch_execz .LBB28_23
.LBB28_10:                              ; =>This Loop Header: Depth=1
                                        ;     Child Loop BB28_14 Depth 2
                                        ;       Child Loop BB28_17 Depth 3
	global_load_b32 v7, v6, s[2:3] scale_offset
	s_mov_b32 s17, exec_lo
	s_wait_loadcnt 0x0
	v_subrev_nc_u32_e32 v8, s36, v7
	s_delay_alu instid0(VALU_DEP_1) | instskip(NEXT) | instid1(VALU_DEP_1)
	v_ashrrev_i32_e32 v9, 31, v8
	v_lshl_add_u64 v[8:9], v[8:9], 2, s[14:15]
	global_load_b64 v[8:9], v[8:9], off
	s_wait_loadcnt 0x0
	v_subrev_nc_u32_e32 v16, s37, v9
	v_add_nc_u32_e32 v17, v8, v15
	s_wait_xcnt 0x0
	s_delay_alu instid0(VALU_DEP_1)
	v_cmpx_lt_i32_e64 v17, v16
	s_cbranch_execz .LBB28_9
; %bb.11:                               ;   in Loop: Header=BB28_10 Depth=1
	v_ashrrev_i32_e32 v7, 31, v6
	s_mov_b32 s18, 0
	s_delay_alu instid0(VALU_DEP_1)
	v_lshl_add_u64 v[8:9], v[6:7], 3, s[12:13]
	global_load_b64 v[8:9], v[8:9], off
	s_wait_loadcnt 0x0
	s_wait_xcnt 0x0
	v_mul_f64_e32 v[8:9], v[4:5], v[8:9]
	s_branch .LBB28_14
.LBB28_12:                              ;   in Loop: Header=BB28_14 Depth=2
	s_or_b32 exec_lo, exec_lo, s22
.LBB28_13:                              ;   in Loop: Header=BB28_14 Depth=2
	s_delay_alu instid0(SALU_CYCLE_1) | instskip(SKIP_3) | instid1(VALU_DEP_2)
	s_or_b32 exec_lo, exec_lo, s19
	s_wait_loadcnt 0x0
	v_dual_mul_f64 v[10:11], v[8:9], v[10:11] :: v_dual_add_nc_u32 v17, 32, v17
	v_lshl_add_u32 v7, v7, 3, 0
	v_cmp_ge_i32_e32 vcc_lo, v17, v16
	s_or_b32 s18, vcc_lo, s18
	ds_add_f64 v7, v[10:11] offset:8192
	s_and_not1_b32 exec_lo, exec_lo, s18
	s_cbranch_execz .LBB28_9
.LBB28_14:                              ;   Parent Loop BB28_10 Depth=1
                                        ; =>  This Loop Header: Depth=2
                                        ;       Child Loop BB28_17 Depth 3
	s_clause 0x1
	global_load_b32 v7, v17, s[8:9] scale_offset
	global_load_b64 v[10:11], v17, s[10:11] scale_offset
	s_mov_b32 s19, exec_lo
	s_wait_loadcnt 0x1
	v_subrev_nc_u32_e32 v18, s37, v7
	s_delay_alu instid0(VALU_DEP_1) | instskip(NEXT) | instid1(VALU_DEP_1)
	v_mul_lo_u32 v7, 0x89, v18
	v_and_b32_e32 v7, 0x7ff, v7
	s_delay_alu instid0(VALU_DEP_1)
	v_lshl_add_u32 v19, v7, 2, 0
	ds_load_b32 v20, v19
	s_wait_dscnt 0x0
	s_wait_xcnt 0x0
	v_cmpx_ne_u32_e64 v20, v18
	s_cbranch_execz .LBB28_13
; %bb.15:                               ;   in Loop: Header=BB28_14 Depth=2
	s_mov_b32 s22, 0
	s_branch .LBB28_17
.LBB28_16:                              ;   in Loop: Header=BB28_17 Depth=3
	s_or_b32 exec_lo, exec_lo, s26
	s_delay_alu instid0(SALU_CYCLE_1) | instskip(NEXT) | instid1(SALU_CYCLE_1)
	s_and_b32 s23, exec_lo, s25
	s_or_b32 s22, s23, s22
	s_delay_alu instid0(SALU_CYCLE_1)
	s_and_not1_b32 exec_lo, exec_lo, s22
	s_cbranch_execz .LBB28_12
.LBB28_17:                              ;   Parent Loop BB28_10 Depth=1
                                        ;     Parent Loop BB28_14 Depth=2
                                        ; =>    This Inner Loop Header: Depth=3
	s_mov_b32 s23, 0
	s_mov_b32 s25, exec_lo
	v_cmpx_ne_u32_e64 s33, v20
	s_xor_b32 s25, exec_lo, s25
	s_cbranch_execz .LBB28_19
; %bb.18:                               ;   in Loop: Header=BB28_17 Depth=3
	v_add_nc_u32_e32 v7, 1, v7
	s_mov_b32 s23, exec_lo
                                        ; implicit-def: $vgpr19
	s_delay_alu instid0(VALU_DEP_1)
	v_and_b32_e32 v7, 0x7ff, v7
	s_and_not1_saveexec_b32 s25, s25
	s_cbranch_execz .LBB28_21
	s_branch .LBB28_20
.LBB28_19:                              ;   in Loop: Header=BB28_17 Depth=3
	s_and_not1_saveexec_b32 s25, s25
	s_cbranch_execz .LBB28_21
.LBB28_20:                              ;   in Loop: Header=BB28_17 Depth=3
	v_mov_b32_e32 v20, s33
	s_and_not1_b32 s23, s23, exec_lo
	ds_cmpstore_rtn_b32 v19, v19, v18, v20
	s_wait_dscnt 0x0
	v_cmp_ne_u32_e32 vcc_lo, s33, v19
	s_and_b32 s26, vcc_lo, exec_lo
	s_delay_alu instid0(SALU_CYCLE_1)
	s_or_b32 s23, s23, s26
.LBB28_21:                              ;   in Loop: Header=BB28_17 Depth=3
	s_or_b32 exec_lo, exec_lo, s25
	s_mov_b32 s25, -1
                                        ; implicit-def: $vgpr19
                                        ; implicit-def: $vgpr20
	s_and_saveexec_b32 s26, s23
	s_cbranch_execz .LBB28_16
; %bb.22:                               ;   in Loop: Header=BB28_17 Depth=3
	v_lshl_add_u32 v19, v7, 2, 0
	ds_load_b32 v20, v19
	s_wait_dscnt 0x0
	v_cmp_eq_u32_e32 vcc_lo, v20, v18
	s_or_not1_b32 s25, vcc_lo, exec_lo
	s_branch .LBB28_16
.LBB28_23:
	s_or_b32 exec_lo, exec_lo, s1
.LBB28_24:
	s_delay_alu instid0(SALU_CYCLE_1)
	s_and_not1_b32 vcc_lo, exec_lo, s24
	s_cbranch_vccnz .LBB28_39
; %bb.25:
	s_wait_kmcnt 0x0
	s_ashr_i32 s43, s42, 31
	v_subrev_nc_u32_e32 v4, s39, v0
	s_lshl_b64 s[0:1], s[42:43], 2
	s_delay_alu instid0(SALU_CYCLE_1)
	s_add_nc_u64 s[0:1], s[20:21], s[0:1]
	s_load_b64 s[2:3], s[0:1], 0x0
	s_wait_xcnt 0x0
	s_mov_b32 s1, exec_lo
	s_wait_kmcnt 0x0
	v_add_nc_u32_e32 v6, s2, v4
	s_sub_co_i32 s0, s3, s39
	s_delay_alu instid0(VALU_DEP_1) | instid1(SALU_CYCLE_1)
	v_cmpx_gt_i32_e64 s0, v6
	s_cbranch_execz .LBB28_38
; %bb.26:
	s_mov_b32 s2, 0
	s_branch .LBB28_29
.LBB28_27:                              ;   in Loop: Header=BB28_29 Depth=1
	s_or_b32 exec_lo, exec_lo, s8
.LBB28_28:                              ;   in Loop: Header=BB28_29 Depth=1
	s_delay_alu instid0(SALU_CYCLE_1) | instskip(SKIP_4) | instid1(VALU_DEP_1)
	s_or_b32 exec_lo, exec_lo, s3
	s_wait_loadcnt 0x0
	v_mul_f64_e32 v[4:5], v[2:3], v[4:5]
	v_lshl_add_u32 v7, v7, 3, 0
	v_add_nc_u32_e32 v6, 0x400, v6
	v_cmp_le_i32_e32 vcc_lo, s0, v6
	s_or_b32 s2, vcc_lo, s2
	ds_add_f64 v7, v[4:5] offset:8192
	s_and_not1_b32 exec_lo, exec_lo, s2
	s_cbranch_execz .LBB28_38
.LBB28_29:                              ; =>This Loop Header: Depth=1
                                        ;     Child Loop BB28_32 Depth 2
	s_clause 0x1
	global_load_b32 v7, v6, s[4:5] scale_offset
	global_load_b64 v[4:5], v6, s[6:7] scale_offset
	s_mov_b32 s3, exec_lo
	s_wait_loadcnt 0x1
	v_subrev_nc_u32_e32 v8, s39, v7
	s_delay_alu instid0(VALU_DEP_1) | instskip(NEXT) | instid1(VALU_DEP_1)
	v_mul_lo_u32 v7, 0x89, v8
	v_and_b32_e32 v7, 0x7ff, v7
	s_delay_alu instid0(VALU_DEP_1)
	v_lshl_add_u32 v9, v7, 2, 0
	ds_load_b32 v10, v9
	s_wait_dscnt 0x0
	s_wait_xcnt 0x0
	v_cmpx_ne_u32_e64 v10, v8
	s_cbranch_execz .LBB28_28
; %bb.30:                               ;   in Loop: Header=BB28_29 Depth=1
	s_mov_b32 s8, 0
	s_branch .LBB28_32
.LBB28_31:                              ;   in Loop: Header=BB28_32 Depth=2
	s_or_b32 exec_lo, exec_lo, s11
	s_delay_alu instid0(SALU_CYCLE_1) | instskip(NEXT) | instid1(SALU_CYCLE_1)
	s_and_b32 s9, exec_lo, s10
	s_or_b32 s8, s9, s8
	s_delay_alu instid0(SALU_CYCLE_1)
	s_and_not1_b32 exec_lo, exec_lo, s8
	s_cbranch_execz .LBB28_27
.LBB28_32:                              ;   Parent Loop BB28_29 Depth=1
                                        ; =>  This Inner Loop Header: Depth=2
	s_mov_b32 s9, 0
	s_mov_b32 s10, exec_lo
	v_cmpx_ne_u32_e64 s33, v10
	s_xor_b32 s10, exec_lo, s10
	s_cbranch_execz .LBB28_34
; %bb.33:                               ;   in Loop: Header=BB28_32 Depth=2
	v_add_nc_u32_e32 v7, 1, v7
	s_mov_b32 s9, exec_lo
                                        ; implicit-def: $vgpr9
	s_delay_alu instid0(VALU_DEP_1)
	v_and_b32_e32 v7, 0x7ff, v7
	s_and_not1_saveexec_b32 s10, s10
	s_cbranch_execz .LBB28_36
	s_branch .LBB28_35
.LBB28_34:                              ;   in Loop: Header=BB28_32 Depth=2
	s_and_not1_saveexec_b32 s10, s10
	s_cbranch_execz .LBB28_36
.LBB28_35:                              ;   in Loop: Header=BB28_32 Depth=2
	v_mov_b32_e32 v10, s33
	s_and_not1_b32 s9, s9, exec_lo
	ds_cmpstore_rtn_b32 v9, v9, v8, v10
	s_wait_dscnt 0x0
	v_cmp_ne_u32_e32 vcc_lo, s33, v9
	s_and_b32 s11, vcc_lo, exec_lo
	s_delay_alu instid0(SALU_CYCLE_1)
	s_or_b32 s9, s9, s11
.LBB28_36:                              ;   in Loop: Header=BB28_32 Depth=2
	s_or_b32 exec_lo, exec_lo, s10
	s_mov_b32 s10, -1
                                        ; implicit-def: $vgpr9
                                        ; implicit-def: $vgpr10
	s_and_saveexec_b32 s11, s9
	s_cbranch_execz .LBB28_31
; %bb.37:                               ;   in Loop: Header=BB28_32 Depth=2
	v_lshl_add_u32 v9, v7, 2, 0
	ds_load_b32 v10, v9
	s_wait_dscnt 0x0
	v_cmp_eq_u32_e32 vcc_lo, v10, v8
	s_or_not1_b32 s10, vcc_lo, exec_lo
	s_branch .LBB28_31
.LBB28_38:
	s_or_b32 exec_lo, exec_lo, s1
.LBB28_39:
	v_mbcnt_lo_u32_b32 v2, -1, 0
	v_mov_b32_e32 v3, 0
	v_lshl_add_u32 v6, v14, 2, 0
	s_wait_xcnt 0x0
	v_cmp_lt_u32_e64 s0, 31, v0
	v_cmp_lt_u32_e64 s1, 63, v0
	v_xor_b32_e32 v2, 31, v2
	v_cmp_lt_u32_e64 s2, 0x5f, v0
	v_cmp_lt_u32_e64 s3, 0x7f, v0
	;; [unrolled: 1-line block ×4, first 2 shown]
	v_lshrrev_b32_e64 v2, v2, -1
	v_cmp_lt_u32_e64 s6, 0xdf, v0
	v_cmp_lt_u32_e64 s7, 0xff, v0
	;; [unrolled: 1-line block ×25, first 2 shown]
	v_mov_b32_e32 v7, 0
	s_mov_b32 s36, 0
	s_wait_dscnt 0x0
	v_cmp_eq_u32_e32 vcc_lo, 0x3ff, v0
	s_barrier_signal -1
	s_barrier_wait -1
	s_branch .LBB28_41
.LBB28_40:                              ;   in Loop: Header=BB28_41 Depth=1
	s_or_b32 exec_lo, exec_lo, s31
	s_wait_dscnt 0x0
	s_barrier_signal -1
	s_barrier_wait -1
	ds_load_b32 v4, v3 offset:24700
	v_add_co_u32 v12, s31, 0x400, v12
	s_xor_b32 s31, s31, -1
	v_add_nc_u32_e32 v13, 0x2000, v13
	v_add_nc_u32_e32 v1, 0x1000, v1
	s_and_b32 s31, exec_lo, s31
	s_delay_alu instid0(SALU_CYCLE_1)
	s_or_b32 s36, s31, s36
	s_wait_dscnt 0x0
	v_add_nc_u32_e32 v7, v4, v7
	s_and_not1_b32 exec_lo, exec_lo, s36
	s_cbranch_execz .LBB28_107
.LBB28_41:                              ; =>This Inner Loop Header: Depth=1
	ds_load_b32 v8, v1
	ds_load_b64 v[4:5], v13
	s_wait_dscnt 0x0
	s_barrier_signal -1
	s_barrier_wait -1
	v_cmp_gt_i32_e64 s31, s33, v8
	s_bcnt1_i32_b32 s37, s31
	s_delay_alu instid0(SALU_CYCLE_1) | instskip(NEXT) | instid1(VALU_DEP_1)
	v_dual_mov_b32 v10, s37 :: v_dual_bitop2_b32 v9, s31, v2 bitop3:0x40
	v_bcnt_u32_b32 v9, v9, 0
	ds_store_b32 v6, v10 offset:24576
	s_wait_dscnt 0x0
	s_barrier_signal -1
	s_barrier_wait -1
	s_and_saveexec_b32 s37, s0
	s_cbranch_execz .LBB28_74
; %bb.42:                               ;   in Loop: Header=BB28_41 Depth=1
	ds_load_b32 v10, v3 offset:24576
	s_wait_dscnt 0x0
	v_add_nc_u32_e32 v9, v10, v9
	s_or_b32 exec_lo, exec_lo, s37
	s_and_saveexec_b32 s37, s1
	s_cbranch_execnz .LBB28_75
.LBB28_43:                              ;   in Loop: Header=BB28_41 Depth=1
	s_or_b32 exec_lo, exec_lo, s37
	s_and_saveexec_b32 s37, s2
	s_cbranch_execz .LBB28_76
.LBB28_44:                              ;   in Loop: Header=BB28_41 Depth=1
	ds_load_b32 v10, v3 offset:24584
	s_wait_dscnt 0x0
	v_add_nc_u32_e32 v9, v10, v9
	s_or_b32 exec_lo, exec_lo, s37
	s_and_saveexec_b32 s37, s3
	s_cbranch_execnz .LBB28_77
.LBB28_45:                              ;   in Loop: Header=BB28_41 Depth=1
	s_or_b32 exec_lo, exec_lo, s37
	s_and_saveexec_b32 s37, s4
	s_cbranch_execz .LBB28_78
.LBB28_46:                              ;   in Loop: Header=BB28_41 Depth=1
	ds_load_b32 v10, v3 offset:24592
	s_wait_dscnt 0x0
	v_add_nc_u32_e32 v9, v10, v9
	s_or_b32 exec_lo, exec_lo, s37
	s_and_saveexec_b32 s37, s5
	s_cbranch_execnz .LBB28_79
.LBB28_47:                              ;   in Loop: Header=BB28_41 Depth=1
	s_or_b32 exec_lo, exec_lo, s37
	s_and_saveexec_b32 s37, s6
	s_cbranch_execz .LBB28_80
.LBB28_48:                              ;   in Loop: Header=BB28_41 Depth=1
	ds_load_b32 v10, v3 offset:24600
	s_wait_dscnt 0x0
	v_add_nc_u32_e32 v9, v10, v9
	s_or_b32 exec_lo, exec_lo, s37
	s_and_saveexec_b32 s37, s7
	s_cbranch_execnz .LBB28_81
.LBB28_49:                              ;   in Loop: Header=BB28_41 Depth=1
	s_or_b32 exec_lo, exec_lo, s37
	s_and_saveexec_b32 s37, s8
	s_cbranch_execz .LBB28_82
.LBB28_50:                              ;   in Loop: Header=BB28_41 Depth=1
	ds_load_b32 v10, v3 offset:24608
	s_wait_dscnt 0x0
	v_add_nc_u32_e32 v9, v10, v9
	s_or_b32 exec_lo, exec_lo, s37
	s_and_saveexec_b32 s37, s9
	s_cbranch_execnz .LBB28_83
.LBB28_51:                              ;   in Loop: Header=BB28_41 Depth=1
	s_or_b32 exec_lo, exec_lo, s37
	s_and_saveexec_b32 s37, s10
	s_cbranch_execz .LBB28_84
.LBB28_52:                              ;   in Loop: Header=BB28_41 Depth=1
	ds_load_b32 v10, v3 offset:24616
	s_wait_dscnt 0x0
	v_add_nc_u32_e32 v9, v10, v9
	s_or_b32 exec_lo, exec_lo, s37
	s_and_saveexec_b32 s37, s11
	s_cbranch_execnz .LBB28_85
.LBB28_53:                              ;   in Loop: Header=BB28_41 Depth=1
	s_or_b32 exec_lo, exec_lo, s37
	s_and_saveexec_b32 s37, s12
	s_cbranch_execz .LBB28_86
.LBB28_54:                              ;   in Loop: Header=BB28_41 Depth=1
	ds_load_b32 v10, v3 offset:24624
	s_wait_dscnt 0x0
	v_add_nc_u32_e32 v9, v10, v9
	s_or_b32 exec_lo, exec_lo, s37
	s_and_saveexec_b32 s37, s13
	s_cbranch_execnz .LBB28_87
.LBB28_55:                              ;   in Loop: Header=BB28_41 Depth=1
	s_or_b32 exec_lo, exec_lo, s37
	s_and_saveexec_b32 s37, s14
	s_cbranch_execz .LBB28_88
.LBB28_56:                              ;   in Loop: Header=BB28_41 Depth=1
	ds_load_b32 v10, v3 offset:24632
	s_wait_dscnt 0x0
	v_add_nc_u32_e32 v9, v10, v9
	s_or_b32 exec_lo, exec_lo, s37
	s_and_saveexec_b32 s37, s15
	s_cbranch_execnz .LBB28_89
.LBB28_57:                              ;   in Loop: Header=BB28_41 Depth=1
	s_or_b32 exec_lo, exec_lo, s37
	s_and_saveexec_b32 s37, s16
	s_cbranch_execz .LBB28_90
.LBB28_58:                              ;   in Loop: Header=BB28_41 Depth=1
	ds_load_b32 v10, v3 offset:24640
	s_wait_dscnt 0x0
	v_add_nc_u32_e32 v9, v10, v9
	s_or_b32 exec_lo, exec_lo, s37
	s_and_saveexec_b32 s37, s17
	s_cbranch_execnz .LBB28_91
.LBB28_59:                              ;   in Loop: Header=BB28_41 Depth=1
	s_or_b32 exec_lo, exec_lo, s37
	s_and_saveexec_b32 s37, s18
	s_cbranch_execz .LBB28_92
.LBB28_60:                              ;   in Loop: Header=BB28_41 Depth=1
	ds_load_b32 v10, v3 offset:24648
	s_wait_dscnt 0x0
	v_add_nc_u32_e32 v9, v10, v9
	s_or_b32 exec_lo, exec_lo, s37
	s_and_saveexec_b32 s37, s19
	s_cbranch_execnz .LBB28_93
.LBB28_61:                              ;   in Loop: Header=BB28_41 Depth=1
	s_or_b32 exec_lo, exec_lo, s37
	s_and_saveexec_b32 s37, s20
	s_cbranch_execz .LBB28_94
.LBB28_62:                              ;   in Loop: Header=BB28_41 Depth=1
	ds_load_b32 v10, v3 offset:24656
	s_wait_dscnt 0x0
	v_add_nc_u32_e32 v9, v10, v9
	s_or_b32 exec_lo, exec_lo, s37
	s_and_saveexec_b32 s37, s21
	s_cbranch_execnz .LBB28_95
.LBB28_63:                              ;   in Loop: Header=BB28_41 Depth=1
	s_or_b32 exec_lo, exec_lo, s37
	s_and_saveexec_b32 s37, s22
	s_cbranch_execz .LBB28_96
.LBB28_64:                              ;   in Loop: Header=BB28_41 Depth=1
	ds_load_b32 v10, v3 offset:24664
	s_wait_dscnt 0x0
	v_add_nc_u32_e32 v9, v10, v9
	s_or_b32 exec_lo, exec_lo, s37
	s_and_saveexec_b32 s37, s23
	s_cbranch_execnz .LBB28_97
.LBB28_65:                              ;   in Loop: Header=BB28_41 Depth=1
	s_or_b32 exec_lo, exec_lo, s37
	s_and_saveexec_b32 s37, s24
	s_cbranch_execz .LBB28_98
.LBB28_66:                              ;   in Loop: Header=BB28_41 Depth=1
	ds_load_b32 v10, v3 offset:24672
	s_wait_dscnt 0x0
	v_add_nc_u32_e32 v9, v10, v9
	s_or_b32 exec_lo, exec_lo, s37
	s_and_saveexec_b32 s37, s25
	s_cbranch_execnz .LBB28_99
.LBB28_67:                              ;   in Loop: Header=BB28_41 Depth=1
	s_or_b32 exec_lo, exec_lo, s37
	s_and_saveexec_b32 s37, s26
	s_cbranch_execz .LBB28_100
.LBB28_68:                              ;   in Loop: Header=BB28_41 Depth=1
	ds_load_b32 v10, v3 offset:24680
	s_wait_dscnt 0x0
	v_add_nc_u32_e32 v9, v10, v9
	s_or_b32 exec_lo, exec_lo, s37
	s_and_saveexec_b32 s37, s27
	s_cbranch_execnz .LBB28_101
.LBB28_69:                              ;   in Loop: Header=BB28_41 Depth=1
	s_or_b32 exec_lo, exec_lo, s37
	s_and_saveexec_b32 s37, s28
	s_cbranch_execz .LBB28_102
.LBB28_70:                              ;   in Loop: Header=BB28_41 Depth=1
	ds_load_b32 v10, v3 offset:24688
	s_wait_dscnt 0x0
	v_add_nc_u32_e32 v9, v10, v9
	s_or_b32 exec_lo, exec_lo, s37
	s_and_saveexec_b32 s37, s29
	s_cbranch_execnz .LBB28_103
.LBB28_71:                              ;   in Loop: Header=BB28_41 Depth=1
	s_or_b32 exec_lo, exec_lo, s37
	s_and_saveexec_b32 s37, s30
	s_cbranch_execz .LBB28_104
.LBB28_72:                              ;   in Loop: Header=BB28_41 Depth=1
	ds_load_b32 v10, v3 offset:24696
	s_wait_dscnt 0x0
	v_add_nc_u32_e32 v9, v10, v9
	s_or_b32 exec_lo, exec_lo, s37
	s_and_saveexec_b32 s37, s31
	s_cbranch_execnz .LBB28_105
.LBB28_73:                              ;   in Loop: Header=BB28_41 Depth=1
	s_or_b32 exec_lo, exec_lo, s37
	s_and_saveexec_b32 s31, vcc_lo
	s_cbranch_execz .LBB28_40
	s_branch .LBB28_106
.LBB28_74:                              ;   in Loop: Header=BB28_41 Depth=1
	s_or_b32 exec_lo, exec_lo, s37
	s_and_saveexec_b32 s37, s1
	s_cbranch_execz .LBB28_43
.LBB28_75:                              ;   in Loop: Header=BB28_41 Depth=1
	ds_load_b32 v10, v3 offset:24580
	s_wait_dscnt 0x0
	v_add_nc_u32_e32 v9, v10, v9
	s_or_b32 exec_lo, exec_lo, s37
	s_and_saveexec_b32 s37, s2
	s_cbranch_execnz .LBB28_44
.LBB28_76:                              ;   in Loop: Header=BB28_41 Depth=1
	s_or_b32 exec_lo, exec_lo, s37
	s_and_saveexec_b32 s37, s3
	s_cbranch_execz .LBB28_45
.LBB28_77:                              ;   in Loop: Header=BB28_41 Depth=1
	ds_load_b32 v10, v3 offset:24588
	s_wait_dscnt 0x0
	v_add_nc_u32_e32 v9, v10, v9
	s_or_b32 exec_lo, exec_lo, s37
	s_and_saveexec_b32 s37, s4
	s_cbranch_execnz .LBB28_46
.LBB28_78:                              ;   in Loop: Header=BB28_41 Depth=1
	s_or_b32 exec_lo, exec_lo, s37
	s_and_saveexec_b32 s37, s5
	s_cbranch_execz .LBB28_47
.LBB28_79:                              ;   in Loop: Header=BB28_41 Depth=1
	ds_load_b32 v10, v3 offset:24596
	s_wait_dscnt 0x0
	v_add_nc_u32_e32 v9, v10, v9
	s_or_b32 exec_lo, exec_lo, s37
	s_and_saveexec_b32 s37, s6
	s_cbranch_execnz .LBB28_48
.LBB28_80:                              ;   in Loop: Header=BB28_41 Depth=1
	s_or_b32 exec_lo, exec_lo, s37
	s_and_saveexec_b32 s37, s7
	s_cbranch_execz .LBB28_49
.LBB28_81:                              ;   in Loop: Header=BB28_41 Depth=1
	ds_load_b32 v10, v3 offset:24604
	s_wait_dscnt 0x0
	v_add_nc_u32_e32 v9, v10, v9
	s_or_b32 exec_lo, exec_lo, s37
	s_and_saveexec_b32 s37, s8
	s_cbranch_execnz .LBB28_50
.LBB28_82:                              ;   in Loop: Header=BB28_41 Depth=1
	s_or_b32 exec_lo, exec_lo, s37
	s_and_saveexec_b32 s37, s9
	s_cbranch_execz .LBB28_51
.LBB28_83:                              ;   in Loop: Header=BB28_41 Depth=1
	ds_load_b32 v10, v3 offset:24612
	s_wait_dscnt 0x0
	v_add_nc_u32_e32 v9, v10, v9
	s_or_b32 exec_lo, exec_lo, s37
	s_and_saveexec_b32 s37, s10
	s_cbranch_execnz .LBB28_52
.LBB28_84:                              ;   in Loop: Header=BB28_41 Depth=1
	s_or_b32 exec_lo, exec_lo, s37
	s_and_saveexec_b32 s37, s11
	s_cbranch_execz .LBB28_53
.LBB28_85:                              ;   in Loop: Header=BB28_41 Depth=1
	ds_load_b32 v10, v3 offset:24620
	s_wait_dscnt 0x0
	v_add_nc_u32_e32 v9, v10, v9
	s_or_b32 exec_lo, exec_lo, s37
	s_and_saveexec_b32 s37, s12
	s_cbranch_execnz .LBB28_54
.LBB28_86:                              ;   in Loop: Header=BB28_41 Depth=1
	s_or_b32 exec_lo, exec_lo, s37
	s_and_saveexec_b32 s37, s13
	s_cbranch_execz .LBB28_55
.LBB28_87:                              ;   in Loop: Header=BB28_41 Depth=1
	ds_load_b32 v10, v3 offset:24628
	s_wait_dscnt 0x0
	v_add_nc_u32_e32 v9, v10, v9
	s_or_b32 exec_lo, exec_lo, s37
	s_and_saveexec_b32 s37, s14
	s_cbranch_execnz .LBB28_56
.LBB28_88:                              ;   in Loop: Header=BB28_41 Depth=1
	s_or_b32 exec_lo, exec_lo, s37
	s_and_saveexec_b32 s37, s15
	s_cbranch_execz .LBB28_57
.LBB28_89:                              ;   in Loop: Header=BB28_41 Depth=1
	ds_load_b32 v10, v3 offset:24636
	s_wait_dscnt 0x0
	v_add_nc_u32_e32 v9, v10, v9
	s_or_b32 exec_lo, exec_lo, s37
	s_and_saveexec_b32 s37, s16
	s_cbranch_execnz .LBB28_58
.LBB28_90:                              ;   in Loop: Header=BB28_41 Depth=1
	s_or_b32 exec_lo, exec_lo, s37
	s_and_saveexec_b32 s37, s17
	s_cbranch_execz .LBB28_59
.LBB28_91:                              ;   in Loop: Header=BB28_41 Depth=1
	ds_load_b32 v10, v3 offset:24644
	s_wait_dscnt 0x0
	v_add_nc_u32_e32 v9, v10, v9
	s_or_b32 exec_lo, exec_lo, s37
	s_and_saveexec_b32 s37, s18
	s_cbranch_execnz .LBB28_60
.LBB28_92:                              ;   in Loop: Header=BB28_41 Depth=1
	s_or_b32 exec_lo, exec_lo, s37
	s_and_saveexec_b32 s37, s19
	s_cbranch_execz .LBB28_61
.LBB28_93:                              ;   in Loop: Header=BB28_41 Depth=1
	ds_load_b32 v10, v3 offset:24652
	s_wait_dscnt 0x0
	v_add_nc_u32_e32 v9, v10, v9
	s_or_b32 exec_lo, exec_lo, s37
	s_and_saveexec_b32 s37, s20
	s_cbranch_execnz .LBB28_62
.LBB28_94:                              ;   in Loop: Header=BB28_41 Depth=1
	s_or_b32 exec_lo, exec_lo, s37
	s_and_saveexec_b32 s37, s21
	s_cbranch_execz .LBB28_63
.LBB28_95:                              ;   in Loop: Header=BB28_41 Depth=1
	ds_load_b32 v10, v3 offset:24660
	s_wait_dscnt 0x0
	v_add_nc_u32_e32 v9, v10, v9
	s_or_b32 exec_lo, exec_lo, s37
	s_and_saveexec_b32 s37, s22
	s_cbranch_execnz .LBB28_64
.LBB28_96:                              ;   in Loop: Header=BB28_41 Depth=1
	s_or_b32 exec_lo, exec_lo, s37
	s_and_saveexec_b32 s37, s23
	s_cbranch_execz .LBB28_65
.LBB28_97:                              ;   in Loop: Header=BB28_41 Depth=1
	ds_load_b32 v10, v3 offset:24668
	s_wait_dscnt 0x0
	v_add_nc_u32_e32 v9, v10, v9
	s_or_b32 exec_lo, exec_lo, s37
	s_and_saveexec_b32 s37, s24
	s_cbranch_execnz .LBB28_66
.LBB28_98:                              ;   in Loop: Header=BB28_41 Depth=1
	s_or_b32 exec_lo, exec_lo, s37
	s_and_saveexec_b32 s37, s25
	s_cbranch_execz .LBB28_67
.LBB28_99:                              ;   in Loop: Header=BB28_41 Depth=1
	ds_load_b32 v10, v3 offset:24676
	s_wait_dscnt 0x0
	v_add_nc_u32_e32 v9, v10, v9
	s_or_b32 exec_lo, exec_lo, s37
	s_and_saveexec_b32 s37, s26
	s_cbranch_execnz .LBB28_68
.LBB28_100:                             ;   in Loop: Header=BB28_41 Depth=1
	s_or_b32 exec_lo, exec_lo, s37
	s_and_saveexec_b32 s37, s27
	s_cbranch_execz .LBB28_69
.LBB28_101:                             ;   in Loop: Header=BB28_41 Depth=1
	ds_load_b32 v10, v3 offset:24684
	s_wait_dscnt 0x0
	v_add_nc_u32_e32 v9, v10, v9
	s_or_b32 exec_lo, exec_lo, s37
	s_and_saveexec_b32 s37, s28
	s_cbranch_execnz .LBB28_70
.LBB28_102:                             ;   in Loop: Header=BB28_41 Depth=1
	s_or_b32 exec_lo, exec_lo, s37
	s_and_saveexec_b32 s37, s29
	s_cbranch_execz .LBB28_71
.LBB28_103:                             ;   in Loop: Header=BB28_41 Depth=1
	ds_load_b32 v10, v3 offset:24692
	s_wait_dscnt 0x0
	v_add_nc_u32_e32 v9, v10, v9
	s_or_b32 exec_lo, exec_lo, s37
	s_and_saveexec_b32 s37, s30
	s_cbranch_execnz .LBB28_72
.LBB28_104:                             ;   in Loop: Header=BB28_41 Depth=1
	s_or_b32 exec_lo, exec_lo, s37
	s_and_saveexec_b32 s37, s31
	s_cbranch_execz .LBB28_73
.LBB28_105:                             ;   in Loop: Header=BB28_41 Depth=1
	s_delay_alu instid0(VALU_DEP_1) | instskip(SKIP_1) | instid1(VALU_DEP_2)
	v_add3_u32 v10, v7, -1, v9
	v_add_nc_u32_e32 v11, v7, v9
	v_lshl_add_u32 v10, v10, 2, 0
	s_delay_alu instid0(VALU_DEP_2)
	v_lshl_add_u32 v11, v11, 3, 0
	ds_store_b32 v10, v8
	ds_store_b64 v11, v[4:5] offset:8184
	s_or_b32 exec_lo, exec_lo, s37
	s_and_saveexec_b32 s31, vcc_lo
	s_cbranch_execz .LBB28_40
.LBB28_106:                             ;   in Loop: Header=BB28_41 Depth=1
	ds_store_b32 v3, v9 offset:24700
	s_branch .LBB28_40
.LBB28_107:
	s_or_b32 exec_lo, exec_lo, s36
	s_wait_kmcnt 0x0
	s_ashr_i32 s43, s42, 31
	s_delay_alu instid0(SALU_CYCLE_1) | instskip(NEXT) | instid1(SALU_CYCLE_1)
	s_lshl_b64 s[0:1], s[42:43], 2
	s_add_nc_u64 s[2:3], s[40:41], s[0:1]
	s_load_b64 s[0:1], s[2:3], 0x0
	s_wait_kmcnt 0x0
	s_sub_co_i32 s4, s1, s0
	s_mov_b32 s1, exec_lo
	v_cmpx_gt_i32_e64 s4, v0
	s_cbranch_execz .LBB28_121
; %bb.108:
	v_sub_co_u32 v1, s1, s4, 2
	s_sub_co_i32 s2, s0, s38
	s_xor_b32 s6, s1, -1
	s_and_b32 s5, s4, -2
	v_readfirstlane_b32 s3, v1
	s_lshr_b32 s0, s3, 1
	s_mov_b32 s3, 0
	s_add_co_i32 s0, s0, 1
	s_mov_b32 s11, s3
	s_and_b32 s1, s0, 7
	s_and_b32 s7, s0, -8
	s_cmp_lg_u32 s1, 0
	v_cmp_lt_u32_e64 s0, 13, v1
	s_cselect_b32 s8, -1, 0
	s_cmp_lg_u32 s4, s5
	s_cselect_b32 s9, -1, 0
	s_lshl_b32 s10, s1, 3
	s_branch .LBB28_110
.LBB28_109:                             ;   in Loop: Header=BB28_110 Depth=1
	v_add_nc_u32_e32 v0, 0x400, v0
	s_wait_dscnt 0x0
	global_store_b64 v4, v[2:3], s[34:35] scale_offset
	v_cmp_le_i32_e32 vcc_lo, s4, v0
	s_or_b32 s11, vcc_lo, s11
	s_wait_xcnt 0x0
	s_and_not1_b32 exec_lo, exec_lo, s11
	s_cbranch_execz .LBB28_121
.LBB28_110:                             ; =>This Loop Header: Depth=1
                                        ;     Child Loop BB28_113 Depth 2
                                        ;     Child Loop BB28_116 Depth 2
	;; [unrolled: 1-line block ×3, first 2 shown]
	v_dual_mov_b32 v4, s2 :: v_dual_lshlrev_b32 v1, 2, v0
	s_and_not1_b32 vcc_lo, exec_lo, s6
	s_mov_b32 s1, 0
	s_mov_b32 s12, -1
	s_delay_alu instid0(VALU_DEP_1) | instskip(NEXT) | instid1(VALU_DEP_1)
	v_add_nc_u32_e32 v2, 0, v1
	v_add_nc_u32_e32 v3, v2, v1
	ds_load_b32 v1, v2
	ds_load_b64 v[2:3], v3 offset:8192
	s_cbranch_vccnz .LBB28_118
; %bb.111:                              ;   in Loop: Header=BB28_110 Depth=1
	v_mov_b64_e32 v[4:5], s[2:3]
	s_and_not1_b32 vcc_lo, exec_lo, s0
	s_mov_b32 s12, 0
	s_cbranch_vccnz .LBB28_114
; %bb.112:                              ;   in Loop: Header=BB28_110 Depth=1
	v_dual_mov_b32 v4, s2 :: v_dual_mov_b32 v5, 0
	s_mov_b32 s13, 0
	s_mov_b32 s14, s7
.LBB28_113:                             ;   Parent Loop BB28_110 Depth=1
                                        ; =>  This Inner Loop Header: Depth=2
	v_mov_b32_e32 v20, s13
	s_add_co_i32 s14, s14, -8
	s_add_co_i32 s12, s12, 16
	s_add_co_i32 s13, s13, 64
	s_cmp_lg_u32 s14, 0
	ds_load_2addr_b32 v[6:7], v20 offset1:1
	ds_load_2addr_b32 v[8:9], v20 offset0:2 offset1:3
	ds_load_2addr_b32 v[10:11], v20 offset0:4 offset1:5
	;; [unrolled: 1-line block ×7, first 2 shown]
	s_wait_dscnt 0x7
	v_cmp_gt_i32_e32 vcc_lo, v1, v7
	s_wait_dscnt 0x5
	v_cmp_gt_i32_e64 s1, v1, v10
	v_cndmask_b32_e64 v7, 0, 1, vcc_lo
	v_cmp_gt_i32_e32 vcc_lo, v1, v6
	v_cndmask_b32_e64 v6, 0, 1, vcc_lo
	v_cmp_gt_i32_e32 vcc_lo, v1, v8
	v_cndmask_b32_e64 v8, 0, 1, s1
	v_cmp_gt_i32_e64 s1, v1, v11
	s_delay_alu instid0(VALU_DEP_4) | instskip(NEXT) | instid1(VALU_DEP_2)
	v_add_co_ci_u32_e64 v4, null, v4, v6, vcc_lo
	v_cndmask_b32_e64 v10, 0, 1, s1
	s_wait_dscnt 0x4
	v_cmp_gt_i32_e64 s1, v1, v13
	s_wait_dscnt 0x2
	v_cmp_gt_i32_e32 vcc_lo, v1, v16
	s_delay_alu instid0(VALU_DEP_2) | instskip(SKIP_4) | instid1(VALU_DEP_3)
	v_cndmask_b32_e64 v11, 0, 1, s1
	v_cmp_gt_i32_e64 s1, v1, v12
	v_add_co_ci_u32_e64 v4, null, v4, v8, vcc_lo
	s_wait_dscnt 0x1
	v_cmp_gt_i32_e32 vcc_lo, v1, v18
	v_cndmask_b32_e64 v12, 0, 1, s1
	v_cmp_gt_i32_e64 s1, v1, v14
	s_delay_alu instid0(VALU_DEP_2) | instskip(NEXT) | instid1(VALU_DEP_2)
	v_add_co_ci_u32_e64 v4, null, v4, v12, vcc_lo
	v_cndmask_b32_e64 v13, 0, 1, s1
	v_cmp_gt_i32_e64 s1, v1, v15
	s_wait_dscnt 0x0
	v_cmp_gt_i32_e32 vcc_lo, v1, v20
	s_delay_alu instid0(VALU_DEP_2) | instskip(SKIP_2) | instid1(VALU_DEP_2)
	v_cndmask_b32_e64 v14, 0, 1, s1
	v_cmp_gt_i32_e64 s1, v1, v9
	v_add_co_ci_u32_e64 v4, null, v4, v13, vcc_lo
	v_add_co_ci_u32_e64 v5, null, v5, v7, s1
	v_cmp_gt_i32_e64 s1, v1, v17
	s_delay_alu instid0(VALU_DEP_1) | instskip(SKIP_1) | instid1(VALU_DEP_1)
	v_add_co_ci_u32_e64 v5, null, v5, v10, s1
	v_cmp_gt_i32_e64 s1, v1, v19
	v_add_co_ci_u32_e64 v5, null, v5, v11, s1
	v_cmp_gt_i32_e64 s1, v1, v21
	s_delay_alu instid0(VALU_DEP_1)
	v_add_co_ci_u32_e64 v5, null, v5, v14, s1
	s_cbranch_scc1 .LBB28_113
.LBB28_114:                             ;   in Loop: Header=BB28_110 Depth=1
	s_and_not1_b32 vcc_lo, exec_lo, s8
	s_cbranch_vccnz .LBB28_117
; %bb.115:                              ;   in Loop: Header=BB28_110 Depth=1
	s_lshl_b32 s1, s12, 2
	s_mov_b32 s12, s10
	s_add_co_i32 s1, s1, 0
.LBB28_116:                             ;   Parent Loop BB28_110 Depth=1
                                        ; =>  This Inner Loop Header: Depth=2
	s_delay_alu instid0(SALU_CYCLE_1)
	v_mov_b32_e32 v6, s1
	s_add_co_i32 s12, s12, -8
	s_add_co_i32 s1, s1, 8
	s_cmp_lg_u32 s12, 0
	ds_load_2addr_b32 v[6:7], v6 offset1:1
	s_wait_dscnt 0x0
	v_cmp_gt_i32_e32 vcc_lo, v1, v7
	v_add_co_ci_u32_e64 v5, null, 0, v5, vcc_lo
	v_cmp_gt_i32_e32 vcc_lo, v1, v6
	v_add_co_ci_u32_e64 v4, null, 0, v4, vcc_lo
	s_cbranch_scc1 .LBB28_116
.LBB28_117:                             ;   in Loop: Header=BB28_110 Depth=1
	s_delay_alu instid0(VALU_DEP_1)
	v_add_nc_u32_e32 v4, v4, v5
	s_mov_b32 s1, s5
	s_mov_b32 s12, s9
.LBB28_118:                             ;   in Loop: Header=BB28_110 Depth=1
	s_delay_alu instid0(SALU_CYCLE_1)
	s_and_b32 vcc_lo, exec_lo, s12
	s_cbranch_vccz .LBB28_109
; %bb.119:                              ;   in Loop: Header=BB28_110 Depth=1
	s_lshl_b32 s12, s1, 2
	s_delay_alu instid0(SALU_CYCLE_1)
	s_add_co_i32 s12, s12, 0
.LBB28_120:                             ;   Parent Loop BB28_110 Depth=1
                                        ; =>  This Inner Loop Header: Depth=2
	s_delay_alu instid0(SALU_CYCLE_1)
	v_mov_b32_e32 v5, s12
	s_add_co_i32 s1, s1, 1
	s_add_co_i32 s12, s12, 4
	s_cmp_ge_i32 s1, s4
	ds_load_b32 v5, v5
	s_wait_dscnt 0x0
	v_cmp_gt_i32_e32 vcc_lo, v1, v5
	v_add_co_ci_u32_e64 v4, null, 0, v4, vcc_lo
	s_cbranch_scc0 .LBB28_120
	s_branch .LBB28_109
.LBB28_121:
	s_endpgm
	.section	.rodata,"a",@progbits
	.p2align	6, 0x0
	.amdhsa_kernel _ZN9rocsparseL41csrgemm_numeric_fill_block_per_row_kernelILj1024ELj32ELj2048ELj137ELj32EiidEEvT5_PKS1_S3_NS_24const_host_device_scalarIT6_EEPKT4_S3_PKS5_S9_S3_SB_S6_S9_S3_SB_S9_S3_PS5_21rocsparse_index_base_SD_SD_SD_bbb
		.amdhsa_group_segment_fixed_size 0
		.amdhsa_private_segment_fixed_size 0
		.amdhsa_kernarg_size 156
		.amdhsa_user_sgpr_count 2
		.amdhsa_user_sgpr_dispatch_ptr 0
		.amdhsa_user_sgpr_queue_ptr 0
		.amdhsa_user_sgpr_kernarg_segment_ptr 1
		.amdhsa_user_sgpr_dispatch_id 0
		.amdhsa_user_sgpr_kernarg_preload_length 0
		.amdhsa_user_sgpr_kernarg_preload_offset 0
		.amdhsa_user_sgpr_private_segment_size 0
		.amdhsa_wavefront_size32 1
		.amdhsa_uses_dynamic_stack 0
		.amdhsa_enable_private_segment 0
		.amdhsa_system_sgpr_workgroup_id_x 1
		.amdhsa_system_sgpr_workgroup_id_y 0
		.amdhsa_system_sgpr_workgroup_id_z 0
		.amdhsa_system_sgpr_workgroup_info 0
		.amdhsa_system_vgpr_workitem_id 0
		.amdhsa_next_free_vgpr 22
		.amdhsa_next_free_sgpr 44
		.amdhsa_named_barrier_count 0
		.amdhsa_reserve_vcc 1
		.amdhsa_float_round_mode_32 0
		.amdhsa_float_round_mode_16_64 0
		.amdhsa_float_denorm_mode_32 3
		.amdhsa_float_denorm_mode_16_64 3
		.amdhsa_fp16_overflow 0
		.amdhsa_memory_ordered 1
		.amdhsa_forward_progress 1
		.amdhsa_inst_pref_size 34
		.amdhsa_round_robin_scheduling 0
		.amdhsa_exception_fp_ieee_invalid_op 0
		.amdhsa_exception_fp_denorm_src 0
		.amdhsa_exception_fp_ieee_div_zero 0
		.amdhsa_exception_fp_ieee_overflow 0
		.amdhsa_exception_fp_ieee_underflow 0
		.amdhsa_exception_fp_ieee_inexact 0
		.amdhsa_exception_int_div_zero 0
	.end_amdhsa_kernel
	.section	.text._ZN9rocsparseL41csrgemm_numeric_fill_block_per_row_kernelILj1024ELj32ELj2048ELj137ELj32EiidEEvT5_PKS1_S3_NS_24const_host_device_scalarIT6_EEPKT4_S3_PKS5_S9_S3_SB_S6_S9_S3_SB_S9_S3_PS5_21rocsparse_index_base_SD_SD_SD_bbb,"axG",@progbits,_ZN9rocsparseL41csrgemm_numeric_fill_block_per_row_kernelILj1024ELj32ELj2048ELj137ELj32EiidEEvT5_PKS1_S3_NS_24const_host_device_scalarIT6_EEPKT4_S3_PKS5_S9_S3_SB_S6_S9_S3_SB_S9_S3_PS5_21rocsparse_index_base_SD_SD_SD_bbb,comdat
.Lfunc_end28:
	.size	_ZN9rocsparseL41csrgemm_numeric_fill_block_per_row_kernelILj1024ELj32ELj2048ELj137ELj32EiidEEvT5_PKS1_S3_NS_24const_host_device_scalarIT6_EEPKT4_S3_PKS5_S9_S3_SB_S6_S9_S3_SB_S9_S3_PS5_21rocsparse_index_base_SD_SD_SD_bbb, .Lfunc_end28-_ZN9rocsparseL41csrgemm_numeric_fill_block_per_row_kernelILj1024ELj32ELj2048ELj137ELj32EiidEEvT5_PKS1_S3_NS_24const_host_device_scalarIT6_EEPKT4_S3_PKS5_S9_S3_SB_S6_S9_S3_SB_S9_S3_PS5_21rocsparse_index_base_SD_SD_SD_bbb
                                        ; -- End function
	.set _ZN9rocsparseL41csrgemm_numeric_fill_block_per_row_kernelILj1024ELj32ELj2048ELj137ELj32EiidEEvT5_PKS1_S3_NS_24const_host_device_scalarIT6_EEPKT4_S3_PKS5_S9_S3_SB_S6_S9_S3_SB_S9_S3_PS5_21rocsparse_index_base_SD_SD_SD_bbb.num_vgpr, 22
	.set _ZN9rocsparseL41csrgemm_numeric_fill_block_per_row_kernelILj1024ELj32ELj2048ELj137ELj32EiidEEvT5_PKS1_S3_NS_24const_host_device_scalarIT6_EEPKT4_S3_PKS5_S9_S3_SB_S6_S9_S3_SB_S9_S3_PS5_21rocsparse_index_base_SD_SD_SD_bbb.num_agpr, 0
	.set _ZN9rocsparseL41csrgemm_numeric_fill_block_per_row_kernelILj1024ELj32ELj2048ELj137ELj32EiidEEvT5_PKS1_S3_NS_24const_host_device_scalarIT6_EEPKT4_S3_PKS5_S9_S3_SB_S6_S9_S3_SB_S9_S3_PS5_21rocsparse_index_base_SD_SD_SD_bbb.numbered_sgpr, 44
	.set _ZN9rocsparseL41csrgemm_numeric_fill_block_per_row_kernelILj1024ELj32ELj2048ELj137ELj32EiidEEvT5_PKS1_S3_NS_24const_host_device_scalarIT6_EEPKT4_S3_PKS5_S9_S3_SB_S6_S9_S3_SB_S9_S3_PS5_21rocsparse_index_base_SD_SD_SD_bbb.num_named_barrier, 0
	.set _ZN9rocsparseL41csrgemm_numeric_fill_block_per_row_kernelILj1024ELj32ELj2048ELj137ELj32EiidEEvT5_PKS1_S3_NS_24const_host_device_scalarIT6_EEPKT4_S3_PKS5_S9_S3_SB_S6_S9_S3_SB_S9_S3_PS5_21rocsparse_index_base_SD_SD_SD_bbb.private_seg_size, 0
	.set _ZN9rocsparseL41csrgemm_numeric_fill_block_per_row_kernelILj1024ELj32ELj2048ELj137ELj32EiidEEvT5_PKS1_S3_NS_24const_host_device_scalarIT6_EEPKT4_S3_PKS5_S9_S3_SB_S6_S9_S3_SB_S9_S3_PS5_21rocsparse_index_base_SD_SD_SD_bbb.uses_vcc, 1
	.set _ZN9rocsparseL41csrgemm_numeric_fill_block_per_row_kernelILj1024ELj32ELj2048ELj137ELj32EiidEEvT5_PKS1_S3_NS_24const_host_device_scalarIT6_EEPKT4_S3_PKS5_S9_S3_SB_S6_S9_S3_SB_S9_S3_PS5_21rocsparse_index_base_SD_SD_SD_bbb.uses_flat_scratch, 0
	.set _ZN9rocsparseL41csrgemm_numeric_fill_block_per_row_kernelILj1024ELj32ELj2048ELj137ELj32EiidEEvT5_PKS1_S3_NS_24const_host_device_scalarIT6_EEPKT4_S3_PKS5_S9_S3_SB_S6_S9_S3_SB_S9_S3_PS5_21rocsparse_index_base_SD_SD_SD_bbb.has_dyn_sized_stack, 0
	.set _ZN9rocsparseL41csrgemm_numeric_fill_block_per_row_kernelILj1024ELj32ELj2048ELj137ELj32EiidEEvT5_PKS1_S3_NS_24const_host_device_scalarIT6_EEPKT4_S3_PKS5_S9_S3_SB_S6_S9_S3_SB_S9_S3_PS5_21rocsparse_index_base_SD_SD_SD_bbb.has_recursion, 0
	.set _ZN9rocsparseL41csrgemm_numeric_fill_block_per_row_kernelILj1024ELj32ELj2048ELj137ELj32EiidEEvT5_PKS1_S3_NS_24const_host_device_scalarIT6_EEPKT4_S3_PKS5_S9_S3_SB_S6_S9_S3_SB_S9_S3_PS5_21rocsparse_index_base_SD_SD_SD_bbb.has_indirect_call, 0
	.section	.AMDGPU.csdata,"",@progbits
; Kernel info:
; codeLenInByte = 4280
; TotalNumSgprs: 46
; NumVgprs: 22
; ScratchSize: 0
; MemoryBound: 0
; FloatMode: 240
; IeeeMode: 1
; LDSByteSize: 0 bytes/workgroup (compile time only)
; SGPRBlocks: 0
; VGPRBlocks: 1
; NumSGPRsForWavesPerEU: 46
; NumVGPRsForWavesPerEU: 22
; NamedBarCnt: 0
; Occupancy: 16
; WaveLimiterHint : 1
; COMPUTE_PGM_RSRC2:SCRATCH_EN: 0
; COMPUTE_PGM_RSRC2:USER_SGPR: 2
; COMPUTE_PGM_RSRC2:TRAP_HANDLER: 0
; COMPUTE_PGM_RSRC2:TGID_X_EN: 1
; COMPUTE_PGM_RSRC2:TGID_Y_EN: 0
; COMPUTE_PGM_RSRC2:TGID_Z_EN: 0
; COMPUTE_PGM_RSRC2:TIDIG_COMP_CNT: 0
	.section	.text._ZN9rocsparseL41csrgemm_numeric_fill_block_per_row_kernelILj1024ELj32ELj2048ELj137ELj64EiidEEvT5_PKS1_S3_NS_24const_host_device_scalarIT6_EEPKT4_S3_PKS5_S9_S3_SB_S6_S9_S3_SB_S9_S3_PS5_21rocsparse_index_base_SD_SD_SD_bbb,"axG",@progbits,_ZN9rocsparseL41csrgemm_numeric_fill_block_per_row_kernelILj1024ELj32ELj2048ELj137ELj64EiidEEvT5_PKS1_S3_NS_24const_host_device_scalarIT6_EEPKT4_S3_PKS5_S9_S3_SB_S6_S9_S3_SB_S9_S3_PS5_21rocsparse_index_base_SD_SD_SD_bbb,comdat
	.globl	_ZN9rocsparseL41csrgemm_numeric_fill_block_per_row_kernelILj1024ELj32ELj2048ELj137ELj64EiidEEvT5_PKS1_S3_NS_24const_host_device_scalarIT6_EEPKT4_S3_PKS5_S9_S3_SB_S6_S9_S3_SB_S9_S3_PS5_21rocsparse_index_base_SD_SD_SD_bbb ; -- Begin function _ZN9rocsparseL41csrgemm_numeric_fill_block_per_row_kernelILj1024ELj32ELj2048ELj137ELj64EiidEEvT5_PKS1_S3_NS_24const_host_device_scalarIT6_EEPKT4_S3_PKS5_S9_S3_SB_S6_S9_S3_SB_S9_S3_PS5_21rocsparse_index_base_SD_SD_SD_bbb
	.p2align	8
	.type	_ZN9rocsparseL41csrgemm_numeric_fill_block_per_row_kernelILj1024ELj32ELj2048ELj137ELj64EiidEEvT5_PKS1_S3_NS_24const_host_device_scalarIT6_EEPKT4_S3_PKS5_S9_S3_SB_S6_S9_S3_SB_S9_S3_PS5_21rocsparse_index_base_SD_SD_SD_bbb,@function
_ZN9rocsparseL41csrgemm_numeric_fill_block_per_row_kernelILj1024ELj32ELj2048ELj137ELj64EiidEEvT5_PKS1_S3_NS_24const_host_device_scalarIT6_EEPKT4_S3_PKS5_S9_S3_SB_S6_S9_S3_SB_S9_S3_PS5_21rocsparse_index_base_SD_SD_SD_bbb: ; @_ZN9rocsparseL41csrgemm_numeric_fill_block_per_row_kernelILj1024ELj32ELj2048ELj137ELj64EiidEEvT5_PKS1_S3_NS_24const_host_device_scalarIT6_EEPKT4_S3_PKS5_S9_S3_SB_S6_S9_S3_SB_S9_S3_PS5_21rocsparse_index_base_SD_SD_SD_bbb
; %bb.0:
	s_clause 0x3
	s_load_b32 s14, s[0:1], 0x98
	s_load_b64 s[2:3], s[0:1], 0x18
	s_load_b128 s[16:19], s[0:1], 0x88
	s_load_b64 s[12:13], s[0:1], 0x50
	s_wait_kmcnt 0x0
	s_bitcmp1_b32 s14, 0
	s_cselect_b32 s35, -1, 0
	s_bitcmp1_b32 s14, 16
	s_cselect_b32 s15, -1, 0
	s_xor_b32 s4, s35, -1
	s_delay_alu instid0(SALU_CYCLE_1)
	s_or_b32 s6, s15, s4
	s_and_b32 s4, s35, exec_lo
	s_cselect_b32 s5, s3, 0
	s_cselect_b32 s4, s2, 0
	s_and_b32 vcc_lo, exec_lo, s6
	v_mov_b64_e32 v[4:5], s[4:5]
	s_cbranch_vccnz .LBB29_2
; %bb.1:
	v_mov_b32_e32 v1, 0
	flat_load_b64 v[4:5], v1, s[2:3]
.LBB29_2:
	s_clause 0x4
	s_load_b64 s[24:25], s[0:1], 0x80
	s_load_b128 s[4:7], s[0:1], 0x60
	s_load_b128 s[8:11], s[0:1], 0x40
	;; [unrolled: 1-line block ×3, first 2 shown]
	s_load_b64 s[2:3], s[0:1], 0x28
	s_bitcmp1_b32 s14, 8
	s_cselect_b32 s34, -1, 0
	s_delay_alu instid0(SALU_CYCLE_1) | instskip(NEXT) | instid1(SALU_CYCLE_1)
	s_xor_b32 s14, s34, -1
	s_or_b32 s26, s15, s14
	s_and_b32 s14, s34, exec_lo
	s_cselect_b32 s15, s13, 0
	s_cselect_b32 s14, s12, 0
	s_and_b32 vcc_lo, exec_lo, s26
	v_mov_b64_e32 v[2:3], s[14:15]
	s_cbranch_vccnz .LBB29_4
; %bb.3:
	v_mov_b32_e32 v1, 0
	flat_load_b64 v[2:3], v1, s[12:13]
.LBB29_4:
	s_clause 0x4
	s_load_b32 s33, s[0:1], 0x0
	s_load_b64 s[30:31], s[0:1], 0x20
	s_load_b64 s[26:27], s[0:1], 0x70
	;; [unrolled: 1-line block ×3, first 2 shown]
	s_load_b128 s[12:15], s[0:1], 0x30
	v_lshl_add_u32 v1, v0, 2, 0
	v_lshlrev_b32_e32 v6, 3, v0
	v_or_b32_e32 v12, 0xfffffc00, v0
	s_wait_xcnt 0x0
	s_mov_b32 s0, 0
	v_mov_b32_e32 v8, v1
	v_add3_u32 v13, v6, 0, 0x2000
	v_mov_b64_e32 v[6:7], 0
	s_delay_alu instid0(VALU_DEP_2)
	v_dual_mov_b32 v9, v12 :: v_dual_mov_b32 v11, v13
	s_wait_kmcnt 0x0
	v_mov_b32_e32 v10, s33
.LBB29_5:                               ; =>This Inner Loop Header: Depth=1
	s_delay_alu instid0(VALU_DEP_2)
	v_add_co_u32 v9, s1, 0x400, v9
	s_xor_b32 s1, s1, -1
	ds_store_b32 v8, v10
	ds_store_b64 v11, v[6:7]
	v_add_nc_u32_e32 v11, 0x2000, v11
	v_add_nc_u32_e32 v8, 0x1000, v8
	s_and_b32 s1, exec_lo, s1
	s_delay_alu instid0(SALU_CYCLE_1) | instskip(NEXT) | instid1(SALU_CYCLE_1)
	s_or_b32 s0, s1, s0
	s_and_not1_b32 exec_lo, exec_lo, s0
	s_cbranch_execnz .LBB29_5
; %bb.6:
	s_or_b32 exec_lo, exec_lo, s0
	s_wait_loadcnt_dscnt 0x0
	s_barrier_signal -1
	s_barrier_wait -1
	s_load_b32 s0, s[20:21], 0x0
	s_bfe_u32 s1, ttmp6, 0x4000c
	s_wait_xcnt 0x0
	s_and_b32 s20, ttmp6, 15
	s_add_co_i32 s1, s1, 1
	s_getreg_b32 s21, hwreg(HW_REG_IB_STS2, 6, 4)
	s_mul_i32 s1, ttmp9, s1
	s_delay_alu instid0(SALU_CYCLE_1)
	s_add_co_i32 s20, s20, s1
	s_cmp_eq_u32 s21, 0
	s_cselect_b32 s1, ttmp9, s20
	s_and_b32 vcc_lo, exec_lo, s35
	s_wait_kmcnt 0x0
	s_add_co_i32 s0, s0, s1
	s_load_b32 s20, s[22:23], s0 offset:0x0 scale_offset
	s_cbranch_vccz .LBB29_24
; %bb.7:
	s_wait_kmcnt 0x0
	s_ashr_i32 s21, s20, 31
	v_lshrrev_b32_e32 v6, 5, v0
	s_lshl_b64 s[0:1], s[20:21], 2
	s_delay_alu instid0(SALU_CYCLE_1) | instskip(NEXT) | instid1(VALU_DEP_1)
	s_add_nc_u64 s[0:1], s[30:31], s[0:1]
	v_subrev_nc_u32_e32 v6, s16, v6
	s_load_b64 s[22:23], s[0:1], 0x0
	s_wait_xcnt 0x0
	s_mov_b32 s1, exec_lo
	s_wait_kmcnt 0x0
	v_add_nc_u32_e32 v6, s22, v6
	s_sub_co_i32 s0, s23, s16
	s_delay_alu instid0(VALU_DEP_1) | instid1(SALU_CYCLE_1)
	v_cmpx_gt_i32_e64 s0, v6
	s_cbranch_execz .LBB29_23
; %bb.8:
	v_and_b32_e32 v7, 31, v0
	s_mov_b32 s21, 0
	s_delay_alu instid0(VALU_DEP_1)
	v_subrev_nc_u32_e32 v14, s17, v7
	s_branch .LBB29_10
.LBB29_9:                               ;   in Loop: Header=BB29_10 Depth=1
	s_or_b32 exec_lo, exec_lo, s22
	v_add_nc_u32_e32 v6, 32, v6
	s_delay_alu instid0(VALU_DEP_1) | instskip(SKIP_1) | instid1(SALU_CYCLE_1)
	v_cmp_le_i32_e32 vcc_lo, s0, v6
	s_or_b32 s21, vcc_lo, s21
	s_and_not1_b32 exec_lo, exec_lo, s21
	s_cbranch_execz .LBB29_23
.LBB29_10:                              ; =>This Loop Header: Depth=1
                                        ;     Child Loop BB29_14 Depth 2
                                        ;       Child Loop BB29_17 Depth 3
	global_load_b32 v7, v6, s[2:3] scale_offset
	s_mov_b32 s22, exec_lo
	s_wait_loadcnt 0x0
	v_subrev_nc_u32_e32 v8, s16, v7
	s_delay_alu instid0(VALU_DEP_1) | instskip(NEXT) | instid1(VALU_DEP_1)
	v_ashrrev_i32_e32 v9, 31, v8
	v_lshl_add_u64 v[8:9], v[8:9], 2, s[14:15]
	global_load_b64 v[8:9], v[8:9], off
	s_wait_loadcnt 0x0
	v_subrev_nc_u32_e32 v15, s17, v9
	v_add_nc_u32_e32 v16, v8, v14
	s_wait_xcnt 0x0
	s_delay_alu instid0(VALU_DEP_1)
	v_cmpx_lt_i32_e64 v16, v15
	s_cbranch_execz .LBB29_9
; %bb.11:                               ;   in Loop: Header=BB29_10 Depth=1
	v_ashrrev_i32_e32 v7, 31, v6
	s_mov_b32 s23, 0
	s_delay_alu instid0(VALU_DEP_1)
	v_lshl_add_u64 v[8:9], v[6:7], 3, s[12:13]
	global_load_b64 v[8:9], v[8:9], off
	s_wait_loadcnt 0x0
	s_wait_xcnt 0x0
	v_mul_f64_e32 v[8:9], v[4:5], v[8:9]
	s_branch .LBB29_14
.LBB29_12:                              ;   in Loop: Header=BB29_14 Depth=2
	s_or_b32 exec_lo, exec_lo, s31
.LBB29_13:                              ;   in Loop: Header=BB29_14 Depth=2
	s_delay_alu instid0(SALU_CYCLE_1) | instskip(SKIP_3) | instid1(VALU_DEP_2)
	s_or_b32 exec_lo, exec_lo, s30
	s_wait_loadcnt 0x0
	v_dual_mul_f64 v[10:11], v[8:9], v[10:11] :: v_dual_add_nc_u32 v16, 32, v16
	v_lshl_add_u32 v7, v7, 3, 0
	v_cmp_ge_i32_e32 vcc_lo, v16, v15
	s_or_b32 s23, vcc_lo, s23
	ds_add_f64 v7, v[10:11] offset:8192
	s_and_not1_b32 exec_lo, exec_lo, s23
	s_cbranch_execz .LBB29_9
.LBB29_14:                              ;   Parent Loop BB29_10 Depth=1
                                        ; =>  This Loop Header: Depth=2
                                        ;       Child Loop BB29_17 Depth 3
	s_clause 0x1
	global_load_b32 v7, v16, s[8:9] scale_offset
	global_load_b64 v[10:11], v16, s[10:11] scale_offset
	s_mov_b32 s30, exec_lo
	s_wait_loadcnt 0x1
	v_subrev_nc_u32_e32 v17, s17, v7
	s_delay_alu instid0(VALU_DEP_1) | instskip(NEXT) | instid1(VALU_DEP_1)
	v_mul_lo_u32 v7, 0x89, v17
	v_and_b32_e32 v7, 0x7ff, v7
	s_delay_alu instid0(VALU_DEP_1)
	v_lshl_add_u32 v18, v7, 2, 0
	ds_load_b32 v19, v18
	s_wait_dscnt 0x0
	s_wait_xcnt 0x0
	v_cmpx_ne_u32_e64 v19, v17
	s_cbranch_execz .LBB29_13
; %bb.15:                               ;   in Loop: Header=BB29_14 Depth=2
	s_mov_b32 s31, 0
	s_branch .LBB29_17
.LBB29_16:                              ;   in Loop: Header=BB29_17 Depth=3
	s_or_b32 exec_lo, exec_lo, s37
	s_delay_alu instid0(SALU_CYCLE_1) | instskip(NEXT) | instid1(SALU_CYCLE_1)
	s_and_b32 s35, exec_lo, s36
	s_or_b32 s31, s35, s31
	s_delay_alu instid0(SALU_CYCLE_1)
	s_and_not1_b32 exec_lo, exec_lo, s31
	s_cbranch_execz .LBB29_12
.LBB29_17:                              ;   Parent Loop BB29_10 Depth=1
                                        ;     Parent Loop BB29_14 Depth=2
                                        ; =>    This Inner Loop Header: Depth=3
	s_mov_b32 s35, 0
	s_mov_b32 s36, exec_lo
	v_cmpx_ne_u32_e64 s33, v19
	s_xor_b32 s36, exec_lo, s36
	s_cbranch_execz .LBB29_19
; %bb.18:                               ;   in Loop: Header=BB29_17 Depth=3
	v_add_nc_u32_e32 v7, 1, v7
	s_mov_b32 s35, exec_lo
                                        ; implicit-def: $vgpr18
	s_delay_alu instid0(VALU_DEP_1)
	v_and_b32_e32 v7, 0x7ff, v7
	s_and_not1_saveexec_b32 s36, s36
	s_cbranch_execz .LBB29_21
	s_branch .LBB29_20
.LBB29_19:                              ;   in Loop: Header=BB29_17 Depth=3
	s_and_not1_saveexec_b32 s36, s36
	s_cbranch_execz .LBB29_21
.LBB29_20:                              ;   in Loop: Header=BB29_17 Depth=3
	v_mov_b32_e32 v19, s33
	s_and_not1_b32 s35, s35, exec_lo
	ds_cmpstore_rtn_b32 v18, v18, v17, v19
	s_wait_dscnt 0x0
	v_cmp_ne_u32_e32 vcc_lo, s33, v18
	s_and_b32 s37, vcc_lo, exec_lo
	s_delay_alu instid0(SALU_CYCLE_1)
	s_or_b32 s35, s35, s37
.LBB29_21:                              ;   in Loop: Header=BB29_17 Depth=3
	s_or_b32 exec_lo, exec_lo, s36
	s_mov_b32 s36, -1
                                        ; implicit-def: $vgpr18
                                        ; implicit-def: $vgpr19
	s_and_saveexec_b32 s37, s35
	s_cbranch_execz .LBB29_16
; %bb.22:                               ;   in Loop: Header=BB29_17 Depth=3
	v_lshl_add_u32 v18, v7, 2, 0
	ds_load_b32 v19, v18
	s_wait_dscnt 0x0
	v_cmp_eq_u32_e32 vcc_lo, v19, v17
	s_or_not1_b32 s36, vcc_lo, exec_lo
	s_branch .LBB29_16
.LBB29_23:
	s_or_b32 exec_lo, exec_lo, s1
.LBB29_24:
	s_delay_alu instid0(SALU_CYCLE_1)
	s_and_not1_b32 vcc_lo, exec_lo, s34
	s_cbranch_vccnz .LBB29_39
; %bb.25:
	s_wait_kmcnt 0x0
	s_ashr_i32 s21, s20, 31
	v_subrev_nc_u32_e32 v4, s19, v0
	s_lshl_b64 s[0:1], s[20:21], 2
	s_delay_alu instid0(SALU_CYCLE_1)
	s_add_nc_u64 s[0:1], s[28:29], s[0:1]
	s_load_b64 s[2:3], s[0:1], 0x0
	s_wait_xcnt 0x0
	s_mov_b32 s1, exec_lo
	s_wait_kmcnt 0x0
	v_add_nc_u32_e32 v6, s2, v4
	s_sub_co_i32 s0, s3, s19
	s_delay_alu instid0(VALU_DEP_1) | instid1(SALU_CYCLE_1)
	v_cmpx_gt_i32_e64 s0, v6
	s_cbranch_execz .LBB29_38
; %bb.26:
	s_mov_b32 s2, 0
	s_branch .LBB29_29
.LBB29_27:                              ;   in Loop: Header=BB29_29 Depth=1
	s_or_b32 exec_lo, exec_lo, s8
.LBB29_28:                              ;   in Loop: Header=BB29_29 Depth=1
	s_delay_alu instid0(SALU_CYCLE_1) | instskip(SKIP_4) | instid1(VALU_DEP_1)
	s_or_b32 exec_lo, exec_lo, s3
	s_wait_loadcnt 0x0
	v_mul_f64_e32 v[4:5], v[2:3], v[4:5]
	v_lshl_add_u32 v7, v7, 3, 0
	v_add_nc_u32_e32 v6, 0x400, v6
	v_cmp_le_i32_e32 vcc_lo, s0, v6
	s_or_b32 s2, vcc_lo, s2
	ds_add_f64 v7, v[4:5] offset:8192
	s_and_not1_b32 exec_lo, exec_lo, s2
	s_cbranch_execz .LBB29_38
.LBB29_29:                              ; =>This Loop Header: Depth=1
                                        ;     Child Loop BB29_32 Depth 2
	s_clause 0x1
	global_load_b32 v7, v6, s[4:5] scale_offset
	global_load_b64 v[4:5], v6, s[6:7] scale_offset
	s_mov_b32 s3, exec_lo
	s_wait_loadcnt 0x1
	v_subrev_nc_u32_e32 v8, s19, v7
	s_delay_alu instid0(VALU_DEP_1) | instskip(NEXT) | instid1(VALU_DEP_1)
	v_mul_lo_u32 v7, 0x89, v8
	v_and_b32_e32 v7, 0x7ff, v7
	s_delay_alu instid0(VALU_DEP_1)
	v_lshl_add_u32 v9, v7, 2, 0
	ds_load_b32 v10, v9
	s_wait_dscnt 0x0
	s_wait_xcnt 0x0
	v_cmpx_ne_u32_e64 v10, v8
	s_cbranch_execz .LBB29_28
; %bb.30:                               ;   in Loop: Header=BB29_29 Depth=1
	s_mov_b32 s8, 0
	s_branch .LBB29_32
.LBB29_31:                              ;   in Loop: Header=BB29_32 Depth=2
	s_or_b32 exec_lo, exec_lo, s11
	s_delay_alu instid0(SALU_CYCLE_1) | instskip(NEXT) | instid1(SALU_CYCLE_1)
	s_and_b32 s9, exec_lo, s10
	s_or_b32 s8, s9, s8
	s_delay_alu instid0(SALU_CYCLE_1)
	s_and_not1_b32 exec_lo, exec_lo, s8
	s_cbranch_execz .LBB29_27
.LBB29_32:                              ;   Parent Loop BB29_29 Depth=1
                                        ; =>  This Inner Loop Header: Depth=2
	s_mov_b32 s9, 0
	s_mov_b32 s10, exec_lo
	v_cmpx_ne_u32_e64 s33, v10
	s_xor_b32 s10, exec_lo, s10
	s_cbranch_execz .LBB29_34
; %bb.33:                               ;   in Loop: Header=BB29_32 Depth=2
	v_add_nc_u32_e32 v7, 1, v7
	s_mov_b32 s9, exec_lo
                                        ; implicit-def: $vgpr9
	s_delay_alu instid0(VALU_DEP_1)
	v_and_b32_e32 v7, 0x7ff, v7
	s_and_not1_saveexec_b32 s10, s10
	s_cbranch_execz .LBB29_36
	s_branch .LBB29_35
.LBB29_34:                              ;   in Loop: Header=BB29_32 Depth=2
	s_and_not1_saveexec_b32 s10, s10
	s_cbranch_execz .LBB29_36
.LBB29_35:                              ;   in Loop: Header=BB29_32 Depth=2
	v_mov_b32_e32 v10, s33
	s_and_not1_b32 s9, s9, exec_lo
	ds_cmpstore_rtn_b32 v9, v9, v8, v10
	s_wait_dscnt 0x0
	v_cmp_ne_u32_e32 vcc_lo, s33, v9
	s_and_b32 s11, vcc_lo, exec_lo
	s_delay_alu instid0(SALU_CYCLE_1)
	s_or_b32 s9, s9, s11
.LBB29_36:                              ;   in Loop: Header=BB29_32 Depth=2
	s_or_b32 exec_lo, exec_lo, s10
	s_mov_b32 s10, -1
                                        ; implicit-def: $vgpr9
                                        ; implicit-def: $vgpr10
	s_and_saveexec_b32 s11, s9
	s_cbranch_execz .LBB29_31
; %bb.37:                               ;   in Loop: Header=BB29_32 Depth=2
	v_lshl_add_u32 v9, v7, 2, 0
	ds_load_b32 v10, v9
	s_wait_dscnt 0x0
	v_cmp_eq_u32_e32 vcc_lo, v10, v8
	s_or_not1_b32 s10, vcc_lo, exec_lo
	s_branch .LBB29_31
.LBB29_38:
	s_or_b32 exec_lo, exec_lo, s1
.LBB29_39:
	v_mbcnt_lo_u32_b32 v2, -1, 0
	v_dual_mov_b32 v3, 0 :: v_dual_lshrrev_b32 v4, 4, v0
	s_wait_xcnt 0x0
	v_cmp_lt_u32_e64 s0, 63, v0
	v_cmp_lt_u32_e64 s1, 0x7f, v0
	s_delay_alu instid0(VALU_DEP_3)
	v_dual_mov_b32 v7, 0 :: v_dual_bitop2_b32 v4, 60, v4 bitop3:0x40
	v_xor_b32_e32 v2, 31, v2
	v_cmp_lt_u32_e64 s2, 0xbf, v0
	v_cmp_lt_u32_e64 s3, 0xff, v0
	;; [unrolled: 1-line block ×3, first 2 shown]
	v_add_nc_u32_e32 v6, 0, v4
	v_lshrrev_b32_e64 v2, v2, -1
	v_cmp_lt_u32_e64 s5, 0x17f, v0
	v_cmp_lt_u32_e64 s6, 0x1bf, v0
	;; [unrolled: 1-line block ×10, first 2 shown]
	s_mov_b32 s16, 0
	s_wait_dscnt 0x0
	v_cmp_eq_u32_e32 vcc_lo, 0x3ff, v0
	s_barrier_signal -1
	s_barrier_wait -1
	s_branch .LBB29_41
.LBB29_40:                              ;   in Loop: Header=BB29_41 Depth=1
	s_or_b32 exec_lo, exec_lo, s15
	s_wait_dscnt 0x0
	s_barrier_signal -1
	s_barrier_wait -1
	ds_load_b32 v4, v3 offset:24636
	v_add_co_u32 v12, s15, 0x400, v12
	s_xor_b32 s15, s15, -1
	v_add_nc_u32_e32 v13, 0x2000, v13
	v_add_nc_u32_e32 v1, 0x1000, v1
	s_and_b32 s15, exec_lo, s15
	s_delay_alu instid0(SALU_CYCLE_1)
	s_or_b32 s16, s15, s16
	s_wait_dscnt 0x0
	v_add_nc_u32_e32 v7, v4, v7
	s_and_not1_b32 exec_lo, exec_lo, s16
	s_cbranch_execz .LBB29_75
.LBB29_41:                              ; =>This Inner Loop Header: Depth=1
	ds_load_b32 v8, v1
	ds_load_b64 v[4:5], v13
	s_wait_dscnt 0x0
	s_barrier_signal -1
	s_barrier_wait -1
	v_cmp_gt_i32_e64 s15, s33, v8
	s_bcnt1_i32_b32 s17, s15
	s_delay_alu instid0(SALU_CYCLE_1) | instskip(NEXT) | instid1(VALU_DEP_1)
	v_dual_mov_b32 v10, s17 :: v_dual_bitop2_b32 v9, s15, v2 bitop3:0x40
	v_bcnt_u32_b32 v9, v9, 0
	ds_store_b32 v6, v10 offset:24576
	s_wait_dscnt 0x0
	s_barrier_signal -1
	s_barrier_wait -1
	s_and_saveexec_b32 s17, s0
	s_cbranch_execz .LBB29_58
; %bb.42:                               ;   in Loop: Header=BB29_41 Depth=1
	ds_load_b32 v10, v3 offset:24576
	s_wait_dscnt 0x0
	v_add_nc_u32_e32 v9, v10, v9
	s_or_b32 exec_lo, exec_lo, s17
	s_and_saveexec_b32 s17, s1
	s_cbranch_execnz .LBB29_59
.LBB29_43:                              ;   in Loop: Header=BB29_41 Depth=1
	s_or_b32 exec_lo, exec_lo, s17
	s_and_saveexec_b32 s17, s2
	s_cbranch_execz .LBB29_60
.LBB29_44:                              ;   in Loop: Header=BB29_41 Depth=1
	ds_load_b32 v10, v3 offset:24584
	s_wait_dscnt 0x0
	v_add_nc_u32_e32 v9, v10, v9
	s_or_b32 exec_lo, exec_lo, s17
	s_and_saveexec_b32 s17, s3
	s_cbranch_execnz .LBB29_61
.LBB29_45:                              ;   in Loop: Header=BB29_41 Depth=1
	s_or_b32 exec_lo, exec_lo, s17
	s_and_saveexec_b32 s17, s4
	s_cbranch_execz .LBB29_62
.LBB29_46:                              ;   in Loop: Header=BB29_41 Depth=1
	ds_load_b32 v10, v3 offset:24592
	s_wait_dscnt 0x0
	v_add_nc_u32_e32 v9, v10, v9
	s_or_b32 exec_lo, exec_lo, s17
	s_and_saveexec_b32 s17, s5
	s_cbranch_execnz .LBB29_63
.LBB29_47:                              ;   in Loop: Header=BB29_41 Depth=1
	s_or_b32 exec_lo, exec_lo, s17
	s_and_saveexec_b32 s17, s6
	s_cbranch_execz .LBB29_64
.LBB29_48:                              ;   in Loop: Header=BB29_41 Depth=1
	ds_load_b32 v10, v3 offset:24600
	s_wait_dscnt 0x0
	v_add_nc_u32_e32 v9, v10, v9
	s_or_b32 exec_lo, exec_lo, s17
	s_and_saveexec_b32 s17, s7
	s_cbranch_execnz .LBB29_65
.LBB29_49:                              ;   in Loop: Header=BB29_41 Depth=1
	s_or_b32 exec_lo, exec_lo, s17
	s_and_saveexec_b32 s17, s8
	s_cbranch_execz .LBB29_66
.LBB29_50:                              ;   in Loop: Header=BB29_41 Depth=1
	ds_load_b32 v10, v3 offset:24608
	s_wait_dscnt 0x0
	v_add_nc_u32_e32 v9, v10, v9
	s_or_b32 exec_lo, exec_lo, s17
	s_and_saveexec_b32 s17, s9
	s_cbranch_execnz .LBB29_67
.LBB29_51:                              ;   in Loop: Header=BB29_41 Depth=1
	s_or_b32 exec_lo, exec_lo, s17
	s_and_saveexec_b32 s17, s10
	s_cbranch_execz .LBB29_68
.LBB29_52:                              ;   in Loop: Header=BB29_41 Depth=1
	ds_load_b32 v10, v3 offset:24616
	s_wait_dscnt 0x0
	v_add_nc_u32_e32 v9, v10, v9
	s_or_b32 exec_lo, exec_lo, s17
	s_and_saveexec_b32 s17, s11
	s_cbranch_execnz .LBB29_69
.LBB29_53:                              ;   in Loop: Header=BB29_41 Depth=1
	s_or_b32 exec_lo, exec_lo, s17
	s_and_saveexec_b32 s17, s12
	s_cbranch_execz .LBB29_70
.LBB29_54:                              ;   in Loop: Header=BB29_41 Depth=1
	ds_load_b32 v10, v3 offset:24624
	s_wait_dscnt 0x0
	v_add_nc_u32_e32 v9, v10, v9
	s_or_b32 exec_lo, exec_lo, s17
	s_and_saveexec_b32 s17, s13
	s_cbranch_execnz .LBB29_71
.LBB29_55:                              ;   in Loop: Header=BB29_41 Depth=1
	s_or_b32 exec_lo, exec_lo, s17
	s_and_saveexec_b32 s17, s14
	s_cbranch_execz .LBB29_72
.LBB29_56:                              ;   in Loop: Header=BB29_41 Depth=1
	ds_load_b32 v10, v3 offset:24632
	s_wait_dscnt 0x0
	v_add_nc_u32_e32 v9, v10, v9
	s_or_b32 exec_lo, exec_lo, s17
	s_and_saveexec_b32 s17, s15
	s_cbranch_execnz .LBB29_73
.LBB29_57:                              ;   in Loop: Header=BB29_41 Depth=1
	s_or_b32 exec_lo, exec_lo, s17
	s_and_saveexec_b32 s15, vcc_lo
	s_cbranch_execz .LBB29_40
	s_branch .LBB29_74
.LBB29_58:                              ;   in Loop: Header=BB29_41 Depth=1
	s_or_b32 exec_lo, exec_lo, s17
	s_and_saveexec_b32 s17, s1
	s_cbranch_execz .LBB29_43
.LBB29_59:                              ;   in Loop: Header=BB29_41 Depth=1
	ds_load_b32 v10, v3 offset:24580
	s_wait_dscnt 0x0
	v_add_nc_u32_e32 v9, v10, v9
	s_or_b32 exec_lo, exec_lo, s17
	s_and_saveexec_b32 s17, s2
	s_cbranch_execnz .LBB29_44
.LBB29_60:                              ;   in Loop: Header=BB29_41 Depth=1
	s_or_b32 exec_lo, exec_lo, s17
	s_and_saveexec_b32 s17, s3
	s_cbranch_execz .LBB29_45
.LBB29_61:                              ;   in Loop: Header=BB29_41 Depth=1
	ds_load_b32 v10, v3 offset:24588
	s_wait_dscnt 0x0
	v_add_nc_u32_e32 v9, v10, v9
	s_or_b32 exec_lo, exec_lo, s17
	s_and_saveexec_b32 s17, s4
	s_cbranch_execnz .LBB29_46
.LBB29_62:                              ;   in Loop: Header=BB29_41 Depth=1
	s_or_b32 exec_lo, exec_lo, s17
	s_and_saveexec_b32 s17, s5
	s_cbranch_execz .LBB29_47
.LBB29_63:                              ;   in Loop: Header=BB29_41 Depth=1
	ds_load_b32 v10, v3 offset:24596
	s_wait_dscnt 0x0
	v_add_nc_u32_e32 v9, v10, v9
	s_or_b32 exec_lo, exec_lo, s17
	s_and_saveexec_b32 s17, s6
	s_cbranch_execnz .LBB29_48
.LBB29_64:                              ;   in Loop: Header=BB29_41 Depth=1
	s_or_b32 exec_lo, exec_lo, s17
	s_and_saveexec_b32 s17, s7
	s_cbranch_execz .LBB29_49
.LBB29_65:                              ;   in Loop: Header=BB29_41 Depth=1
	ds_load_b32 v10, v3 offset:24604
	s_wait_dscnt 0x0
	v_add_nc_u32_e32 v9, v10, v9
	s_or_b32 exec_lo, exec_lo, s17
	s_and_saveexec_b32 s17, s8
	s_cbranch_execnz .LBB29_50
.LBB29_66:                              ;   in Loop: Header=BB29_41 Depth=1
	s_or_b32 exec_lo, exec_lo, s17
	s_and_saveexec_b32 s17, s9
	s_cbranch_execz .LBB29_51
.LBB29_67:                              ;   in Loop: Header=BB29_41 Depth=1
	ds_load_b32 v10, v3 offset:24612
	s_wait_dscnt 0x0
	v_add_nc_u32_e32 v9, v10, v9
	s_or_b32 exec_lo, exec_lo, s17
	s_and_saveexec_b32 s17, s10
	s_cbranch_execnz .LBB29_52
.LBB29_68:                              ;   in Loop: Header=BB29_41 Depth=1
	s_or_b32 exec_lo, exec_lo, s17
	s_and_saveexec_b32 s17, s11
	s_cbranch_execz .LBB29_53
.LBB29_69:                              ;   in Loop: Header=BB29_41 Depth=1
	ds_load_b32 v10, v3 offset:24620
	s_wait_dscnt 0x0
	v_add_nc_u32_e32 v9, v10, v9
	s_or_b32 exec_lo, exec_lo, s17
	s_and_saveexec_b32 s17, s12
	s_cbranch_execnz .LBB29_54
.LBB29_70:                              ;   in Loop: Header=BB29_41 Depth=1
	s_or_b32 exec_lo, exec_lo, s17
	s_and_saveexec_b32 s17, s13
	s_cbranch_execz .LBB29_55
.LBB29_71:                              ;   in Loop: Header=BB29_41 Depth=1
	ds_load_b32 v10, v3 offset:24628
	s_wait_dscnt 0x0
	v_add_nc_u32_e32 v9, v10, v9
	s_or_b32 exec_lo, exec_lo, s17
	s_and_saveexec_b32 s17, s14
	s_cbranch_execnz .LBB29_56
.LBB29_72:                              ;   in Loop: Header=BB29_41 Depth=1
	s_or_b32 exec_lo, exec_lo, s17
	s_and_saveexec_b32 s17, s15
	s_cbranch_execz .LBB29_57
.LBB29_73:                              ;   in Loop: Header=BB29_41 Depth=1
	s_delay_alu instid0(VALU_DEP_1) | instskip(SKIP_1) | instid1(VALU_DEP_2)
	v_add3_u32 v10, v7, -1, v9
	v_add_nc_u32_e32 v11, v7, v9
	v_lshl_add_u32 v10, v10, 2, 0
	s_delay_alu instid0(VALU_DEP_2)
	v_lshl_add_u32 v11, v11, 3, 0
	ds_store_b32 v10, v8
	ds_store_b64 v11, v[4:5] offset:8184
	s_or_b32 exec_lo, exec_lo, s17
	s_and_saveexec_b32 s15, vcc_lo
	s_cbranch_execz .LBB29_40
.LBB29_74:                              ;   in Loop: Header=BB29_41 Depth=1
	ds_store_b32 v3, v9 offset:24636
	s_branch .LBB29_40
.LBB29_75:
	s_or_b32 exec_lo, exec_lo, s16
	s_wait_kmcnt 0x0
	s_ashr_i32 s21, s20, 31
	s_delay_alu instid0(SALU_CYCLE_1) | instskip(NEXT) | instid1(SALU_CYCLE_1)
	s_lshl_b64 s[0:1], s[20:21], 2
	s_add_nc_u64 s[2:3], s[26:27], s[0:1]
	s_load_b64 s[0:1], s[2:3], 0x0
	s_wait_kmcnt 0x0
	s_sub_co_i32 s4, s1, s0
	s_mov_b32 s1, exec_lo
	v_cmpx_gt_i32_e64 s4, v0
	s_cbranch_execz .LBB29_89
; %bb.76:
	v_sub_co_u32 v1, s1, s4, 2
	s_sub_co_i32 s2, s0, s18
	s_xor_b32 s6, s1, -1
	s_and_b32 s5, s4, -2
	v_readfirstlane_b32 s3, v1
	s_lshr_b32 s0, s3, 1
	s_mov_b32 s3, 0
	s_add_co_i32 s0, s0, 1
	s_mov_b32 s11, s3
	s_and_b32 s1, s0, 7
	s_and_b32 s7, s0, -8
	s_cmp_lg_u32 s1, 0
	v_cmp_lt_u32_e64 s0, 13, v1
	s_cselect_b32 s8, -1, 0
	s_cmp_lg_u32 s4, s5
	s_cselect_b32 s9, -1, 0
	s_lshl_b32 s10, s1, 3
	s_branch .LBB29_78
.LBB29_77:                              ;   in Loop: Header=BB29_78 Depth=1
	v_add_nc_u32_e32 v0, 0x400, v0
	s_wait_dscnt 0x0
	global_store_b64 v4, v[2:3], s[24:25] scale_offset
	v_cmp_le_i32_e32 vcc_lo, s4, v0
	s_or_b32 s11, vcc_lo, s11
	s_wait_xcnt 0x0
	s_and_not1_b32 exec_lo, exec_lo, s11
	s_cbranch_execz .LBB29_89
.LBB29_78:                              ; =>This Loop Header: Depth=1
                                        ;     Child Loop BB29_81 Depth 2
                                        ;     Child Loop BB29_84 Depth 2
	;; [unrolled: 1-line block ×3, first 2 shown]
	v_dual_mov_b32 v4, s2 :: v_dual_lshlrev_b32 v1, 2, v0
	s_and_not1_b32 vcc_lo, exec_lo, s6
	s_mov_b32 s1, 0
	s_mov_b32 s12, -1
	s_delay_alu instid0(VALU_DEP_1) | instskip(NEXT) | instid1(VALU_DEP_1)
	v_add_nc_u32_e32 v2, 0, v1
	v_add_nc_u32_e32 v3, v2, v1
	ds_load_b32 v1, v2
	ds_load_b64 v[2:3], v3 offset:8192
	s_cbranch_vccnz .LBB29_86
; %bb.79:                               ;   in Loop: Header=BB29_78 Depth=1
	v_mov_b64_e32 v[4:5], s[2:3]
	s_and_not1_b32 vcc_lo, exec_lo, s0
	s_mov_b32 s12, 0
	s_cbranch_vccnz .LBB29_82
; %bb.80:                               ;   in Loop: Header=BB29_78 Depth=1
	v_dual_mov_b32 v4, s2 :: v_dual_mov_b32 v5, 0
	s_mov_b32 s13, 0
	s_mov_b32 s14, s7
.LBB29_81:                              ;   Parent Loop BB29_78 Depth=1
                                        ; =>  This Inner Loop Header: Depth=2
	v_mov_b32_e32 v20, s13
	s_add_co_i32 s14, s14, -8
	s_add_co_i32 s12, s12, 16
	s_add_co_i32 s13, s13, 64
	s_cmp_lg_u32 s14, 0
	ds_load_2addr_b32 v[6:7], v20 offset1:1
	ds_load_2addr_b32 v[8:9], v20 offset0:2 offset1:3
	ds_load_2addr_b32 v[10:11], v20 offset0:4 offset1:5
	;; [unrolled: 1-line block ×7, first 2 shown]
	s_wait_dscnt 0x7
	v_cmp_gt_i32_e32 vcc_lo, v1, v7
	s_wait_dscnt 0x5
	v_cmp_gt_i32_e64 s1, v1, v10
	v_cndmask_b32_e64 v7, 0, 1, vcc_lo
	v_cmp_gt_i32_e32 vcc_lo, v1, v6
	v_cndmask_b32_e64 v6, 0, 1, vcc_lo
	v_cmp_gt_i32_e32 vcc_lo, v1, v8
	v_cndmask_b32_e64 v8, 0, 1, s1
	v_cmp_gt_i32_e64 s1, v1, v11
	s_delay_alu instid0(VALU_DEP_4) | instskip(NEXT) | instid1(VALU_DEP_2)
	v_add_co_ci_u32_e64 v4, null, v4, v6, vcc_lo
	v_cndmask_b32_e64 v10, 0, 1, s1
	s_wait_dscnt 0x4
	v_cmp_gt_i32_e64 s1, v1, v13
	s_wait_dscnt 0x2
	v_cmp_gt_i32_e32 vcc_lo, v1, v16
	s_delay_alu instid0(VALU_DEP_2) | instskip(SKIP_4) | instid1(VALU_DEP_3)
	v_cndmask_b32_e64 v11, 0, 1, s1
	v_cmp_gt_i32_e64 s1, v1, v12
	v_add_co_ci_u32_e64 v4, null, v4, v8, vcc_lo
	s_wait_dscnt 0x1
	v_cmp_gt_i32_e32 vcc_lo, v1, v18
	v_cndmask_b32_e64 v12, 0, 1, s1
	v_cmp_gt_i32_e64 s1, v1, v14
	s_delay_alu instid0(VALU_DEP_2) | instskip(NEXT) | instid1(VALU_DEP_2)
	v_add_co_ci_u32_e64 v4, null, v4, v12, vcc_lo
	v_cndmask_b32_e64 v13, 0, 1, s1
	v_cmp_gt_i32_e64 s1, v1, v15
	s_wait_dscnt 0x0
	v_cmp_gt_i32_e32 vcc_lo, v1, v20
	s_delay_alu instid0(VALU_DEP_2) | instskip(SKIP_2) | instid1(VALU_DEP_2)
	v_cndmask_b32_e64 v14, 0, 1, s1
	v_cmp_gt_i32_e64 s1, v1, v9
	v_add_co_ci_u32_e64 v4, null, v4, v13, vcc_lo
	v_add_co_ci_u32_e64 v5, null, v5, v7, s1
	v_cmp_gt_i32_e64 s1, v1, v17
	s_delay_alu instid0(VALU_DEP_1) | instskip(SKIP_1) | instid1(VALU_DEP_1)
	v_add_co_ci_u32_e64 v5, null, v5, v10, s1
	v_cmp_gt_i32_e64 s1, v1, v19
	v_add_co_ci_u32_e64 v5, null, v5, v11, s1
	v_cmp_gt_i32_e64 s1, v1, v21
	s_delay_alu instid0(VALU_DEP_1)
	v_add_co_ci_u32_e64 v5, null, v5, v14, s1
	s_cbranch_scc1 .LBB29_81
.LBB29_82:                              ;   in Loop: Header=BB29_78 Depth=1
	s_and_not1_b32 vcc_lo, exec_lo, s8
	s_cbranch_vccnz .LBB29_85
; %bb.83:                               ;   in Loop: Header=BB29_78 Depth=1
	s_lshl_b32 s1, s12, 2
	s_mov_b32 s12, s10
	s_add_co_i32 s1, s1, 0
.LBB29_84:                              ;   Parent Loop BB29_78 Depth=1
                                        ; =>  This Inner Loop Header: Depth=2
	s_delay_alu instid0(SALU_CYCLE_1)
	v_mov_b32_e32 v6, s1
	s_add_co_i32 s12, s12, -8
	s_add_co_i32 s1, s1, 8
	s_cmp_lg_u32 s12, 0
	ds_load_2addr_b32 v[6:7], v6 offset1:1
	s_wait_dscnt 0x0
	v_cmp_gt_i32_e32 vcc_lo, v1, v7
	v_add_co_ci_u32_e64 v5, null, 0, v5, vcc_lo
	v_cmp_gt_i32_e32 vcc_lo, v1, v6
	v_add_co_ci_u32_e64 v4, null, 0, v4, vcc_lo
	s_cbranch_scc1 .LBB29_84
.LBB29_85:                              ;   in Loop: Header=BB29_78 Depth=1
	s_delay_alu instid0(VALU_DEP_1)
	v_add_nc_u32_e32 v4, v4, v5
	s_mov_b32 s1, s5
	s_mov_b32 s12, s9
.LBB29_86:                              ;   in Loop: Header=BB29_78 Depth=1
	s_delay_alu instid0(SALU_CYCLE_1)
	s_and_b32 vcc_lo, exec_lo, s12
	s_cbranch_vccz .LBB29_77
; %bb.87:                               ;   in Loop: Header=BB29_78 Depth=1
	s_lshl_b32 s12, s1, 2
	s_delay_alu instid0(SALU_CYCLE_1)
	s_add_co_i32 s12, s12, 0
.LBB29_88:                              ;   Parent Loop BB29_78 Depth=1
                                        ; =>  This Inner Loop Header: Depth=2
	s_delay_alu instid0(SALU_CYCLE_1)
	v_mov_b32_e32 v5, s12
	s_add_co_i32 s1, s1, 1
	s_add_co_i32 s12, s12, 4
	s_cmp_ge_i32 s1, s4
	ds_load_b32 v5, v5
	s_wait_dscnt 0x0
	v_cmp_gt_i32_e32 vcc_lo, v1, v5
	v_add_co_ci_u32_e64 v4, null, 0, v4, vcc_lo
	s_cbranch_scc0 .LBB29_88
	s_branch .LBB29_77
.LBB29_89:
	s_endpgm
	.section	.rodata,"a",@progbits
	.p2align	6, 0x0
	.amdhsa_kernel _ZN9rocsparseL41csrgemm_numeric_fill_block_per_row_kernelILj1024ELj32ELj2048ELj137ELj64EiidEEvT5_PKS1_S3_NS_24const_host_device_scalarIT6_EEPKT4_S3_PKS5_S9_S3_SB_S6_S9_S3_SB_S9_S3_PS5_21rocsparse_index_base_SD_SD_SD_bbb
		.amdhsa_group_segment_fixed_size 0
		.amdhsa_private_segment_fixed_size 0
		.amdhsa_kernarg_size 156
		.amdhsa_user_sgpr_count 2
		.amdhsa_user_sgpr_dispatch_ptr 0
		.amdhsa_user_sgpr_queue_ptr 0
		.amdhsa_user_sgpr_kernarg_segment_ptr 1
		.amdhsa_user_sgpr_dispatch_id 0
		.amdhsa_user_sgpr_kernarg_preload_length 0
		.amdhsa_user_sgpr_kernarg_preload_offset 0
		.amdhsa_user_sgpr_private_segment_size 0
		.amdhsa_wavefront_size32 1
		.amdhsa_uses_dynamic_stack 0
		.amdhsa_enable_private_segment 0
		.amdhsa_system_sgpr_workgroup_id_x 1
		.amdhsa_system_sgpr_workgroup_id_y 0
		.amdhsa_system_sgpr_workgroup_id_z 0
		.amdhsa_system_sgpr_workgroup_info 0
		.amdhsa_system_vgpr_workitem_id 0
		.amdhsa_next_free_vgpr 22
		.amdhsa_next_free_sgpr 38
		.amdhsa_named_barrier_count 0
		.amdhsa_reserve_vcc 1
		.amdhsa_float_round_mode_32 0
		.amdhsa_float_round_mode_16_64 0
		.amdhsa_float_denorm_mode_32 3
		.amdhsa_float_denorm_mode_16_64 3
		.amdhsa_fp16_overflow 0
		.amdhsa_memory_ordered 1
		.amdhsa_forward_progress 1
		.amdhsa_inst_pref_size 28
		.amdhsa_round_robin_scheduling 0
		.amdhsa_exception_fp_ieee_invalid_op 0
		.amdhsa_exception_fp_denorm_src 0
		.amdhsa_exception_fp_ieee_div_zero 0
		.amdhsa_exception_fp_ieee_overflow 0
		.amdhsa_exception_fp_ieee_underflow 0
		.amdhsa_exception_fp_ieee_inexact 0
		.amdhsa_exception_int_div_zero 0
	.end_amdhsa_kernel
	.section	.text._ZN9rocsparseL41csrgemm_numeric_fill_block_per_row_kernelILj1024ELj32ELj2048ELj137ELj64EiidEEvT5_PKS1_S3_NS_24const_host_device_scalarIT6_EEPKT4_S3_PKS5_S9_S3_SB_S6_S9_S3_SB_S9_S3_PS5_21rocsparse_index_base_SD_SD_SD_bbb,"axG",@progbits,_ZN9rocsparseL41csrgemm_numeric_fill_block_per_row_kernelILj1024ELj32ELj2048ELj137ELj64EiidEEvT5_PKS1_S3_NS_24const_host_device_scalarIT6_EEPKT4_S3_PKS5_S9_S3_SB_S6_S9_S3_SB_S9_S3_PS5_21rocsparse_index_base_SD_SD_SD_bbb,comdat
.Lfunc_end29:
	.size	_ZN9rocsparseL41csrgemm_numeric_fill_block_per_row_kernelILj1024ELj32ELj2048ELj137ELj64EiidEEvT5_PKS1_S3_NS_24const_host_device_scalarIT6_EEPKT4_S3_PKS5_S9_S3_SB_S6_S9_S3_SB_S9_S3_PS5_21rocsparse_index_base_SD_SD_SD_bbb, .Lfunc_end29-_ZN9rocsparseL41csrgemm_numeric_fill_block_per_row_kernelILj1024ELj32ELj2048ELj137ELj64EiidEEvT5_PKS1_S3_NS_24const_host_device_scalarIT6_EEPKT4_S3_PKS5_S9_S3_SB_S6_S9_S3_SB_S9_S3_PS5_21rocsparse_index_base_SD_SD_SD_bbb
                                        ; -- End function
	.set _ZN9rocsparseL41csrgemm_numeric_fill_block_per_row_kernelILj1024ELj32ELj2048ELj137ELj64EiidEEvT5_PKS1_S3_NS_24const_host_device_scalarIT6_EEPKT4_S3_PKS5_S9_S3_SB_S6_S9_S3_SB_S9_S3_PS5_21rocsparse_index_base_SD_SD_SD_bbb.num_vgpr, 22
	.set _ZN9rocsparseL41csrgemm_numeric_fill_block_per_row_kernelILj1024ELj32ELj2048ELj137ELj64EiidEEvT5_PKS1_S3_NS_24const_host_device_scalarIT6_EEPKT4_S3_PKS5_S9_S3_SB_S6_S9_S3_SB_S9_S3_PS5_21rocsparse_index_base_SD_SD_SD_bbb.num_agpr, 0
	.set _ZN9rocsparseL41csrgemm_numeric_fill_block_per_row_kernelILj1024ELj32ELj2048ELj137ELj64EiidEEvT5_PKS1_S3_NS_24const_host_device_scalarIT6_EEPKT4_S3_PKS5_S9_S3_SB_S6_S9_S3_SB_S9_S3_PS5_21rocsparse_index_base_SD_SD_SD_bbb.numbered_sgpr, 38
	.set _ZN9rocsparseL41csrgemm_numeric_fill_block_per_row_kernelILj1024ELj32ELj2048ELj137ELj64EiidEEvT5_PKS1_S3_NS_24const_host_device_scalarIT6_EEPKT4_S3_PKS5_S9_S3_SB_S6_S9_S3_SB_S9_S3_PS5_21rocsparse_index_base_SD_SD_SD_bbb.num_named_barrier, 0
	.set _ZN9rocsparseL41csrgemm_numeric_fill_block_per_row_kernelILj1024ELj32ELj2048ELj137ELj64EiidEEvT5_PKS1_S3_NS_24const_host_device_scalarIT6_EEPKT4_S3_PKS5_S9_S3_SB_S6_S9_S3_SB_S9_S3_PS5_21rocsparse_index_base_SD_SD_SD_bbb.private_seg_size, 0
	.set _ZN9rocsparseL41csrgemm_numeric_fill_block_per_row_kernelILj1024ELj32ELj2048ELj137ELj64EiidEEvT5_PKS1_S3_NS_24const_host_device_scalarIT6_EEPKT4_S3_PKS5_S9_S3_SB_S6_S9_S3_SB_S9_S3_PS5_21rocsparse_index_base_SD_SD_SD_bbb.uses_vcc, 1
	.set _ZN9rocsparseL41csrgemm_numeric_fill_block_per_row_kernelILj1024ELj32ELj2048ELj137ELj64EiidEEvT5_PKS1_S3_NS_24const_host_device_scalarIT6_EEPKT4_S3_PKS5_S9_S3_SB_S6_S9_S3_SB_S9_S3_PS5_21rocsparse_index_base_SD_SD_SD_bbb.uses_flat_scratch, 0
	.set _ZN9rocsparseL41csrgemm_numeric_fill_block_per_row_kernelILj1024ELj32ELj2048ELj137ELj64EiidEEvT5_PKS1_S3_NS_24const_host_device_scalarIT6_EEPKT4_S3_PKS5_S9_S3_SB_S6_S9_S3_SB_S9_S3_PS5_21rocsparse_index_base_SD_SD_SD_bbb.has_dyn_sized_stack, 0
	.set _ZN9rocsparseL41csrgemm_numeric_fill_block_per_row_kernelILj1024ELj32ELj2048ELj137ELj64EiidEEvT5_PKS1_S3_NS_24const_host_device_scalarIT6_EEPKT4_S3_PKS5_S9_S3_SB_S6_S9_S3_SB_S9_S3_PS5_21rocsparse_index_base_SD_SD_SD_bbb.has_recursion, 0
	.set _ZN9rocsparseL41csrgemm_numeric_fill_block_per_row_kernelILj1024ELj32ELj2048ELj137ELj64EiidEEvT5_PKS1_S3_NS_24const_host_device_scalarIT6_EEPKT4_S3_PKS5_S9_S3_SB_S6_S9_S3_SB_S9_S3_PS5_21rocsparse_index_base_SD_SD_SD_bbb.has_indirect_call, 0
	.section	.AMDGPU.csdata,"",@progbits
; Kernel info:
; codeLenInByte = 3468
; TotalNumSgprs: 40
; NumVgprs: 22
; ScratchSize: 0
; MemoryBound: 0
; FloatMode: 240
; IeeeMode: 1
; LDSByteSize: 0 bytes/workgroup (compile time only)
; SGPRBlocks: 0
; VGPRBlocks: 1
; NumSGPRsForWavesPerEU: 40
; NumVGPRsForWavesPerEU: 22
; NamedBarCnt: 0
; Occupancy: 16
; WaveLimiterHint : 1
; COMPUTE_PGM_RSRC2:SCRATCH_EN: 0
; COMPUTE_PGM_RSRC2:USER_SGPR: 2
; COMPUTE_PGM_RSRC2:TRAP_HANDLER: 0
; COMPUTE_PGM_RSRC2:TGID_X_EN: 1
; COMPUTE_PGM_RSRC2:TGID_Y_EN: 0
; COMPUTE_PGM_RSRC2:TGID_Z_EN: 0
; COMPUTE_PGM_RSRC2:TIDIG_COMP_CNT: 0
	.section	.text._ZN9rocsparseL41csrgemm_numeric_fill_block_per_row_kernelILj1024ELj64ELj4096ELj137ELj32EiidEEvT5_PKS1_S3_NS_24const_host_device_scalarIT6_EEPKT4_S3_PKS5_S9_S3_SB_S6_S9_S3_SB_S9_S3_PS5_21rocsparse_index_base_SD_SD_SD_bbb,"axG",@progbits,_ZN9rocsparseL41csrgemm_numeric_fill_block_per_row_kernelILj1024ELj64ELj4096ELj137ELj32EiidEEvT5_PKS1_S3_NS_24const_host_device_scalarIT6_EEPKT4_S3_PKS5_S9_S3_SB_S6_S9_S3_SB_S9_S3_PS5_21rocsparse_index_base_SD_SD_SD_bbb,comdat
	.globl	_ZN9rocsparseL41csrgemm_numeric_fill_block_per_row_kernelILj1024ELj64ELj4096ELj137ELj32EiidEEvT5_PKS1_S3_NS_24const_host_device_scalarIT6_EEPKT4_S3_PKS5_S9_S3_SB_S6_S9_S3_SB_S9_S3_PS5_21rocsparse_index_base_SD_SD_SD_bbb ; -- Begin function _ZN9rocsparseL41csrgemm_numeric_fill_block_per_row_kernelILj1024ELj64ELj4096ELj137ELj32EiidEEvT5_PKS1_S3_NS_24const_host_device_scalarIT6_EEPKT4_S3_PKS5_S9_S3_SB_S6_S9_S3_SB_S9_S3_PS5_21rocsparse_index_base_SD_SD_SD_bbb
	.p2align	8
	.type	_ZN9rocsparseL41csrgemm_numeric_fill_block_per_row_kernelILj1024ELj64ELj4096ELj137ELj32EiidEEvT5_PKS1_S3_NS_24const_host_device_scalarIT6_EEPKT4_S3_PKS5_S9_S3_SB_S6_S9_S3_SB_S9_S3_PS5_21rocsparse_index_base_SD_SD_SD_bbb,@function
_ZN9rocsparseL41csrgemm_numeric_fill_block_per_row_kernelILj1024ELj64ELj4096ELj137ELj32EiidEEvT5_PKS1_S3_NS_24const_host_device_scalarIT6_EEPKT4_S3_PKS5_S9_S3_SB_S6_S9_S3_SB_S9_S3_PS5_21rocsparse_index_base_SD_SD_SD_bbb: ; @_ZN9rocsparseL41csrgemm_numeric_fill_block_per_row_kernelILj1024ELj64ELj4096ELj137ELj32EiidEEvT5_PKS1_S3_NS_24const_host_device_scalarIT6_EEPKT4_S3_PKS5_S9_S3_SB_S6_S9_S3_SB_S9_S3_PS5_21rocsparse_index_base_SD_SD_SD_bbb
; %bb.0:
	s_clause 0x3
	s_load_b32 s14, s[0:1], 0x98
	s_load_b64 s[2:3], s[0:1], 0x18
	s_load_b128 s[36:39], s[0:1], 0x88
	s_load_b64 s[12:13], s[0:1], 0x50
	s_wait_kmcnt 0x0
	s_bitcmp1_b32 s14, 0
	s_cselect_b32 s25, -1, 0
	s_bitcmp1_b32 s14, 16
	s_cselect_b32 s15, -1, 0
	s_xor_b32 s4, s25, -1
	s_delay_alu instid0(SALU_CYCLE_1)
	s_or_b32 s6, s15, s4
	s_and_b32 s4, s25, exec_lo
	s_cselect_b32 s5, s3, 0
	s_cselect_b32 s4, s2, 0
	s_and_b32 vcc_lo, exec_lo, s6
	v_mov_b64_e32 v[4:5], s[4:5]
	s_cbranch_vccnz .LBB30_2
; %bb.1:
	v_mov_b32_e32 v1, 0
	flat_load_b64 v[4:5], v1, s[2:3]
.LBB30_2:
	s_clause 0x4
	s_load_b64 s[34:35], s[0:1], 0x80
	s_load_b128 s[4:7], s[0:1], 0x60
	s_load_b128 s[8:11], s[0:1], 0x40
	;; [unrolled: 1-line block ×3, first 2 shown]
	s_load_b64 s[2:3], s[0:1], 0x28
	s_bitcmp1_b32 s14, 8
	s_cselect_b32 s24, -1, 0
	s_delay_alu instid0(SALU_CYCLE_1) | instskip(NEXT) | instid1(SALU_CYCLE_1)
	s_xor_b32 s14, s24, -1
	s_or_b32 s20, s15, s14
	s_and_b32 s14, s24, exec_lo
	s_cselect_b32 s15, s13, 0
	s_cselect_b32 s14, s12, 0
	s_and_b32 vcc_lo, exec_lo, s20
	v_mov_b64_e32 v[2:3], s[14:15]
	s_cbranch_vccnz .LBB30_4
; %bb.3:
	v_mov_b32_e32 v1, 0
	flat_load_b64 v[2:3], v1, s[12:13]
.LBB30_4:
	s_clause 0x4
	s_load_b32 s33, s[0:1], 0x0
	s_load_b64 s[22:23], s[0:1], 0x20
	s_load_b64 s[40:41], s[0:1], 0x70
	;; [unrolled: 1-line block ×3, first 2 shown]
	s_load_b128 s[12:15], s[0:1], 0x30
	v_lshl_add_u32 v1, v0, 2, 0
	v_lshlrev_b32_e32 v6, 3, v0
	v_or_b32_e32 v12, 0xfffffc00, v0
	s_wait_xcnt 0x0
	s_mov_b32 s0, 0
	v_mov_b32_e32 v8, v1
	v_add3_u32 v13, v6, 0, 0x4000
	v_mov_b64_e32 v[6:7], 0
	s_delay_alu instid0(VALU_DEP_2)
	v_dual_mov_b32 v9, v12 :: v_dual_mov_b32 v11, v13
	s_wait_kmcnt 0x0
	v_mov_b32_e32 v10, s33
.LBB30_5:                               ; =>This Inner Loop Header: Depth=1
	s_delay_alu instid0(VALU_DEP_2)
	v_add_nc_u32_e32 v9, 0x400, v9
	ds_store_b32 v8, v10
	ds_store_b64 v11, v[6:7]
	v_add_nc_u32_e32 v11, 0x2000, v11
	v_add_nc_u32_e32 v8, 0x1000, v8
	v_cmp_lt_u32_e32 vcc_lo, 0xbff, v9
	s_or_b32 s0, vcc_lo, s0
	s_delay_alu instid0(SALU_CYCLE_1)
	s_and_not1_b32 exec_lo, exec_lo, s0
	s_cbranch_execnz .LBB30_5
; %bb.6:
	s_or_b32 exec_lo, exec_lo, s0
	s_wait_loadcnt_dscnt 0x0
	s_barrier_signal -1
	s_barrier_wait -1
	s_load_b32 s0, s[16:17], 0x0
	s_bfe_u32 s1, ttmp6, 0x4000c
	s_wait_xcnt 0x0
	s_and_b32 s16, ttmp6, 15
	s_add_co_i32 s1, s1, 1
	s_getreg_b32 s17, hwreg(HW_REG_IB_STS2, 6, 4)
	s_mul_i32 s1, ttmp9, s1
	s_delay_alu instid0(SALU_CYCLE_1)
	s_add_co_i32 s16, s16, s1
	s_cmp_eq_u32 s17, 0
	s_cselect_b32 s1, ttmp9, s16
	s_and_b32 vcc_lo, exec_lo, s25
	s_wait_kmcnt 0x0
	s_add_co_i32 s0, s0, s1
	s_load_b32 s42, s[18:19], s0 offset:0x0 scale_offset
	s_cbranch_vccz .LBB30_24
; %bb.7:
	s_wait_kmcnt 0x0
	s_ashr_i32 s43, s42, 31
	v_lshrrev_b32_e32 v6, 6, v0
	s_lshl_b64 s[0:1], s[42:43], 2
	s_delay_alu instid0(SALU_CYCLE_1) | instskip(NEXT) | instid1(VALU_DEP_1)
	s_add_nc_u64 s[0:1], s[22:23], s[0:1]
	v_subrev_nc_u32_e32 v6, s36, v6
	s_load_b64 s[16:17], s[0:1], 0x0
	s_wait_xcnt 0x0
	s_mov_b32 s1, exec_lo
	s_wait_kmcnt 0x0
	v_add_nc_u32_e32 v6, s16, v6
	s_sub_co_i32 s0, s17, s36
	s_delay_alu instid0(VALU_DEP_1) | instid1(SALU_CYCLE_1)
	v_cmpx_gt_i32_e64 s0, v6
	s_cbranch_execz .LBB30_23
; %bb.8:
	v_and_b32_e32 v7, 63, v0
	s_mov_b32 s16, 0
	s_delay_alu instid0(VALU_DEP_1)
	v_subrev_nc_u32_e32 v14, s37, v7
	s_branch .LBB30_10
.LBB30_9:                               ;   in Loop: Header=BB30_10 Depth=1
	s_or_b32 exec_lo, exec_lo, s17
	v_add_nc_u32_e32 v6, 16, v6
	s_delay_alu instid0(VALU_DEP_1) | instskip(SKIP_1) | instid1(SALU_CYCLE_1)
	v_cmp_le_i32_e32 vcc_lo, s0, v6
	s_or_b32 s16, vcc_lo, s16
	s_and_not1_b32 exec_lo, exec_lo, s16
	s_cbranch_execz .LBB30_23
.LBB30_10:                              ; =>This Loop Header: Depth=1
                                        ;     Child Loop BB30_14 Depth 2
                                        ;       Child Loop BB30_17 Depth 3
	global_load_b32 v7, v6, s[2:3] scale_offset
	s_mov_b32 s17, exec_lo
	s_wait_loadcnt 0x0
	v_subrev_nc_u32_e32 v8, s36, v7
	s_delay_alu instid0(VALU_DEP_1) | instskip(NEXT) | instid1(VALU_DEP_1)
	v_ashrrev_i32_e32 v9, 31, v8
	v_lshl_add_u64 v[8:9], v[8:9], 2, s[14:15]
	global_load_b64 v[8:9], v[8:9], off
	s_wait_loadcnt 0x0
	v_subrev_nc_u32_e32 v15, s37, v9
	v_add_nc_u32_e32 v16, v8, v14
	s_wait_xcnt 0x0
	s_delay_alu instid0(VALU_DEP_1)
	v_cmpx_lt_i32_e64 v16, v15
	s_cbranch_execz .LBB30_9
; %bb.11:                               ;   in Loop: Header=BB30_10 Depth=1
	v_ashrrev_i32_e32 v7, 31, v6
	s_mov_b32 s18, 0
	s_delay_alu instid0(VALU_DEP_1)
	v_lshl_add_u64 v[8:9], v[6:7], 3, s[12:13]
	global_load_b64 v[8:9], v[8:9], off
	s_wait_loadcnt 0x0
	s_wait_xcnt 0x0
	v_mul_f64_e32 v[8:9], v[4:5], v[8:9]
	s_branch .LBB30_14
.LBB30_12:                              ;   in Loop: Header=BB30_14 Depth=2
	s_or_b32 exec_lo, exec_lo, s22
.LBB30_13:                              ;   in Loop: Header=BB30_14 Depth=2
	s_delay_alu instid0(SALU_CYCLE_1) | instskip(SKIP_3) | instid1(VALU_DEP_2)
	s_or_b32 exec_lo, exec_lo, s19
	s_wait_loadcnt 0x0
	v_dual_mul_f64 v[10:11], v[8:9], v[10:11] :: v_dual_add_nc_u32 v16, 64, v16
	v_lshl_add_u32 v7, v7, 3, 0
	v_cmp_ge_i32_e32 vcc_lo, v16, v15
	s_or_b32 s18, vcc_lo, s18
	ds_add_f64 v7, v[10:11] offset:16384
	s_and_not1_b32 exec_lo, exec_lo, s18
	s_cbranch_execz .LBB30_9
.LBB30_14:                              ;   Parent Loop BB30_10 Depth=1
                                        ; =>  This Loop Header: Depth=2
                                        ;       Child Loop BB30_17 Depth 3
	s_clause 0x1
	global_load_b32 v7, v16, s[8:9] scale_offset
	global_load_b64 v[10:11], v16, s[10:11] scale_offset
	s_mov_b32 s19, exec_lo
	s_wait_loadcnt 0x1
	v_subrev_nc_u32_e32 v17, s37, v7
	s_delay_alu instid0(VALU_DEP_1) | instskip(NEXT) | instid1(VALU_DEP_1)
	v_mul_lo_u32 v7, 0x89, v17
	v_and_b32_e32 v7, 0xfff, v7
	s_delay_alu instid0(VALU_DEP_1)
	v_lshl_add_u32 v18, v7, 2, 0
	ds_load_b32 v19, v18
	s_wait_dscnt 0x0
	s_wait_xcnt 0x0
	v_cmpx_ne_u32_e64 v19, v17
	s_cbranch_execz .LBB30_13
; %bb.15:                               ;   in Loop: Header=BB30_14 Depth=2
	s_mov_b32 s22, 0
	s_branch .LBB30_17
.LBB30_16:                              ;   in Loop: Header=BB30_17 Depth=3
	s_or_b32 exec_lo, exec_lo, s26
	s_delay_alu instid0(SALU_CYCLE_1) | instskip(NEXT) | instid1(SALU_CYCLE_1)
	s_and_b32 s23, exec_lo, s25
	s_or_b32 s22, s23, s22
	s_delay_alu instid0(SALU_CYCLE_1)
	s_and_not1_b32 exec_lo, exec_lo, s22
	s_cbranch_execz .LBB30_12
.LBB30_17:                              ;   Parent Loop BB30_10 Depth=1
                                        ;     Parent Loop BB30_14 Depth=2
                                        ; =>    This Inner Loop Header: Depth=3
	s_mov_b32 s23, 0
	s_mov_b32 s25, exec_lo
	v_cmpx_ne_u32_e64 s33, v19
	s_xor_b32 s25, exec_lo, s25
	s_cbranch_execz .LBB30_19
; %bb.18:                               ;   in Loop: Header=BB30_17 Depth=3
	v_add_nc_u32_e32 v7, 1, v7
	s_mov_b32 s23, exec_lo
                                        ; implicit-def: $vgpr18
	s_delay_alu instid0(VALU_DEP_1)
	v_and_b32_e32 v7, 0xfff, v7
	s_and_not1_saveexec_b32 s25, s25
	s_cbranch_execz .LBB30_21
	s_branch .LBB30_20
.LBB30_19:                              ;   in Loop: Header=BB30_17 Depth=3
	s_and_not1_saveexec_b32 s25, s25
	s_cbranch_execz .LBB30_21
.LBB30_20:                              ;   in Loop: Header=BB30_17 Depth=3
	v_mov_b32_e32 v19, s33
	s_and_not1_b32 s23, s23, exec_lo
	ds_cmpstore_rtn_b32 v18, v18, v17, v19
	s_wait_dscnt 0x0
	v_cmp_ne_u32_e32 vcc_lo, s33, v18
	s_and_b32 s26, vcc_lo, exec_lo
	s_delay_alu instid0(SALU_CYCLE_1)
	s_or_b32 s23, s23, s26
.LBB30_21:                              ;   in Loop: Header=BB30_17 Depth=3
	s_or_b32 exec_lo, exec_lo, s25
	s_mov_b32 s25, -1
                                        ; implicit-def: $vgpr18
                                        ; implicit-def: $vgpr19
	s_and_saveexec_b32 s26, s23
	s_cbranch_execz .LBB30_16
; %bb.22:                               ;   in Loop: Header=BB30_17 Depth=3
	v_lshl_add_u32 v18, v7, 2, 0
	ds_load_b32 v19, v18
	s_wait_dscnt 0x0
	v_cmp_eq_u32_e32 vcc_lo, v19, v17
	s_or_not1_b32 s25, vcc_lo, exec_lo
	s_branch .LBB30_16
.LBB30_23:
	s_or_b32 exec_lo, exec_lo, s1
.LBB30_24:
	s_delay_alu instid0(SALU_CYCLE_1)
	s_and_not1_b32 vcc_lo, exec_lo, s24
	s_cbranch_vccnz .LBB30_39
; %bb.25:
	s_wait_kmcnt 0x0
	s_ashr_i32 s43, s42, 31
	v_subrev_nc_u32_e32 v4, s39, v0
	s_lshl_b64 s[0:1], s[42:43], 2
	s_delay_alu instid0(SALU_CYCLE_1)
	s_add_nc_u64 s[0:1], s[20:21], s[0:1]
	s_load_b64 s[2:3], s[0:1], 0x0
	s_wait_xcnt 0x0
	s_mov_b32 s1, exec_lo
	s_wait_kmcnt 0x0
	v_add_nc_u32_e32 v6, s2, v4
	s_sub_co_i32 s0, s3, s39
	s_delay_alu instid0(VALU_DEP_1) | instid1(SALU_CYCLE_1)
	v_cmpx_gt_i32_e64 s0, v6
	s_cbranch_execz .LBB30_38
; %bb.26:
	s_mov_b32 s2, 0
	s_branch .LBB30_29
.LBB30_27:                              ;   in Loop: Header=BB30_29 Depth=1
	s_or_b32 exec_lo, exec_lo, s8
.LBB30_28:                              ;   in Loop: Header=BB30_29 Depth=1
	s_delay_alu instid0(SALU_CYCLE_1) | instskip(SKIP_4) | instid1(VALU_DEP_1)
	s_or_b32 exec_lo, exec_lo, s3
	s_wait_loadcnt 0x0
	v_mul_f64_e32 v[4:5], v[2:3], v[4:5]
	v_lshl_add_u32 v7, v7, 3, 0
	v_add_nc_u32_e32 v6, 0x400, v6
	v_cmp_le_i32_e32 vcc_lo, s0, v6
	s_or_b32 s2, vcc_lo, s2
	ds_add_f64 v7, v[4:5] offset:16384
	s_and_not1_b32 exec_lo, exec_lo, s2
	s_cbranch_execz .LBB30_38
.LBB30_29:                              ; =>This Loop Header: Depth=1
                                        ;     Child Loop BB30_32 Depth 2
	s_clause 0x1
	global_load_b32 v7, v6, s[4:5] scale_offset
	global_load_b64 v[4:5], v6, s[6:7] scale_offset
	s_mov_b32 s3, exec_lo
	s_wait_loadcnt 0x1
	v_subrev_nc_u32_e32 v8, s39, v7
	s_delay_alu instid0(VALU_DEP_1) | instskip(NEXT) | instid1(VALU_DEP_1)
	v_mul_lo_u32 v7, 0x89, v8
	v_and_b32_e32 v7, 0xfff, v7
	s_delay_alu instid0(VALU_DEP_1)
	v_lshl_add_u32 v9, v7, 2, 0
	ds_load_b32 v10, v9
	s_wait_dscnt 0x0
	s_wait_xcnt 0x0
	v_cmpx_ne_u32_e64 v10, v8
	s_cbranch_execz .LBB30_28
; %bb.30:                               ;   in Loop: Header=BB30_29 Depth=1
	s_mov_b32 s8, 0
	s_branch .LBB30_32
.LBB30_31:                              ;   in Loop: Header=BB30_32 Depth=2
	s_or_b32 exec_lo, exec_lo, s11
	s_delay_alu instid0(SALU_CYCLE_1) | instskip(NEXT) | instid1(SALU_CYCLE_1)
	s_and_b32 s9, exec_lo, s10
	s_or_b32 s8, s9, s8
	s_delay_alu instid0(SALU_CYCLE_1)
	s_and_not1_b32 exec_lo, exec_lo, s8
	s_cbranch_execz .LBB30_27
.LBB30_32:                              ;   Parent Loop BB30_29 Depth=1
                                        ; =>  This Inner Loop Header: Depth=2
	s_mov_b32 s9, 0
	s_mov_b32 s10, exec_lo
	v_cmpx_ne_u32_e64 s33, v10
	s_xor_b32 s10, exec_lo, s10
	s_cbranch_execz .LBB30_34
; %bb.33:                               ;   in Loop: Header=BB30_32 Depth=2
	v_add_nc_u32_e32 v7, 1, v7
	s_mov_b32 s9, exec_lo
                                        ; implicit-def: $vgpr9
	s_delay_alu instid0(VALU_DEP_1)
	v_and_b32_e32 v7, 0xfff, v7
	s_and_not1_saveexec_b32 s10, s10
	s_cbranch_execz .LBB30_36
	s_branch .LBB30_35
.LBB30_34:                              ;   in Loop: Header=BB30_32 Depth=2
	s_and_not1_saveexec_b32 s10, s10
	s_cbranch_execz .LBB30_36
.LBB30_35:                              ;   in Loop: Header=BB30_32 Depth=2
	v_mov_b32_e32 v10, s33
	s_and_not1_b32 s9, s9, exec_lo
	ds_cmpstore_rtn_b32 v9, v9, v8, v10
	s_wait_dscnt 0x0
	v_cmp_ne_u32_e32 vcc_lo, s33, v9
	s_and_b32 s11, vcc_lo, exec_lo
	s_delay_alu instid0(SALU_CYCLE_1)
	s_or_b32 s9, s9, s11
.LBB30_36:                              ;   in Loop: Header=BB30_32 Depth=2
	s_or_b32 exec_lo, exec_lo, s10
	s_mov_b32 s10, -1
                                        ; implicit-def: $vgpr9
                                        ; implicit-def: $vgpr10
	s_and_saveexec_b32 s11, s9
	s_cbranch_execz .LBB30_31
; %bb.37:                               ;   in Loop: Header=BB30_32 Depth=2
	v_lshl_add_u32 v9, v7, 2, 0
	ds_load_b32 v10, v9
	s_wait_dscnt 0x0
	v_cmp_eq_u32_e32 vcc_lo, v10, v8
	s_or_not1_b32 s10, vcc_lo, exec_lo
	s_branch .LBB30_31
.LBB30_38:
	s_or_b32 exec_lo, exec_lo, s1
.LBB30_39:
	v_mbcnt_lo_u32_b32 v2, -1, 0
	v_dual_mov_b32 v3, 0 :: v_dual_lshrrev_b32 v4, 3, v0
	s_wait_xcnt 0x0
	v_cmp_lt_u32_e64 s0, 31, v0
	v_cmp_lt_u32_e64 s1, 63, v0
	v_cmp_lt_u32_e64 s2, 0x5f, v0
	v_and_b32_e32 v4, 0x7c, v4
	v_xor_b32_e32 v2, 31, v2
	v_cmp_lt_u32_e64 s3, 0x7f, v0
	v_cmp_lt_u32_e64 s4, 0x9f, v0
	;; [unrolled: 1-line block ×3, first 2 shown]
	v_add_nc_u32_e32 v6, 0, v4
	v_lshrrev_b32_e64 v2, v2, -1
	v_cmp_lt_u32_e64 s6, 0xdf, v0
	v_cmp_lt_u32_e64 s7, 0xff, v0
	;; [unrolled: 1-line block ×25, first 2 shown]
	v_mov_b32_e32 v7, 0
	s_mov_b32 s36, 0
	s_wait_dscnt 0x0
	v_cmp_eq_u32_e32 vcc_lo, 0x3ff, v0
	s_barrier_signal -1
	s_barrier_wait -1
	s_branch .LBB30_41
.LBB30_40:                              ;   in Loop: Header=BB30_41 Depth=1
	s_or_b32 exec_lo, exec_lo, s31
	s_wait_dscnt 0x0
	s_barrier_signal -1
	s_barrier_wait -1
	ds_load_b32 v4, v3 offset:49276
	v_add_nc_u32_e32 v12, 0x400, v12
	v_add_nc_u32_e32 v13, 0x2000, v13
	;; [unrolled: 1-line block ×3, first 2 shown]
	s_delay_alu instid0(VALU_DEP_3)
	v_cmp_lt_u32_e64 s31, 0xbff, v12
	s_or_b32 s36, s31, s36
	s_wait_dscnt 0x0
	v_add_nc_u32_e32 v7, v4, v7
	s_and_not1_b32 exec_lo, exec_lo, s36
	s_cbranch_execz .LBB30_107
.LBB30_41:                              ; =>This Inner Loop Header: Depth=1
	ds_load_b32 v8, v1
	ds_load_b64 v[4:5], v13
	s_wait_dscnt 0x0
	s_barrier_signal -1
	s_barrier_wait -1
	v_cmp_gt_i32_e64 s31, s33, v8
	s_bcnt1_i32_b32 s37, s31
	s_delay_alu instid0(SALU_CYCLE_1) | instskip(NEXT) | instid1(VALU_DEP_1)
	v_dual_mov_b32 v10, s37 :: v_dual_bitop2_b32 v9, s31, v2 bitop3:0x40
	v_bcnt_u32_b32 v9, v9, 0
	ds_store_b32 v6, v10 offset:49152
	s_wait_dscnt 0x0
	s_barrier_signal -1
	s_barrier_wait -1
	s_and_saveexec_b32 s37, s0
	s_cbranch_execz .LBB30_74
; %bb.42:                               ;   in Loop: Header=BB30_41 Depth=1
	ds_load_b32 v10, v3 offset:49152
	s_wait_dscnt 0x0
	v_add_nc_u32_e32 v9, v10, v9
	s_or_b32 exec_lo, exec_lo, s37
	s_and_saveexec_b32 s37, s1
	s_cbranch_execnz .LBB30_75
.LBB30_43:                              ;   in Loop: Header=BB30_41 Depth=1
	s_or_b32 exec_lo, exec_lo, s37
	s_and_saveexec_b32 s37, s2
	s_cbranch_execz .LBB30_76
.LBB30_44:                              ;   in Loop: Header=BB30_41 Depth=1
	ds_load_b32 v10, v3 offset:49160
	s_wait_dscnt 0x0
	v_add_nc_u32_e32 v9, v10, v9
	s_or_b32 exec_lo, exec_lo, s37
	s_and_saveexec_b32 s37, s3
	s_cbranch_execnz .LBB30_77
.LBB30_45:                              ;   in Loop: Header=BB30_41 Depth=1
	s_or_b32 exec_lo, exec_lo, s37
	s_and_saveexec_b32 s37, s4
	s_cbranch_execz .LBB30_78
.LBB30_46:                              ;   in Loop: Header=BB30_41 Depth=1
	ds_load_b32 v10, v3 offset:49168
	s_wait_dscnt 0x0
	v_add_nc_u32_e32 v9, v10, v9
	s_or_b32 exec_lo, exec_lo, s37
	s_and_saveexec_b32 s37, s5
	s_cbranch_execnz .LBB30_79
.LBB30_47:                              ;   in Loop: Header=BB30_41 Depth=1
	s_or_b32 exec_lo, exec_lo, s37
	s_and_saveexec_b32 s37, s6
	s_cbranch_execz .LBB30_80
.LBB30_48:                              ;   in Loop: Header=BB30_41 Depth=1
	ds_load_b32 v10, v3 offset:49176
	s_wait_dscnt 0x0
	v_add_nc_u32_e32 v9, v10, v9
	s_or_b32 exec_lo, exec_lo, s37
	s_and_saveexec_b32 s37, s7
	s_cbranch_execnz .LBB30_81
.LBB30_49:                              ;   in Loop: Header=BB30_41 Depth=1
	s_or_b32 exec_lo, exec_lo, s37
	s_and_saveexec_b32 s37, s8
	s_cbranch_execz .LBB30_82
.LBB30_50:                              ;   in Loop: Header=BB30_41 Depth=1
	ds_load_b32 v10, v3 offset:49184
	s_wait_dscnt 0x0
	v_add_nc_u32_e32 v9, v10, v9
	s_or_b32 exec_lo, exec_lo, s37
	s_and_saveexec_b32 s37, s9
	s_cbranch_execnz .LBB30_83
.LBB30_51:                              ;   in Loop: Header=BB30_41 Depth=1
	s_or_b32 exec_lo, exec_lo, s37
	s_and_saveexec_b32 s37, s10
	s_cbranch_execz .LBB30_84
.LBB30_52:                              ;   in Loop: Header=BB30_41 Depth=1
	ds_load_b32 v10, v3 offset:49192
	s_wait_dscnt 0x0
	v_add_nc_u32_e32 v9, v10, v9
	s_or_b32 exec_lo, exec_lo, s37
	s_and_saveexec_b32 s37, s11
	s_cbranch_execnz .LBB30_85
.LBB30_53:                              ;   in Loop: Header=BB30_41 Depth=1
	s_or_b32 exec_lo, exec_lo, s37
	s_and_saveexec_b32 s37, s12
	s_cbranch_execz .LBB30_86
.LBB30_54:                              ;   in Loop: Header=BB30_41 Depth=1
	ds_load_b32 v10, v3 offset:49200
	s_wait_dscnt 0x0
	v_add_nc_u32_e32 v9, v10, v9
	s_or_b32 exec_lo, exec_lo, s37
	s_and_saveexec_b32 s37, s13
	s_cbranch_execnz .LBB30_87
.LBB30_55:                              ;   in Loop: Header=BB30_41 Depth=1
	s_or_b32 exec_lo, exec_lo, s37
	s_and_saveexec_b32 s37, s14
	s_cbranch_execz .LBB30_88
.LBB30_56:                              ;   in Loop: Header=BB30_41 Depth=1
	ds_load_b32 v10, v3 offset:49208
	s_wait_dscnt 0x0
	v_add_nc_u32_e32 v9, v10, v9
	s_or_b32 exec_lo, exec_lo, s37
	s_and_saveexec_b32 s37, s15
	s_cbranch_execnz .LBB30_89
.LBB30_57:                              ;   in Loop: Header=BB30_41 Depth=1
	s_or_b32 exec_lo, exec_lo, s37
	s_and_saveexec_b32 s37, s16
	s_cbranch_execz .LBB30_90
.LBB30_58:                              ;   in Loop: Header=BB30_41 Depth=1
	ds_load_b32 v10, v3 offset:49216
	s_wait_dscnt 0x0
	v_add_nc_u32_e32 v9, v10, v9
	s_or_b32 exec_lo, exec_lo, s37
	s_and_saveexec_b32 s37, s17
	s_cbranch_execnz .LBB30_91
.LBB30_59:                              ;   in Loop: Header=BB30_41 Depth=1
	s_or_b32 exec_lo, exec_lo, s37
	s_and_saveexec_b32 s37, s18
	s_cbranch_execz .LBB30_92
.LBB30_60:                              ;   in Loop: Header=BB30_41 Depth=1
	ds_load_b32 v10, v3 offset:49224
	s_wait_dscnt 0x0
	v_add_nc_u32_e32 v9, v10, v9
	s_or_b32 exec_lo, exec_lo, s37
	s_and_saveexec_b32 s37, s19
	s_cbranch_execnz .LBB30_93
.LBB30_61:                              ;   in Loop: Header=BB30_41 Depth=1
	s_or_b32 exec_lo, exec_lo, s37
	s_and_saveexec_b32 s37, s20
	s_cbranch_execz .LBB30_94
.LBB30_62:                              ;   in Loop: Header=BB30_41 Depth=1
	ds_load_b32 v10, v3 offset:49232
	s_wait_dscnt 0x0
	v_add_nc_u32_e32 v9, v10, v9
	s_or_b32 exec_lo, exec_lo, s37
	s_and_saveexec_b32 s37, s21
	s_cbranch_execnz .LBB30_95
.LBB30_63:                              ;   in Loop: Header=BB30_41 Depth=1
	s_or_b32 exec_lo, exec_lo, s37
	s_and_saveexec_b32 s37, s22
	s_cbranch_execz .LBB30_96
.LBB30_64:                              ;   in Loop: Header=BB30_41 Depth=1
	ds_load_b32 v10, v3 offset:49240
	s_wait_dscnt 0x0
	v_add_nc_u32_e32 v9, v10, v9
	s_or_b32 exec_lo, exec_lo, s37
	s_and_saveexec_b32 s37, s23
	s_cbranch_execnz .LBB30_97
.LBB30_65:                              ;   in Loop: Header=BB30_41 Depth=1
	s_or_b32 exec_lo, exec_lo, s37
	s_and_saveexec_b32 s37, s24
	s_cbranch_execz .LBB30_98
.LBB30_66:                              ;   in Loop: Header=BB30_41 Depth=1
	ds_load_b32 v10, v3 offset:49248
	s_wait_dscnt 0x0
	v_add_nc_u32_e32 v9, v10, v9
	s_or_b32 exec_lo, exec_lo, s37
	s_and_saveexec_b32 s37, s25
	s_cbranch_execnz .LBB30_99
.LBB30_67:                              ;   in Loop: Header=BB30_41 Depth=1
	s_or_b32 exec_lo, exec_lo, s37
	s_and_saveexec_b32 s37, s26
	s_cbranch_execz .LBB30_100
.LBB30_68:                              ;   in Loop: Header=BB30_41 Depth=1
	ds_load_b32 v10, v3 offset:49256
	s_wait_dscnt 0x0
	v_add_nc_u32_e32 v9, v10, v9
	s_or_b32 exec_lo, exec_lo, s37
	s_and_saveexec_b32 s37, s27
	s_cbranch_execnz .LBB30_101
.LBB30_69:                              ;   in Loop: Header=BB30_41 Depth=1
	s_or_b32 exec_lo, exec_lo, s37
	s_and_saveexec_b32 s37, s28
	s_cbranch_execz .LBB30_102
.LBB30_70:                              ;   in Loop: Header=BB30_41 Depth=1
	ds_load_b32 v10, v3 offset:49264
	s_wait_dscnt 0x0
	v_add_nc_u32_e32 v9, v10, v9
	s_or_b32 exec_lo, exec_lo, s37
	s_and_saveexec_b32 s37, s29
	s_cbranch_execnz .LBB30_103
.LBB30_71:                              ;   in Loop: Header=BB30_41 Depth=1
	s_or_b32 exec_lo, exec_lo, s37
	s_and_saveexec_b32 s37, s30
	s_cbranch_execz .LBB30_104
.LBB30_72:                              ;   in Loop: Header=BB30_41 Depth=1
	ds_load_b32 v10, v3 offset:49272
	s_wait_dscnt 0x0
	v_add_nc_u32_e32 v9, v10, v9
	s_or_b32 exec_lo, exec_lo, s37
	s_and_saveexec_b32 s37, s31
	s_cbranch_execnz .LBB30_105
.LBB30_73:                              ;   in Loop: Header=BB30_41 Depth=1
	s_or_b32 exec_lo, exec_lo, s37
	s_and_saveexec_b32 s31, vcc_lo
	s_cbranch_execz .LBB30_40
	s_branch .LBB30_106
.LBB30_74:                              ;   in Loop: Header=BB30_41 Depth=1
	s_or_b32 exec_lo, exec_lo, s37
	s_and_saveexec_b32 s37, s1
	s_cbranch_execz .LBB30_43
.LBB30_75:                              ;   in Loop: Header=BB30_41 Depth=1
	ds_load_b32 v10, v3 offset:49156
	s_wait_dscnt 0x0
	v_add_nc_u32_e32 v9, v10, v9
	s_or_b32 exec_lo, exec_lo, s37
	s_and_saveexec_b32 s37, s2
	s_cbranch_execnz .LBB30_44
.LBB30_76:                              ;   in Loop: Header=BB30_41 Depth=1
	s_or_b32 exec_lo, exec_lo, s37
	s_and_saveexec_b32 s37, s3
	s_cbranch_execz .LBB30_45
.LBB30_77:                              ;   in Loop: Header=BB30_41 Depth=1
	ds_load_b32 v10, v3 offset:49164
	s_wait_dscnt 0x0
	v_add_nc_u32_e32 v9, v10, v9
	s_or_b32 exec_lo, exec_lo, s37
	s_and_saveexec_b32 s37, s4
	s_cbranch_execnz .LBB30_46
.LBB30_78:                              ;   in Loop: Header=BB30_41 Depth=1
	s_or_b32 exec_lo, exec_lo, s37
	s_and_saveexec_b32 s37, s5
	s_cbranch_execz .LBB30_47
.LBB30_79:                              ;   in Loop: Header=BB30_41 Depth=1
	ds_load_b32 v10, v3 offset:49172
	s_wait_dscnt 0x0
	v_add_nc_u32_e32 v9, v10, v9
	s_or_b32 exec_lo, exec_lo, s37
	s_and_saveexec_b32 s37, s6
	s_cbranch_execnz .LBB30_48
.LBB30_80:                              ;   in Loop: Header=BB30_41 Depth=1
	s_or_b32 exec_lo, exec_lo, s37
	s_and_saveexec_b32 s37, s7
	s_cbranch_execz .LBB30_49
.LBB30_81:                              ;   in Loop: Header=BB30_41 Depth=1
	ds_load_b32 v10, v3 offset:49180
	s_wait_dscnt 0x0
	v_add_nc_u32_e32 v9, v10, v9
	s_or_b32 exec_lo, exec_lo, s37
	s_and_saveexec_b32 s37, s8
	s_cbranch_execnz .LBB30_50
.LBB30_82:                              ;   in Loop: Header=BB30_41 Depth=1
	s_or_b32 exec_lo, exec_lo, s37
	s_and_saveexec_b32 s37, s9
	s_cbranch_execz .LBB30_51
.LBB30_83:                              ;   in Loop: Header=BB30_41 Depth=1
	ds_load_b32 v10, v3 offset:49188
	s_wait_dscnt 0x0
	v_add_nc_u32_e32 v9, v10, v9
	s_or_b32 exec_lo, exec_lo, s37
	s_and_saveexec_b32 s37, s10
	s_cbranch_execnz .LBB30_52
.LBB30_84:                              ;   in Loop: Header=BB30_41 Depth=1
	s_or_b32 exec_lo, exec_lo, s37
	s_and_saveexec_b32 s37, s11
	s_cbranch_execz .LBB30_53
.LBB30_85:                              ;   in Loop: Header=BB30_41 Depth=1
	ds_load_b32 v10, v3 offset:49196
	s_wait_dscnt 0x0
	v_add_nc_u32_e32 v9, v10, v9
	s_or_b32 exec_lo, exec_lo, s37
	s_and_saveexec_b32 s37, s12
	s_cbranch_execnz .LBB30_54
.LBB30_86:                              ;   in Loop: Header=BB30_41 Depth=1
	s_or_b32 exec_lo, exec_lo, s37
	s_and_saveexec_b32 s37, s13
	s_cbranch_execz .LBB30_55
.LBB30_87:                              ;   in Loop: Header=BB30_41 Depth=1
	ds_load_b32 v10, v3 offset:49204
	s_wait_dscnt 0x0
	v_add_nc_u32_e32 v9, v10, v9
	s_or_b32 exec_lo, exec_lo, s37
	s_and_saveexec_b32 s37, s14
	s_cbranch_execnz .LBB30_56
.LBB30_88:                              ;   in Loop: Header=BB30_41 Depth=1
	s_or_b32 exec_lo, exec_lo, s37
	s_and_saveexec_b32 s37, s15
	s_cbranch_execz .LBB30_57
.LBB30_89:                              ;   in Loop: Header=BB30_41 Depth=1
	ds_load_b32 v10, v3 offset:49212
	s_wait_dscnt 0x0
	v_add_nc_u32_e32 v9, v10, v9
	s_or_b32 exec_lo, exec_lo, s37
	s_and_saveexec_b32 s37, s16
	s_cbranch_execnz .LBB30_58
.LBB30_90:                              ;   in Loop: Header=BB30_41 Depth=1
	s_or_b32 exec_lo, exec_lo, s37
	s_and_saveexec_b32 s37, s17
	s_cbranch_execz .LBB30_59
.LBB30_91:                              ;   in Loop: Header=BB30_41 Depth=1
	ds_load_b32 v10, v3 offset:49220
	s_wait_dscnt 0x0
	v_add_nc_u32_e32 v9, v10, v9
	s_or_b32 exec_lo, exec_lo, s37
	s_and_saveexec_b32 s37, s18
	s_cbranch_execnz .LBB30_60
.LBB30_92:                              ;   in Loop: Header=BB30_41 Depth=1
	s_or_b32 exec_lo, exec_lo, s37
	s_and_saveexec_b32 s37, s19
	s_cbranch_execz .LBB30_61
.LBB30_93:                              ;   in Loop: Header=BB30_41 Depth=1
	ds_load_b32 v10, v3 offset:49228
	s_wait_dscnt 0x0
	v_add_nc_u32_e32 v9, v10, v9
	s_or_b32 exec_lo, exec_lo, s37
	s_and_saveexec_b32 s37, s20
	s_cbranch_execnz .LBB30_62
.LBB30_94:                              ;   in Loop: Header=BB30_41 Depth=1
	s_or_b32 exec_lo, exec_lo, s37
	s_and_saveexec_b32 s37, s21
	s_cbranch_execz .LBB30_63
.LBB30_95:                              ;   in Loop: Header=BB30_41 Depth=1
	ds_load_b32 v10, v3 offset:49236
	s_wait_dscnt 0x0
	v_add_nc_u32_e32 v9, v10, v9
	s_or_b32 exec_lo, exec_lo, s37
	s_and_saveexec_b32 s37, s22
	s_cbranch_execnz .LBB30_64
.LBB30_96:                              ;   in Loop: Header=BB30_41 Depth=1
	s_or_b32 exec_lo, exec_lo, s37
	s_and_saveexec_b32 s37, s23
	s_cbranch_execz .LBB30_65
.LBB30_97:                              ;   in Loop: Header=BB30_41 Depth=1
	ds_load_b32 v10, v3 offset:49244
	s_wait_dscnt 0x0
	v_add_nc_u32_e32 v9, v10, v9
	s_or_b32 exec_lo, exec_lo, s37
	s_and_saveexec_b32 s37, s24
	s_cbranch_execnz .LBB30_66
.LBB30_98:                              ;   in Loop: Header=BB30_41 Depth=1
	s_or_b32 exec_lo, exec_lo, s37
	s_and_saveexec_b32 s37, s25
	s_cbranch_execz .LBB30_67
.LBB30_99:                              ;   in Loop: Header=BB30_41 Depth=1
	ds_load_b32 v10, v3 offset:49252
	s_wait_dscnt 0x0
	v_add_nc_u32_e32 v9, v10, v9
	s_or_b32 exec_lo, exec_lo, s37
	s_and_saveexec_b32 s37, s26
	s_cbranch_execnz .LBB30_68
.LBB30_100:                             ;   in Loop: Header=BB30_41 Depth=1
	s_or_b32 exec_lo, exec_lo, s37
	s_and_saveexec_b32 s37, s27
	s_cbranch_execz .LBB30_69
.LBB30_101:                             ;   in Loop: Header=BB30_41 Depth=1
	ds_load_b32 v10, v3 offset:49260
	s_wait_dscnt 0x0
	v_add_nc_u32_e32 v9, v10, v9
	s_or_b32 exec_lo, exec_lo, s37
	s_and_saveexec_b32 s37, s28
	s_cbranch_execnz .LBB30_70
.LBB30_102:                             ;   in Loop: Header=BB30_41 Depth=1
	s_or_b32 exec_lo, exec_lo, s37
	s_and_saveexec_b32 s37, s29
	s_cbranch_execz .LBB30_71
.LBB30_103:                             ;   in Loop: Header=BB30_41 Depth=1
	ds_load_b32 v10, v3 offset:49268
	s_wait_dscnt 0x0
	v_add_nc_u32_e32 v9, v10, v9
	s_or_b32 exec_lo, exec_lo, s37
	s_and_saveexec_b32 s37, s30
	s_cbranch_execnz .LBB30_72
.LBB30_104:                             ;   in Loop: Header=BB30_41 Depth=1
	s_or_b32 exec_lo, exec_lo, s37
	s_and_saveexec_b32 s37, s31
	s_cbranch_execz .LBB30_73
.LBB30_105:                             ;   in Loop: Header=BB30_41 Depth=1
	s_delay_alu instid0(VALU_DEP_1) | instskip(SKIP_1) | instid1(VALU_DEP_2)
	v_add3_u32 v10, v7, -1, v9
	v_add_nc_u32_e32 v11, v7, v9
	v_lshl_add_u32 v10, v10, 2, 0
	s_delay_alu instid0(VALU_DEP_2)
	v_lshl_add_u32 v11, v11, 3, 0
	ds_store_b32 v10, v8
	ds_store_b64 v11, v[4:5] offset:16376
	s_or_b32 exec_lo, exec_lo, s37
	s_and_saveexec_b32 s31, vcc_lo
	s_cbranch_execz .LBB30_40
.LBB30_106:                             ;   in Loop: Header=BB30_41 Depth=1
	ds_store_b32 v3, v9 offset:49276
	s_branch .LBB30_40
.LBB30_107:
	s_or_b32 exec_lo, exec_lo, s36
	s_wait_kmcnt 0x0
	s_ashr_i32 s43, s42, 31
	s_delay_alu instid0(SALU_CYCLE_1) | instskip(NEXT) | instid1(SALU_CYCLE_1)
	s_lshl_b64 s[0:1], s[42:43], 2
	s_add_nc_u64 s[2:3], s[40:41], s[0:1]
	s_load_b64 s[0:1], s[2:3], 0x0
	s_wait_kmcnt 0x0
	s_sub_co_i32 s4, s1, s0
	s_mov_b32 s1, exec_lo
	v_cmpx_gt_i32_e64 s4, v0
	s_cbranch_execz .LBB30_121
; %bb.108:
	v_sub_co_u32 v1, s1, s4, 2
	s_sub_co_i32 s2, s0, s38
	s_xor_b32 s6, s1, -1
	s_and_b32 s5, s4, -2
	v_readfirstlane_b32 s3, v1
	s_lshr_b32 s0, s3, 1
	s_mov_b32 s3, 0
	s_add_co_i32 s0, s0, 1
	s_mov_b32 s11, s3
	s_and_b32 s1, s0, 7
	s_and_b32 s7, s0, -8
	s_cmp_lg_u32 s1, 0
	v_cmp_lt_u32_e64 s0, 13, v1
	s_cselect_b32 s8, -1, 0
	s_cmp_lg_u32 s4, s5
	s_cselect_b32 s9, -1, 0
	s_lshl_b32 s10, s1, 3
	s_branch .LBB30_110
.LBB30_109:                             ;   in Loop: Header=BB30_110 Depth=1
	v_add_nc_u32_e32 v0, 0x400, v0
	s_wait_dscnt 0x0
	global_store_b64 v4, v[2:3], s[34:35] scale_offset
	v_cmp_le_i32_e32 vcc_lo, s4, v0
	s_or_b32 s11, vcc_lo, s11
	s_wait_xcnt 0x0
	s_and_not1_b32 exec_lo, exec_lo, s11
	s_cbranch_execz .LBB30_121
.LBB30_110:                             ; =>This Loop Header: Depth=1
                                        ;     Child Loop BB30_113 Depth 2
                                        ;     Child Loop BB30_116 Depth 2
                                        ;     Child Loop BB30_120 Depth 2
	v_dual_mov_b32 v4, s2 :: v_dual_lshlrev_b32 v1, 2, v0
	s_and_not1_b32 vcc_lo, exec_lo, s6
	s_mov_b32 s1, 0
	s_mov_b32 s12, -1
	s_delay_alu instid0(VALU_DEP_1) | instskip(NEXT) | instid1(VALU_DEP_1)
	v_add_nc_u32_e32 v2, 0, v1
	v_add_nc_u32_e32 v3, v2, v1
	ds_load_b32 v1, v2
	ds_load_b64 v[2:3], v3 offset:16384
	s_cbranch_vccnz .LBB30_118
; %bb.111:                              ;   in Loop: Header=BB30_110 Depth=1
	v_mov_b64_e32 v[4:5], s[2:3]
	s_and_not1_b32 vcc_lo, exec_lo, s0
	s_mov_b32 s12, 0
	s_cbranch_vccnz .LBB30_114
; %bb.112:                              ;   in Loop: Header=BB30_110 Depth=1
	v_dual_mov_b32 v4, s2 :: v_dual_mov_b32 v5, 0
	s_mov_b32 s13, 0
	s_mov_b32 s14, s7
.LBB30_113:                             ;   Parent Loop BB30_110 Depth=1
                                        ; =>  This Inner Loop Header: Depth=2
	v_mov_b32_e32 v20, s13
	s_add_co_i32 s14, s14, -8
	s_add_co_i32 s12, s12, 16
	s_add_co_i32 s13, s13, 64
	s_cmp_lg_u32 s14, 0
	ds_load_2addr_b32 v[6:7], v20 offset1:1
	ds_load_2addr_b32 v[8:9], v20 offset0:2 offset1:3
	ds_load_2addr_b32 v[10:11], v20 offset0:4 offset1:5
	;; [unrolled: 1-line block ×7, first 2 shown]
	s_wait_dscnt 0x7
	v_cmp_gt_i32_e32 vcc_lo, v1, v7
	s_wait_dscnt 0x5
	v_cmp_gt_i32_e64 s1, v1, v10
	v_cndmask_b32_e64 v7, 0, 1, vcc_lo
	v_cmp_gt_i32_e32 vcc_lo, v1, v6
	v_cndmask_b32_e64 v6, 0, 1, vcc_lo
	v_cmp_gt_i32_e32 vcc_lo, v1, v8
	v_cndmask_b32_e64 v8, 0, 1, s1
	v_cmp_gt_i32_e64 s1, v1, v11
	s_delay_alu instid0(VALU_DEP_4) | instskip(NEXT) | instid1(VALU_DEP_2)
	v_add_co_ci_u32_e64 v4, null, v4, v6, vcc_lo
	v_cndmask_b32_e64 v10, 0, 1, s1
	s_wait_dscnt 0x4
	v_cmp_gt_i32_e64 s1, v1, v13
	s_wait_dscnt 0x2
	v_cmp_gt_i32_e32 vcc_lo, v1, v16
	s_delay_alu instid0(VALU_DEP_2) | instskip(SKIP_4) | instid1(VALU_DEP_3)
	v_cndmask_b32_e64 v11, 0, 1, s1
	v_cmp_gt_i32_e64 s1, v1, v12
	v_add_co_ci_u32_e64 v4, null, v4, v8, vcc_lo
	s_wait_dscnt 0x1
	v_cmp_gt_i32_e32 vcc_lo, v1, v18
	v_cndmask_b32_e64 v12, 0, 1, s1
	v_cmp_gt_i32_e64 s1, v1, v14
	s_delay_alu instid0(VALU_DEP_2) | instskip(NEXT) | instid1(VALU_DEP_2)
	v_add_co_ci_u32_e64 v4, null, v4, v12, vcc_lo
	v_cndmask_b32_e64 v13, 0, 1, s1
	v_cmp_gt_i32_e64 s1, v1, v15
	s_wait_dscnt 0x0
	v_cmp_gt_i32_e32 vcc_lo, v1, v20
	s_delay_alu instid0(VALU_DEP_2) | instskip(SKIP_2) | instid1(VALU_DEP_2)
	v_cndmask_b32_e64 v14, 0, 1, s1
	v_cmp_gt_i32_e64 s1, v1, v9
	v_add_co_ci_u32_e64 v4, null, v4, v13, vcc_lo
	v_add_co_ci_u32_e64 v5, null, v5, v7, s1
	v_cmp_gt_i32_e64 s1, v1, v17
	s_delay_alu instid0(VALU_DEP_1) | instskip(SKIP_1) | instid1(VALU_DEP_1)
	v_add_co_ci_u32_e64 v5, null, v5, v10, s1
	v_cmp_gt_i32_e64 s1, v1, v19
	v_add_co_ci_u32_e64 v5, null, v5, v11, s1
	v_cmp_gt_i32_e64 s1, v1, v21
	s_delay_alu instid0(VALU_DEP_1)
	v_add_co_ci_u32_e64 v5, null, v5, v14, s1
	s_cbranch_scc1 .LBB30_113
.LBB30_114:                             ;   in Loop: Header=BB30_110 Depth=1
	s_and_not1_b32 vcc_lo, exec_lo, s8
	s_cbranch_vccnz .LBB30_117
; %bb.115:                              ;   in Loop: Header=BB30_110 Depth=1
	s_lshl_b32 s1, s12, 2
	s_mov_b32 s12, s10
	s_add_co_i32 s1, s1, 0
.LBB30_116:                             ;   Parent Loop BB30_110 Depth=1
                                        ; =>  This Inner Loop Header: Depth=2
	s_delay_alu instid0(SALU_CYCLE_1)
	v_mov_b32_e32 v6, s1
	s_add_co_i32 s12, s12, -8
	s_add_co_i32 s1, s1, 8
	s_cmp_lg_u32 s12, 0
	ds_load_2addr_b32 v[6:7], v6 offset1:1
	s_wait_dscnt 0x0
	v_cmp_gt_i32_e32 vcc_lo, v1, v7
	v_add_co_ci_u32_e64 v5, null, 0, v5, vcc_lo
	v_cmp_gt_i32_e32 vcc_lo, v1, v6
	v_add_co_ci_u32_e64 v4, null, 0, v4, vcc_lo
	s_cbranch_scc1 .LBB30_116
.LBB30_117:                             ;   in Loop: Header=BB30_110 Depth=1
	s_delay_alu instid0(VALU_DEP_1)
	v_add_nc_u32_e32 v4, v4, v5
	s_mov_b32 s1, s5
	s_mov_b32 s12, s9
.LBB30_118:                             ;   in Loop: Header=BB30_110 Depth=1
	s_delay_alu instid0(SALU_CYCLE_1)
	s_and_b32 vcc_lo, exec_lo, s12
	s_cbranch_vccz .LBB30_109
; %bb.119:                              ;   in Loop: Header=BB30_110 Depth=1
	s_lshl_b32 s12, s1, 2
	s_delay_alu instid0(SALU_CYCLE_1)
	s_add_co_i32 s12, s12, 0
.LBB30_120:                             ;   Parent Loop BB30_110 Depth=1
                                        ; =>  This Inner Loop Header: Depth=2
	s_delay_alu instid0(SALU_CYCLE_1)
	v_mov_b32_e32 v5, s12
	s_add_co_i32 s1, s1, 1
	s_add_co_i32 s12, s12, 4
	s_cmp_ge_i32 s1, s4
	ds_load_b32 v5, v5
	s_wait_dscnt 0x0
	v_cmp_gt_i32_e32 vcc_lo, v1, v5
	v_add_co_ci_u32_e64 v4, null, 0, v4, vcc_lo
	s_cbranch_scc0 .LBB30_120
	s_branch .LBB30_109
.LBB30_121:
	s_endpgm
	.section	.rodata,"a",@progbits
	.p2align	6, 0x0
	.amdhsa_kernel _ZN9rocsparseL41csrgemm_numeric_fill_block_per_row_kernelILj1024ELj64ELj4096ELj137ELj32EiidEEvT5_PKS1_S3_NS_24const_host_device_scalarIT6_EEPKT4_S3_PKS5_S9_S3_SB_S6_S9_S3_SB_S9_S3_PS5_21rocsparse_index_base_SD_SD_SD_bbb
		.amdhsa_group_segment_fixed_size 0
		.amdhsa_private_segment_fixed_size 0
		.amdhsa_kernarg_size 156
		.amdhsa_user_sgpr_count 2
		.amdhsa_user_sgpr_dispatch_ptr 0
		.amdhsa_user_sgpr_queue_ptr 0
		.amdhsa_user_sgpr_kernarg_segment_ptr 1
		.amdhsa_user_sgpr_dispatch_id 0
		.amdhsa_user_sgpr_kernarg_preload_length 0
		.amdhsa_user_sgpr_kernarg_preload_offset 0
		.amdhsa_user_sgpr_private_segment_size 0
		.amdhsa_wavefront_size32 1
		.amdhsa_uses_dynamic_stack 0
		.amdhsa_enable_private_segment 0
		.amdhsa_system_sgpr_workgroup_id_x 1
		.amdhsa_system_sgpr_workgroup_id_y 0
		.amdhsa_system_sgpr_workgroup_id_z 0
		.amdhsa_system_sgpr_workgroup_info 0
		.amdhsa_system_vgpr_workitem_id 0
		.amdhsa_next_free_vgpr 22
		.amdhsa_next_free_sgpr 44
		.amdhsa_named_barrier_count 0
		.amdhsa_reserve_vcc 1
		.amdhsa_float_round_mode_32 0
		.amdhsa_float_round_mode_16_64 0
		.amdhsa_float_denorm_mode_32 3
		.amdhsa_float_denorm_mode_16_64 3
		.amdhsa_fp16_overflow 0
		.amdhsa_memory_ordered 1
		.amdhsa_forward_progress 1
		.amdhsa_inst_pref_size 34
		.amdhsa_round_robin_scheduling 0
		.amdhsa_exception_fp_ieee_invalid_op 0
		.amdhsa_exception_fp_denorm_src 0
		.amdhsa_exception_fp_ieee_div_zero 0
		.amdhsa_exception_fp_ieee_overflow 0
		.amdhsa_exception_fp_ieee_underflow 0
		.amdhsa_exception_fp_ieee_inexact 0
		.amdhsa_exception_int_div_zero 0
	.end_amdhsa_kernel
	.section	.text._ZN9rocsparseL41csrgemm_numeric_fill_block_per_row_kernelILj1024ELj64ELj4096ELj137ELj32EiidEEvT5_PKS1_S3_NS_24const_host_device_scalarIT6_EEPKT4_S3_PKS5_S9_S3_SB_S6_S9_S3_SB_S9_S3_PS5_21rocsparse_index_base_SD_SD_SD_bbb,"axG",@progbits,_ZN9rocsparseL41csrgemm_numeric_fill_block_per_row_kernelILj1024ELj64ELj4096ELj137ELj32EiidEEvT5_PKS1_S3_NS_24const_host_device_scalarIT6_EEPKT4_S3_PKS5_S9_S3_SB_S6_S9_S3_SB_S9_S3_PS5_21rocsparse_index_base_SD_SD_SD_bbb,comdat
.Lfunc_end30:
	.size	_ZN9rocsparseL41csrgemm_numeric_fill_block_per_row_kernelILj1024ELj64ELj4096ELj137ELj32EiidEEvT5_PKS1_S3_NS_24const_host_device_scalarIT6_EEPKT4_S3_PKS5_S9_S3_SB_S6_S9_S3_SB_S9_S3_PS5_21rocsparse_index_base_SD_SD_SD_bbb, .Lfunc_end30-_ZN9rocsparseL41csrgemm_numeric_fill_block_per_row_kernelILj1024ELj64ELj4096ELj137ELj32EiidEEvT5_PKS1_S3_NS_24const_host_device_scalarIT6_EEPKT4_S3_PKS5_S9_S3_SB_S6_S9_S3_SB_S9_S3_PS5_21rocsparse_index_base_SD_SD_SD_bbb
                                        ; -- End function
	.set _ZN9rocsparseL41csrgemm_numeric_fill_block_per_row_kernelILj1024ELj64ELj4096ELj137ELj32EiidEEvT5_PKS1_S3_NS_24const_host_device_scalarIT6_EEPKT4_S3_PKS5_S9_S3_SB_S6_S9_S3_SB_S9_S3_PS5_21rocsparse_index_base_SD_SD_SD_bbb.num_vgpr, 22
	.set _ZN9rocsparseL41csrgemm_numeric_fill_block_per_row_kernelILj1024ELj64ELj4096ELj137ELj32EiidEEvT5_PKS1_S3_NS_24const_host_device_scalarIT6_EEPKT4_S3_PKS5_S9_S3_SB_S6_S9_S3_SB_S9_S3_PS5_21rocsparse_index_base_SD_SD_SD_bbb.num_agpr, 0
	.set _ZN9rocsparseL41csrgemm_numeric_fill_block_per_row_kernelILj1024ELj64ELj4096ELj137ELj32EiidEEvT5_PKS1_S3_NS_24const_host_device_scalarIT6_EEPKT4_S3_PKS5_S9_S3_SB_S6_S9_S3_SB_S9_S3_PS5_21rocsparse_index_base_SD_SD_SD_bbb.numbered_sgpr, 44
	.set _ZN9rocsparseL41csrgemm_numeric_fill_block_per_row_kernelILj1024ELj64ELj4096ELj137ELj32EiidEEvT5_PKS1_S3_NS_24const_host_device_scalarIT6_EEPKT4_S3_PKS5_S9_S3_SB_S6_S9_S3_SB_S9_S3_PS5_21rocsparse_index_base_SD_SD_SD_bbb.num_named_barrier, 0
	.set _ZN9rocsparseL41csrgemm_numeric_fill_block_per_row_kernelILj1024ELj64ELj4096ELj137ELj32EiidEEvT5_PKS1_S3_NS_24const_host_device_scalarIT6_EEPKT4_S3_PKS5_S9_S3_SB_S6_S9_S3_SB_S9_S3_PS5_21rocsparse_index_base_SD_SD_SD_bbb.private_seg_size, 0
	.set _ZN9rocsparseL41csrgemm_numeric_fill_block_per_row_kernelILj1024ELj64ELj4096ELj137ELj32EiidEEvT5_PKS1_S3_NS_24const_host_device_scalarIT6_EEPKT4_S3_PKS5_S9_S3_SB_S6_S9_S3_SB_S9_S3_PS5_21rocsparse_index_base_SD_SD_SD_bbb.uses_vcc, 1
	.set _ZN9rocsparseL41csrgemm_numeric_fill_block_per_row_kernelILj1024ELj64ELj4096ELj137ELj32EiidEEvT5_PKS1_S3_NS_24const_host_device_scalarIT6_EEPKT4_S3_PKS5_S9_S3_SB_S6_S9_S3_SB_S9_S3_PS5_21rocsparse_index_base_SD_SD_SD_bbb.uses_flat_scratch, 0
	.set _ZN9rocsparseL41csrgemm_numeric_fill_block_per_row_kernelILj1024ELj64ELj4096ELj137ELj32EiidEEvT5_PKS1_S3_NS_24const_host_device_scalarIT6_EEPKT4_S3_PKS5_S9_S3_SB_S6_S9_S3_SB_S9_S3_PS5_21rocsparse_index_base_SD_SD_SD_bbb.has_dyn_sized_stack, 0
	.set _ZN9rocsparseL41csrgemm_numeric_fill_block_per_row_kernelILj1024ELj64ELj4096ELj137ELj32EiidEEvT5_PKS1_S3_NS_24const_host_device_scalarIT6_EEPKT4_S3_PKS5_S9_S3_SB_S6_S9_S3_SB_S9_S3_PS5_21rocsparse_index_base_SD_SD_SD_bbb.has_recursion, 0
	.set _ZN9rocsparseL41csrgemm_numeric_fill_block_per_row_kernelILj1024ELj64ELj4096ELj137ELj32EiidEEvT5_PKS1_S3_NS_24const_host_device_scalarIT6_EEPKT4_S3_PKS5_S9_S3_SB_S6_S9_S3_SB_S9_S3_PS5_21rocsparse_index_base_SD_SD_SD_bbb.has_indirect_call, 0
	.section	.AMDGPU.csdata,"",@progbits
; Kernel info:
; codeLenInByte = 4288
; TotalNumSgprs: 46
; NumVgprs: 22
; ScratchSize: 0
; MemoryBound: 0
; FloatMode: 240
; IeeeMode: 1
; LDSByteSize: 0 bytes/workgroup (compile time only)
; SGPRBlocks: 0
; VGPRBlocks: 1
; NumSGPRsForWavesPerEU: 46
; NumVGPRsForWavesPerEU: 22
; NamedBarCnt: 0
; Occupancy: 16
; WaveLimiterHint : 1
; COMPUTE_PGM_RSRC2:SCRATCH_EN: 0
; COMPUTE_PGM_RSRC2:USER_SGPR: 2
; COMPUTE_PGM_RSRC2:TRAP_HANDLER: 0
; COMPUTE_PGM_RSRC2:TGID_X_EN: 1
; COMPUTE_PGM_RSRC2:TGID_Y_EN: 0
; COMPUTE_PGM_RSRC2:TGID_Z_EN: 0
; COMPUTE_PGM_RSRC2:TIDIG_COMP_CNT: 0
	.section	.text._ZN9rocsparseL41csrgemm_numeric_fill_block_per_row_kernelILj1024ELj64ELj4096ELj137ELj64EiidEEvT5_PKS1_S3_NS_24const_host_device_scalarIT6_EEPKT4_S3_PKS5_S9_S3_SB_S6_S9_S3_SB_S9_S3_PS5_21rocsparse_index_base_SD_SD_SD_bbb,"axG",@progbits,_ZN9rocsparseL41csrgemm_numeric_fill_block_per_row_kernelILj1024ELj64ELj4096ELj137ELj64EiidEEvT5_PKS1_S3_NS_24const_host_device_scalarIT6_EEPKT4_S3_PKS5_S9_S3_SB_S6_S9_S3_SB_S9_S3_PS5_21rocsparse_index_base_SD_SD_SD_bbb,comdat
	.globl	_ZN9rocsparseL41csrgemm_numeric_fill_block_per_row_kernelILj1024ELj64ELj4096ELj137ELj64EiidEEvT5_PKS1_S3_NS_24const_host_device_scalarIT6_EEPKT4_S3_PKS5_S9_S3_SB_S6_S9_S3_SB_S9_S3_PS5_21rocsparse_index_base_SD_SD_SD_bbb ; -- Begin function _ZN9rocsparseL41csrgemm_numeric_fill_block_per_row_kernelILj1024ELj64ELj4096ELj137ELj64EiidEEvT5_PKS1_S3_NS_24const_host_device_scalarIT6_EEPKT4_S3_PKS5_S9_S3_SB_S6_S9_S3_SB_S9_S3_PS5_21rocsparse_index_base_SD_SD_SD_bbb
	.p2align	8
	.type	_ZN9rocsparseL41csrgemm_numeric_fill_block_per_row_kernelILj1024ELj64ELj4096ELj137ELj64EiidEEvT5_PKS1_S3_NS_24const_host_device_scalarIT6_EEPKT4_S3_PKS5_S9_S3_SB_S6_S9_S3_SB_S9_S3_PS5_21rocsparse_index_base_SD_SD_SD_bbb,@function
_ZN9rocsparseL41csrgemm_numeric_fill_block_per_row_kernelILj1024ELj64ELj4096ELj137ELj64EiidEEvT5_PKS1_S3_NS_24const_host_device_scalarIT6_EEPKT4_S3_PKS5_S9_S3_SB_S6_S9_S3_SB_S9_S3_PS5_21rocsparse_index_base_SD_SD_SD_bbb: ; @_ZN9rocsparseL41csrgemm_numeric_fill_block_per_row_kernelILj1024ELj64ELj4096ELj137ELj64EiidEEvT5_PKS1_S3_NS_24const_host_device_scalarIT6_EEPKT4_S3_PKS5_S9_S3_SB_S6_S9_S3_SB_S9_S3_PS5_21rocsparse_index_base_SD_SD_SD_bbb
; %bb.0:
	s_clause 0x3
	s_load_b32 s14, s[0:1], 0x98
	s_load_b64 s[2:3], s[0:1], 0x18
	s_load_b128 s[16:19], s[0:1], 0x88
	s_load_b64 s[12:13], s[0:1], 0x50
	s_wait_kmcnt 0x0
	s_bitcmp1_b32 s14, 0
	s_cselect_b32 s35, -1, 0
	s_bitcmp1_b32 s14, 16
	s_cselect_b32 s15, -1, 0
	s_xor_b32 s4, s35, -1
	s_delay_alu instid0(SALU_CYCLE_1)
	s_or_b32 s6, s15, s4
	s_and_b32 s4, s35, exec_lo
	s_cselect_b32 s5, s3, 0
	s_cselect_b32 s4, s2, 0
	s_and_b32 vcc_lo, exec_lo, s6
	v_mov_b64_e32 v[4:5], s[4:5]
	s_cbranch_vccnz .LBB31_2
; %bb.1:
	v_mov_b32_e32 v1, 0
	flat_load_b64 v[4:5], v1, s[2:3]
.LBB31_2:
	s_clause 0x4
	s_load_b64 s[24:25], s[0:1], 0x80
	s_load_b128 s[4:7], s[0:1], 0x60
	s_load_b128 s[8:11], s[0:1], 0x40
	;; [unrolled: 1-line block ×3, first 2 shown]
	s_load_b64 s[2:3], s[0:1], 0x28
	s_bitcmp1_b32 s14, 8
	s_cselect_b32 s34, -1, 0
	s_delay_alu instid0(SALU_CYCLE_1) | instskip(NEXT) | instid1(SALU_CYCLE_1)
	s_xor_b32 s14, s34, -1
	s_or_b32 s26, s15, s14
	s_and_b32 s14, s34, exec_lo
	s_cselect_b32 s15, s13, 0
	s_cselect_b32 s14, s12, 0
	s_and_b32 vcc_lo, exec_lo, s26
	v_mov_b64_e32 v[2:3], s[14:15]
	s_cbranch_vccnz .LBB31_4
; %bb.3:
	v_mov_b32_e32 v1, 0
	flat_load_b64 v[2:3], v1, s[12:13]
.LBB31_4:
	s_clause 0x4
	s_load_b32 s33, s[0:1], 0x0
	s_load_b64 s[30:31], s[0:1], 0x20
	s_load_b64 s[26:27], s[0:1], 0x70
	;; [unrolled: 1-line block ×3, first 2 shown]
	s_load_b128 s[12:15], s[0:1], 0x30
	v_lshl_add_u32 v1, v0, 2, 0
	v_lshlrev_b32_e32 v6, 3, v0
	v_or_b32_e32 v12, 0xfffffc00, v0
	s_wait_xcnt 0x0
	s_mov_b32 s0, 0
	v_mov_b32_e32 v8, v1
	v_add3_u32 v13, v6, 0, 0x4000
	v_mov_b64_e32 v[6:7], 0
	s_delay_alu instid0(VALU_DEP_2)
	v_dual_mov_b32 v9, v12 :: v_dual_mov_b32 v11, v13
	s_wait_kmcnt 0x0
	v_mov_b32_e32 v10, s33
.LBB31_5:                               ; =>This Inner Loop Header: Depth=1
	s_delay_alu instid0(VALU_DEP_2)
	v_add_nc_u32_e32 v9, 0x400, v9
	ds_store_b32 v8, v10
	ds_store_b64 v11, v[6:7]
	v_add_nc_u32_e32 v11, 0x2000, v11
	v_add_nc_u32_e32 v8, 0x1000, v8
	v_cmp_lt_u32_e32 vcc_lo, 0xbff, v9
	s_or_b32 s0, vcc_lo, s0
	s_delay_alu instid0(SALU_CYCLE_1)
	s_and_not1_b32 exec_lo, exec_lo, s0
	s_cbranch_execnz .LBB31_5
; %bb.6:
	s_or_b32 exec_lo, exec_lo, s0
	s_wait_loadcnt_dscnt 0x0
	s_barrier_signal -1
	s_barrier_wait -1
	s_load_b32 s0, s[20:21], 0x0
	s_bfe_u32 s1, ttmp6, 0x4000c
	s_wait_xcnt 0x0
	s_and_b32 s20, ttmp6, 15
	s_add_co_i32 s1, s1, 1
	s_getreg_b32 s21, hwreg(HW_REG_IB_STS2, 6, 4)
	s_mul_i32 s1, ttmp9, s1
	v_lshrrev_b32_e32 v14, 6, v0
	s_add_co_i32 s20, s20, s1
	s_cmp_eq_u32 s21, 0
	s_cselect_b32 s1, ttmp9, s20
	s_and_b32 vcc_lo, exec_lo, s35
	s_wait_kmcnt 0x0
	s_add_co_i32 s0, s0, s1
	s_load_b32 s20, s[22:23], s0 offset:0x0 scale_offset
	s_cbranch_vccz .LBB31_24
; %bb.7:
	s_wait_kmcnt 0x0
	s_ashr_i32 s21, s20, 31
	v_subrev_nc_u32_e32 v6, s16, v14
	s_lshl_b64 s[0:1], s[20:21], 2
	s_delay_alu instid0(SALU_CYCLE_1)
	s_add_nc_u64 s[0:1], s[30:31], s[0:1]
	s_load_b64 s[22:23], s[0:1], 0x0
	s_wait_xcnt 0x0
	s_mov_b32 s1, exec_lo
	s_wait_kmcnt 0x0
	v_add_nc_u32_e32 v6, s22, v6
	s_sub_co_i32 s0, s23, s16
	s_delay_alu instid0(VALU_DEP_1) | instid1(SALU_CYCLE_1)
	v_cmpx_gt_i32_e64 s0, v6
	s_cbranch_execz .LBB31_23
; %bb.8:
	v_and_b32_e32 v7, 63, v0
	s_mov_b32 s21, 0
	s_delay_alu instid0(VALU_DEP_1)
	v_subrev_nc_u32_e32 v15, s17, v7
	s_branch .LBB31_10
.LBB31_9:                               ;   in Loop: Header=BB31_10 Depth=1
	s_or_b32 exec_lo, exec_lo, s22
	v_add_nc_u32_e32 v6, 16, v6
	s_delay_alu instid0(VALU_DEP_1) | instskip(SKIP_1) | instid1(SALU_CYCLE_1)
	v_cmp_le_i32_e32 vcc_lo, s0, v6
	s_or_b32 s21, vcc_lo, s21
	s_and_not1_b32 exec_lo, exec_lo, s21
	s_cbranch_execz .LBB31_23
.LBB31_10:                              ; =>This Loop Header: Depth=1
                                        ;     Child Loop BB31_14 Depth 2
                                        ;       Child Loop BB31_17 Depth 3
	global_load_b32 v7, v6, s[2:3] scale_offset
	s_mov_b32 s22, exec_lo
	s_wait_loadcnt 0x0
	v_subrev_nc_u32_e32 v8, s16, v7
	s_delay_alu instid0(VALU_DEP_1) | instskip(NEXT) | instid1(VALU_DEP_1)
	v_ashrrev_i32_e32 v9, 31, v8
	v_lshl_add_u64 v[8:9], v[8:9], 2, s[14:15]
	global_load_b64 v[8:9], v[8:9], off
	s_wait_loadcnt 0x0
	v_subrev_nc_u32_e32 v16, s17, v9
	v_add_nc_u32_e32 v17, v8, v15
	s_wait_xcnt 0x0
	s_delay_alu instid0(VALU_DEP_1)
	v_cmpx_lt_i32_e64 v17, v16
	s_cbranch_execz .LBB31_9
; %bb.11:                               ;   in Loop: Header=BB31_10 Depth=1
	v_ashrrev_i32_e32 v7, 31, v6
	s_mov_b32 s23, 0
	s_delay_alu instid0(VALU_DEP_1)
	v_lshl_add_u64 v[8:9], v[6:7], 3, s[12:13]
	global_load_b64 v[8:9], v[8:9], off
	s_wait_loadcnt 0x0
	s_wait_xcnt 0x0
	v_mul_f64_e32 v[8:9], v[4:5], v[8:9]
	s_branch .LBB31_14
.LBB31_12:                              ;   in Loop: Header=BB31_14 Depth=2
	s_or_b32 exec_lo, exec_lo, s31
.LBB31_13:                              ;   in Loop: Header=BB31_14 Depth=2
	s_delay_alu instid0(SALU_CYCLE_1) | instskip(SKIP_3) | instid1(VALU_DEP_2)
	s_or_b32 exec_lo, exec_lo, s30
	s_wait_loadcnt 0x0
	v_dual_mul_f64 v[10:11], v[8:9], v[10:11] :: v_dual_add_nc_u32 v17, 64, v17
	v_lshl_add_u32 v7, v7, 3, 0
	v_cmp_ge_i32_e32 vcc_lo, v17, v16
	s_or_b32 s23, vcc_lo, s23
	ds_add_f64 v7, v[10:11] offset:16384
	s_and_not1_b32 exec_lo, exec_lo, s23
	s_cbranch_execz .LBB31_9
.LBB31_14:                              ;   Parent Loop BB31_10 Depth=1
                                        ; =>  This Loop Header: Depth=2
                                        ;       Child Loop BB31_17 Depth 3
	s_clause 0x1
	global_load_b32 v7, v17, s[8:9] scale_offset
	global_load_b64 v[10:11], v17, s[10:11] scale_offset
	s_mov_b32 s30, exec_lo
	s_wait_loadcnt 0x1
	v_subrev_nc_u32_e32 v18, s17, v7
	s_delay_alu instid0(VALU_DEP_1) | instskip(NEXT) | instid1(VALU_DEP_1)
	v_mul_lo_u32 v7, 0x89, v18
	v_and_b32_e32 v7, 0xfff, v7
	s_delay_alu instid0(VALU_DEP_1)
	v_lshl_add_u32 v19, v7, 2, 0
	ds_load_b32 v20, v19
	s_wait_dscnt 0x0
	s_wait_xcnt 0x0
	v_cmpx_ne_u32_e64 v20, v18
	s_cbranch_execz .LBB31_13
; %bb.15:                               ;   in Loop: Header=BB31_14 Depth=2
	s_mov_b32 s31, 0
	s_branch .LBB31_17
.LBB31_16:                              ;   in Loop: Header=BB31_17 Depth=3
	s_or_b32 exec_lo, exec_lo, s37
	s_delay_alu instid0(SALU_CYCLE_1) | instskip(NEXT) | instid1(SALU_CYCLE_1)
	s_and_b32 s35, exec_lo, s36
	s_or_b32 s31, s35, s31
	s_delay_alu instid0(SALU_CYCLE_1)
	s_and_not1_b32 exec_lo, exec_lo, s31
	s_cbranch_execz .LBB31_12
.LBB31_17:                              ;   Parent Loop BB31_10 Depth=1
                                        ;     Parent Loop BB31_14 Depth=2
                                        ; =>    This Inner Loop Header: Depth=3
	s_mov_b32 s35, 0
	s_mov_b32 s36, exec_lo
	v_cmpx_ne_u32_e64 s33, v20
	s_xor_b32 s36, exec_lo, s36
	s_cbranch_execz .LBB31_19
; %bb.18:                               ;   in Loop: Header=BB31_17 Depth=3
	v_add_nc_u32_e32 v7, 1, v7
	s_mov_b32 s35, exec_lo
                                        ; implicit-def: $vgpr19
	s_delay_alu instid0(VALU_DEP_1)
	v_and_b32_e32 v7, 0xfff, v7
	s_and_not1_saveexec_b32 s36, s36
	s_cbranch_execz .LBB31_21
	s_branch .LBB31_20
.LBB31_19:                              ;   in Loop: Header=BB31_17 Depth=3
	s_and_not1_saveexec_b32 s36, s36
	s_cbranch_execz .LBB31_21
.LBB31_20:                              ;   in Loop: Header=BB31_17 Depth=3
	v_mov_b32_e32 v20, s33
	s_and_not1_b32 s35, s35, exec_lo
	ds_cmpstore_rtn_b32 v19, v19, v18, v20
	s_wait_dscnt 0x0
	v_cmp_ne_u32_e32 vcc_lo, s33, v19
	s_and_b32 s37, vcc_lo, exec_lo
	s_delay_alu instid0(SALU_CYCLE_1)
	s_or_b32 s35, s35, s37
.LBB31_21:                              ;   in Loop: Header=BB31_17 Depth=3
	s_or_b32 exec_lo, exec_lo, s36
	s_mov_b32 s36, -1
                                        ; implicit-def: $vgpr19
                                        ; implicit-def: $vgpr20
	s_and_saveexec_b32 s37, s35
	s_cbranch_execz .LBB31_16
; %bb.22:                               ;   in Loop: Header=BB31_17 Depth=3
	v_lshl_add_u32 v19, v7, 2, 0
	ds_load_b32 v20, v19
	s_wait_dscnt 0x0
	v_cmp_eq_u32_e32 vcc_lo, v20, v18
	s_or_not1_b32 s36, vcc_lo, exec_lo
	s_branch .LBB31_16
.LBB31_23:
	s_or_b32 exec_lo, exec_lo, s1
.LBB31_24:
	s_delay_alu instid0(SALU_CYCLE_1)
	s_and_not1_b32 vcc_lo, exec_lo, s34
	s_cbranch_vccnz .LBB31_39
; %bb.25:
	s_wait_kmcnt 0x0
	s_ashr_i32 s21, s20, 31
	v_subrev_nc_u32_e32 v4, s19, v0
	s_lshl_b64 s[0:1], s[20:21], 2
	s_delay_alu instid0(SALU_CYCLE_1)
	s_add_nc_u64 s[0:1], s[28:29], s[0:1]
	s_load_b64 s[2:3], s[0:1], 0x0
	s_wait_xcnt 0x0
	s_mov_b32 s1, exec_lo
	s_wait_kmcnt 0x0
	v_add_nc_u32_e32 v6, s2, v4
	s_sub_co_i32 s0, s3, s19
	s_delay_alu instid0(VALU_DEP_1) | instid1(SALU_CYCLE_1)
	v_cmpx_gt_i32_e64 s0, v6
	s_cbranch_execz .LBB31_38
; %bb.26:
	s_mov_b32 s2, 0
	s_branch .LBB31_29
.LBB31_27:                              ;   in Loop: Header=BB31_29 Depth=1
	s_or_b32 exec_lo, exec_lo, s8
.LBB31_28:                              ;   in Loop: Header=BB31_29 Depth=1
	s_delay_alu instid0(SALU_CYCLE_1) | instskip(SKIP_4) | instid1(VALU_DEP_1)
	s_or_b32 exec_lo, exec_lo, s3
	s_wait_loadcnt 0x0
	v_mul_f64_e32 v[4:5], v[2:3], v[4:5]
	v_lshl_add_u32 v7, v7, 3, 0
	v_add_nc_u32_e32 v6, 0x400, v6
	v_cmp_le_i32_e32 vcc_lo, s0, v6
	s_or_b32 s2, vcc_lo, s2
	ds_add_f64 v7, v[4:5] offset:16384
	s_and_not1_b32 exec_lo, exec_lo, s2
	s_cbranch_execz .LBB31_38
.LBB31_29:                              ; =>This Loop Header: Depth=1
                                        ;     Child Loop BB31_32 Depth 2
	s_clause 0x1
	global_load_b32 v7, v6, s[4:5] scale_offset
	global_load_b64 v[4:5], v6, s[6:7] scale_offset
	s_mov_b32 s3, exec_lo
	s_wait_loadcnt 0x1
	v_subrev_nc_u32_e32 v8, s19, v7
	s_delay_alu instid0(VALU_DEP_1) | instskip(NEXT) | instid1(VALU_DEP_1)
	v_mul_lo_u32 v7, 0x89, v8
	v_and_b32_e32 v7, 0xfff, v7
	s_delay_alu instid0(VALU_DEP_1)
	v_lshl_add_u32 v9, v7, 2, 0
	ds_load_b32 v10, v9
	s_wait_dscnt 0x0
	s_wait_xcnt 0x0
	v_cmpx_ne_u32_e64 v10, v8
	s_cbranch_execz .LBB31_28
; %bb.30:                               ;   in Loop: Header=BB31_29 Depth=1
	s_mov_b32 s8, 0
	s_branch .LBB31_32
.LBB31_31:                              ;   in Loop: Header=BB31_32 Depth=2
	s_or_b32 exec_lo, exec_lo, s11
	s_delay_alu instid0(SALU_CYCLE_1) | instskip(NEXT) | instid1(SALU_CYCLE_1)
	s_and_b32 s9, exec_lo, s10
	s_or_b32 s8, s9, s8
	s_delay_alu instid0(SALU_CYCLE_1)
	s_and_not1_b32 exec_lo, exec_lo, s8
	s_cbranch_execz .LBB31_27
.LBB31_32:                              ;   Parent Loop BB31_29 Depth=1
                                        ; =>  This Inner Loop Header: Depth=2
	s_mov_b32 s9, 0
	s_mov_b32 s10, exec_lo
	v_cmpx_ne_u32_e64 s33, v10
	s_xor_b32 s10, exec_lo, s10
	s_cbranch_execz .LBB31_34
; %bb.33:                               ;   in Loop: Header=BB31_32 Depth=2
	v_add_nc_u32_e32 v7, 1, v7
	s_mov_b32 s9, exec_lo
                                        ; implicit-def: $vgpr9
	s_delay_alu instid0(VALU_DEP_1)
	v_and_b32_e32 v7, 0xfff, v7
	s_and_not1_saveexec_b32 s10, s10
	s_cbranch_execz .LBB31_36
	s_branch .LBB31_35
.LBB31_34:                              ;   in Loop: Header=BB31_32 Depth=2
	s_and_not1_saveexec_b32 s10, s10
	s_cbranch_execz .LBB31_36
.LBB31_35:                              ;   in Loop: Header=BB31_32 Depth=2
	v_mov_b32_e32 v10, s33
	s_and_not1_b32 s9, s9, exec_lo
	ds_cmpstore_rtn_b32 v9, v9, v8, v10
	s_wait_dscnt 0x0
	v_cmp_ne_u32_e32 vcc_lo, s33, v9
	s_and_b32 s11, vcc_lo, exec_lo
	s_delay_alu instid0(SALU_CYCLE_1)
	s_or_b32 s9, s9, s11
.LBB31_36:                              ;   in Loop: Header=BB31_32 Depth=2
	s_or_b32 exec_lo, exec_lo, s10
	s_mov_b32 s10, -1
                                        ; implicit-def: $vgpr9
                                        ; implicit-def: $vgpr10
	s_and_saveexec_b32 s11, s9
	s_cbranch_execz .LBB31_31
; %bb.37:                               ;   in Loop: Header=BB31_32 Depth=2
	v_lshl_add_u32 v9, v7, 2, 0
	ds_load_b32 v10, v9
	s_wait_dscnt 0x0
	v_cmp_eq_u32_e32 vcc_lo, v10, v8
	s_or_not1_b32 s10, vcc_lo, exec_lo
	s_branch .LBB31_31
.LBB31_38:
	s_or_b32 exec_lo, exec_lo, s1
.LBB31_39:
	v_mbcnt_lo_u32_b32 v2, -1, 0
	v_mov_b32_e32 v3, 0
	v_lshl_add_u32 v6, v14, 2, 0
	s_wait_xcnt 0x0
	v_cmp_lt_u32_e64 s0, 63, v0
	v_cmp_lt_u32_e64 s1, 0x7f, v0
	v_xor_b32_e32 v2, 31, v2
	v_cmp_lt_u32_e64 s2, 0xbf, v0
	v_cmp_lt_u32_e64 s3, 0xff, v0
	;; [unrolled: 1-line block ×4, first 2 shown]
	v_lshrrev_b32_e64 v2, v2, -1
	v_cmp_lt_u32_e64 s6, 0x1bf, v0
	v_cmp_lt_u32_e64 s7, 0x1ff, v0
	;; [unrolled: 1-line block ×9, first 2 shown]
	v_mov_b32_e32 v7, 0
	s_mov_b32 s16, 0
	s_wait_dscnt 0x0
	v_cmp_eq_u32_e32 vcc_lo, 0x3ff, v0
	s_barrier_signal -1
	s_barrier_wait -1
	s_branch .LBB31_41
.LBB31_40:                              ;   in Loop: Header=BB31_41 Depth=1
	s_or_b32 exec_lo, exec_lo, s15
	s_wait_dscnt 0x0
	s_barrier_signal -1
	s_barrier_wait -1
	ds_load_b32 v4, v3 offset:49212
	v_add_nc_u32_e32 v12, 0x400, v12
	v_add_nc_u32_e32 v13, 0x2000, v13
	;; [unrolled: 1-line block ×3, first 2 shown]
	s_delay_alu instid0(VALU_DEP_3)
	v_cmp_lt_u32_e64 s15, 0xbff, v12
	s_or_b32 s16, s15, s16
	s_wait_dscnt 0x0
	v_add_nc_u32_e32 v7, v4, v7
	s_and_not1_b32 exec_lo, exec_lo, s16
	s_cbranch_execz .LBB31_75
.LBB31_41:                              ; =>This Inner Loop Header: Depth=1
	ds_load_b32 v8, v1
	ds_load_b64 v[4:5], v13
	s_wait_dscnt 0x0
	s_barrier_signal -1
	s_barrier_wait -1
	v_cmp_gt_i32_e64 s15, s33, v8
	s_bcnt1_i32_b32 s17, s15
	s_delay_alu instid0(SALU_CYCLE_1) | instskip(NEXT) | instid1(VALU_DEP_1)
	v_dual_mov_b32 v10, s17 :: v_dual_bitop2_b32 v9, s15, v2 bitop3:0x40
	v_bcnt_u32_b32 v9, v9, 0
	ds_store_b32 v6, v10 offset:49152
	s_wait_dscnt 0x0
	s_barrier_signal -1
	s_barrier_wait -1
	s_and_saveexec_b32 s17, s0
	s_cbranch_execz .LBB31_58
; %bb.42:                               ;   in Loop: Header=BB31_41 Depth=1
	ds_load_b32 v10, v3 offset:49152
	s_wait_dscnt 0x0
	v_add_nc_u32_e32 v9, v10, v9
	s_or_b32 exec_lo, exec_lo, s17
	s_and_saveexec_b32 s17, s1
	s_cbranch_execnz .LBB31_59
.LBB31_43:                              ;   in Loop: Header=BB31_41 Depth=1
	s_or_b32 exec_lo, exec_lo, s17
	s_and_saveexec_b32 s17, s2
	s_cbranch_execz .LBB31_60
.LBB31_44:                              ;   in Loop: Header=BB31_41 Depth=1
	ds_load_b32 v10, v3 offset:49160
	s_wait_dscnt 0x0
	v_add_nc_u32_e32 v9, v10, v9
	s_or_b32 exec_lo, exec_lo, s17
	s_and_saveexec_b32 s17, s3
	s_cbranch_execnz .LBB31_61
.LBB31_45:                              ;   in Loop: Header=BB31_41 Depth=1
	s_or_b32 exec_lo, exec_lo, s17
	s_and_saveexec_b32 s17, s4
	s_cbranch_execz .LBB31_62
.LBB31_46:                              ;   in Loop: Header=BB31_41 Depth=1
	ds_load_b32 v10, v3 offset:49168
	s_wait_dscnt 0x0
	v_add_nc_u32_e32 v9, v10, v9
	s_or_b32 exec_lo, exec_lo, s17
	s_and_saveexec_b32 s17, s5
	s_cbranch_execnz .LBB31_63
.LBB31_47:                              ;   in Loop: Header=BB31_41 Depth=1
	s_or_b32 exec_lo, exec_lo, s17
	s_and_saveexec_b32 s17, s6
	s_cbranch_execz .LBB31_64
.LBB31_48:                              ;   in Loop: Header=BB31_41 Depth=1
	ds_load_b32 v10, v3 offset:49176
	s_wait_dscnt 0x0
	v_add_nc_u32_e32 v9, v10, v9
	s_or_b32 exec_lo, exec_lo, s17
	s_and_saveexec_b32 s17, s7
	s_cbranch_execnz .LBB31_65
.LBB31_49:                              ;   in Loop: Header=BB31_41 Depth=1
	s_or_b32 exec_lo, exec_lo, s17
	s_and_saveexec_b32 s17, s8
	s_cbranch_execz .LBB31_66
.LBB31_50:                              ;   in Loop: Header=BB31_41 Depth=1
	ds_load_b32 v10, v3 offset:49184
	s_wait_dscnt 0x0
	v_add_nc_u32_e32 v9, v10, v9
	s_or_b32 exec_lo, exec_lo, s17
	s_and_saveexec_b32 s17, s9
	s_cbranch_execnz .LBB31_67
.LBB31_51:                              ;   in Loop: Header=BB31_41 Depth=1
	s_or_b32 exec_lo, exec_lo, s17
	s_and_saveexec_b32 s17, s10
	s_cbranch_execz .LBB31_68
.LBB31_52:                              ;   in Loop: Header=BB31_41 Depth=1
	ds_load_b32 v10, v3 offset:49192
	s_wait_dscnt 0x0
	v_add_nc_u32_e32 v9, v10, v9
	s_or_b32 exec_lo, exec_lo, s17
	s_and_saveexec_b32 s17, s11
	s_cbranch_execnz .LBB31_69
.LBB31_53:                              ;   in Loop: Header=BB31_41 Depth=1
	s_or_b32 exec_lo, exec_lo, s17
	s_and_saveexec_b32 s17, s12
	s_cbranch_execz .LBB31_70
.LBB31_54:                              ;   in Loop: Header=BB31_41 Depth=1
	ds_load_b32 v10, v3 offset:49200
	s_wait_dscnt 0x0
	v_add_nc_u32_e32 v9, v10, v9
	s_or_b32 exec_lo, exec_lo, s17
	s_and_saveexec_b32 s17, s13
	s_cbranch_execnz .LBB31_71
.LBB31_55:                              ;   in Loop: Header=BB31_41 Depth=1
	s_or_b32 exec_lo, exec_lo, s17
	s_and_saveexec_b32 s17, s14
	s_cbranch_execz .LBB31_72
.LBB31_56:                              ;   in Loop: Header=BB31_41 Depth=1
	ds_load_b32 v10, v3 offset:49208
	s_wait_dscnt 0x0
	v_add_nc_u32_e32 v9, v10, v9
	s_or_b32 exec_lo, exec_lo, s17
	s_and_saveexec_b32 s17, s15
	s_cbranch_execnz .LBB31_73
.LBB31_57:                              ;   in Loop: Header=BB31_41 Depth=1
	s_or_b32 exec_lo, exec_lo, s17
	s_and_saveexec_b32 s15, vcc_lo
	s_cbranch_execz .LBB31_40
	s_branch .LBB31_74
.LBB31_58:                              ;   in Loop: Header=BB31_41 Depth=1
	s_or_b32 exec_lo, exec_lo, s17
	s_and_saveexec_b32 s17, s1
	s_cbranch_execz .LBB31_43
.LBB31_59:                              ;   in Loop: Header=BB31_41 Depth=1
	ds_load_b32 v10, v3 offset:49156
	s_wait_dscnt 0x0
	v_add_nc_u32_e32 v9, v10, v9
	s_or_b32 exec_lo, exec_lo, s17
	s_and_saveexec_b32 s17, s2
	s_cbranch_execnz .LBB31_44
.LBB31_60:                              ;   in Loop: Header=BB31_41 Depth=1
	s_or_b32 exec_lo, exec_lo, s17
	s_and_saveexec_b32 s17, s3
	s_cbranch_execz .LBB31_45
.LBB31_61:                              ;   in Loop: Header=BB31_41 Depth=1
	ds_load_b32 v10, v3 offset:49164
	s_wait_dscnt 0x0
	v_add_nc_u32_e32 v9, v10, v9
	s_or_b32 exec_lo, exec_lo, s17
	s_and_saveexec_b32 s17, s4
	s_cbranch_execnz .LBB31_46
.LBB31_62:                              ;   in Loop: Header=BB31_41 Depth=1
	s_or_b32 exec_lo, exec_lo, s17
	s_and_saveexec_b32 s17, s5
	s_cbranch_execz .LBB31_47
.LBB31_63:                              ;   in Loop: Header=BB31_41 Depth=1
	ds_load_b32 v10, v3 offset:49172
	s_wait_dscnt 0x0
	v_add_nc_u32_e32 v9, v10, v9
	s_or_b32 exec_lo, exec_lo, s17
	s_and_saveexec_b32 s17, s6
	s_cbranch_execnz .LBB31_48
.LBB31_64:                              ;   in Loop: Header=BB31_41 Depth=1
	s_or_b32 exec_lo, exec_lo, s17
	s_and_saveexec_b32 s17, s7
	s_cbranch_execz .LBB31_49
.LBB31_65:                              ;   in Loop: Header=BB31_41 Depth=1
	ds_load_b32 v10, v3 offset:49180
	s_wait_dscnt 0x0
	v_add_nc_u32_e32 v9, v10, v9
	s_or_b32 exec_lo, exec_lo, s17
	s_and_saveexec_b32 s17, s8
	s_cbranch_execnz .LBB31_50
.LBB31_66:                              ;   in Loop: Header=BB31_41 Depth=1
	s_or_b32 exec_lo, exec_lo, s17
	s_and_saveexec_b32 s17, s9
	s_cbranch_execz .LBB31_51
.LBB31_67:                              ;   in Loop: Header=BB31_41 Depth=1
	ds_load_b32 v10, v3 offset:49188
	s_wait_dscnt 0x0
	v_add_nc_u32_e32 v9, v10, v9
	s_or_b32 exec_lo, exec_lo, s17
	s_and_saveexec_b32 s17, s10
	s_cbranch_execnz .LBB31_52
.LBB31_68:                              ;   in Loop: Header=BB31_41 Depth=1
	s_or_b32 exec_lo, exec_lo, s17
	s_and_saveexec_b32 s17, s11
	s_cbranch_execz .LBB31_53
.LBB31_69:                              ;   in Loop: Header=BB31_41 Depth=1
	ds_load_b32 v10, v3 offset:49196
	s_wait_dscnt 0x0
	v_add_nc_u32_e32 v9, v10, v9
	s_or_b32 exec_lo, exec_lo, s17
	s_and_saveexec_b32 s17, s12
	s_cbranch_execnz .LBB31_54
.LBB31_70:                              ;   in Loop: Header=BB31_41 Depth=1
	s_or_b32 exec_lo, exec_lo, s17
	s_and_saveexec_b32 s17, s13
	s_cbranch_execz .LBB31_55
.LBB31_71:                              ;   in Loop: Header=BB31_41 Depth=1
	ds_load_b32 v10, v3 offset:49204
	s_wait_dscnt 0x0
	v_add_nc_u32_e32 v9, v10, v9
	s_or_b32 exec_lo, exec_lo, s17
	s_and_saveexec_b32 s17, s14
	s_cbranch_execnz .LBB31_56
.LBB31_72:                              ;   in Loop: Header=BB31_41 Depth=1
	s_or_b32 exec_lo, exec_lo, s17
	s_and_saveexec_b32 s17, s15
	s_cbranch_execz .LBB31_57
.LBB31_73:                              ;   in Loop: Header=BB31_41 Depth=1
	s_delay_alu instid0(VALU_DEP_1) | instskip(SKIP_1) | instid1(VALU_DEP_2)
	v_add3_u32 v10, v7, -1, v9
	v_add_nc_u32_e32 v11, v7, v9
	v_lshl_add_u32 v10, v10, 2, 0
	s_delay_alu instid0(VALU_DEP_2)
	v_lshl_add_u32 v11, v11, 3, 0
	ds_store_b32 v10, v8
	ds_store_b64 v11, v[4:5] offset:16376
	s_or_b32 exec_lo, exec_lo, s17
	s_and_saveexec_b32 s15, vcc_lo
	s_cbranch_execz .LBB31_40
.LBB31_74:                              ;   in Loop: Header=BB31_41 Depth=1
	ds_store_b32 v3, v9 offset:49212
	s_branch .LBB31_40
.LBB31_75:
	s_or_b32 exec_lo, exec_lo, s16
	s_wait_kmcnt 0x0
	s_ashr_i32 s21, s20, 31
	s_delay_alu instid0(SALU_CYCLE_1) | instskip(NEXT) | instid1(SALU_CYCLE_1)
	s_lshl_b64 s[0:1], s[20:21], 2
	s_add_nc_u64 s[2:3], s[26:27], s[0:1]
	s_load_b64 s[0:1], s[2:3], 0x0
	s_wait_kmcnt 0x0
	s_sub_co_i32 s4, s1, s0
	s_mov_b32 s1, exec_lo
	v_cmpx_gt_i32_e64 s4, v0
	s_cbranch_execz .LBB31_89
; %bb.76:
	v_sub_co_u32 v1, s1, s4, 2
	s_sub_co_i32 s2, s0, s18
	s_xor_b32 s6, s1, -1
	s_and_b32 s5, s4, -2
	v_readfirstlane_b32 s3, v1
	s_lshr_b32 s0, s3, 1
	s_mov_b32 s3, 0
	s_add_co_i32 s0, s0, 1
	s_mov_b32 s11, s3
	s_and_b32 s1, s0, 7
	s_and_b32 s7, s0, -8
	s_cmp_lg_u32 s1, 0
	v_cmp_lt_u32_e64 s0, 13, v1
	s_cselect_b32 s8, -1, 0
	s_cmp_lg_u32 s4, s5
	s_cselect_b32 s9, -1, 0
	s_lshl_b32 s10, s1, 3
	s_branch .LBB31_78
.LBB31_77:                              ;   in Loop: Header=BB31_78 Depth=1
	v_add_nc_u32_e32 v0, 0x400, v0
	s_wait_dscnt 0x0
	global_store_b64 v4, v[2:3], s[24:25] scale_offset
	v_cmp_le_i32_e32 vcc_lo, s4, v0
	s_or_b32 s11, vcc_lo, s11
	s_wait_xcnt 0x0
	s_and_not1_b32 exec_lo, exec_lo, s11
	s_cbranch_execz .LBB31_89
.LBB31_78:                              ; =>This Loop Header: Depth=1
                                        ;     Child Loop BB31_81 Depth 2
                                        ;     Child Loop BB31_84 Depth 2
	;; [unrolled: 1-line block ×3, first 2 shown]
	v_dual_mov_b32 v4, s2 :: v_dual_lshlrev_b32 v1, 2, v0
	s_and_not1_b32 vcc_lo, exec_lo, s6
	s_mov_b32 s1, 0
	s_mov_b32 s12, -1
	s_delay_alu instid0(VALU_DEP_1) | instskip(NEXT) | instid1(VALU_DEP_1)
	v_add_nc_u32_e32 v2, 0, v1
	v_add_nc_u32_e32 v3, v2, v1
	ds_load_b32 v1, v2
	ds_load_b64 v[2:3], v3 offset:16384
	s_cbranch_vccnz .LBB31_86
; %bb.79:                               ;   in Loop: Header=BB31_78 Depth=1
	v_mov_b64_e32 v[4:5], s[2:3]
	s_and_not1_b32 vcc_lo, exec_lo, s0
	s_mov_b32 s12, 0
	s_cbranch_vccnz .LBB31_82
; %bb.80:                               ;   in Loop: Header=BB31_78 Depth=1
	v_dual_mov_b32 v4, s2 :: v_dual_mov_b32 v5, 0
	s_mov_b32 s13, 0
	s_mov_b32 s14, s7
.LBB31_81:                              ;   Parent Loop BB31_78 Depth=1
                                        ; =>  This Inner Loop Header: Depth=2
	v_mov_b32_e32 v20, s13
	s_add_co_i32 s14, s14, -8
	s_add_co_i32 s12, s12, 16
	s_add_co_i32 s13, s13, 64
	s_cmp_lg_u32 s14, 0
	ds_load_2addr_b32 v[6:7], v20 offset1:1
	ds_load_2addr_b32 v[8:9], v20 offset0:2 offset1:3
	ds_load_2addr_b32 v[10:11], v20 offset0:4 offset1:5
	;; [unrolled: 1-line block ×7, first 2 shown]
	s_wait_dscnt 0x7
	v_cmp_gt_i32_e32 vcc_lo, v1, v7
	s_wait_dscnt 0x5
	v_cmp_gt_i32_e64 s1, v1, v10
	v_cndmask_b32_e64 v7, 0, 1, vcc_lo
	v_cmp_gt_i32_e32 vcc_lo, v1, v6
	v_cndmask_b32_e64 v6, 0, 1, vcc_lo
	v_cmp_gt_i32_e32 vcc_lo, v1, v8
	v_cndmask_b32_e64 v8, 0, 1, s1
	v_cmp_gt_i32_e64 s1, v1, v11
	s_delay_alu instid0(VALU_DEP_4) | instskip(NEXT) | instid1(VALU_DEP_2)
	v_add_co_ci_u32_e64 v4, null, v4, v6, vcc_lo
	v_cndmask_b32_e64 v10, 0, 1, s1
	s_wait_dscnt 0x4
	v_cmp_gt_i32_e64 s1, v1, v13
	s_wait_dscnt 0x2
	v_cmp_gt_i32_e32 vcc_lo, v1, v16
	s_delay_alu instid0(VALU_DEP_2) | instskip(SKIP_4) | instid1(VALU_DEP_3)
	v_cndmask_b32_e64 v11, 0, 1, s1
	v_cmp_gt_i32_e64 s1, v1, v12
	v_add_co_ci_u32_e64 v4, null, v4, v8, vcc_lo
	s_wait_dscnt 0x1
	v_cmp_gt_i32_e32 vcc_lo, v1, v18
	v_cndmask_b32_e64 v12, 0, 1, s1
	v_cmp_gt_i32_e64 s1, v1, v14
	s_delay_alu instid0(VALU_DEP_2) | instskip(NEXT) | instid1(VALU_DEP_2)
	v_add_co_ci_u32_e64 v4, null, v4, v12, vcc_lo
	v_cndmask_b32_e64 v13, 0, 1, s1
	v_cmp_gt_i32_e64 s1, v1, v15
	s_wait_dscnt 0x0
	v_cmp_gt_i32_e32 vcc_lo, v1, v20
	s_delay_alu instid0(VALU_DEP_2) | instskip(SKIP_2) | instid1(VALU_DEP_2)
	v_cndmask_b32_e64 v14, 0, 1, s1
	v_cmp_gt_i32_e64 s1, v1, v9
	v_add_co_ci_u32_e64 v4, null, v4, v13, vcc_lo
	v_add_co_ci_u32_e64 v5, null, v5, v7, s1
	v_cmp_gt_i32_e64 s1, v1, v17
	s_delay_alu instid0(VALU_DEP_1) | instskip(SKIP_1) | instid1(VALU_DEP_1)
	v_add_co_ci_u32_e64 v5, null, v5, v10, s1
	v_cmp_gt_i32_e64 s1, v1, v19
	v_add_co_ci_u32_e64 v5, null, v5, v11, s1
	v_cmp_gt_i32_e64 s1, v1, v21
	s_delay_alu instid0(VALU_DEP_1)
	v_add_co_ci_u32_e64 v5, null, v5, v14, s1
	s_cbranch_scc1 .LBB31_81
.LBB31_82:                              ;   in Loop: Header=BB31_78 Depth=1
	s_and_not1_b32 vcc_lo, exec_lo, s8
	s_cbranch_vccnz .LBB31_85
; %bb.83:                               ;   in Loop: Header=BB31_78 Depth=1
	s_lshl_b32 s1, s12, 2
	s_mov_b32 s12, s10
	s_add_co_i32 s1, s1, 0
.LBB31_84:                              ;   Parent Loop BB31_78 Depth=1
                                        ; =>  This Inner Loop Header: Depth=2
	s_delay_alu instid0(SALU_CYCLE_1)
	v_mov_b32_e32 v6, s1
	s_add_co_i32 s12, s12, -8
	s_add_co_i32 s1, s1, 8
	s_cmp_lg_u32 s12, 0
	ds_load_2addr_b32 v[6:7], v6 offset1:1
	s_wait_dscnt 0x0
	v_cmp_gt_i32_e32 vcc_lo, v1, v7
	v_add_co_ci_u32_e64 v5, null, 0, v5, vcc_lo
	v_cmp_gt_i32_e32 vcc_lo, v1, v6
	v_add_co_ci_u32_e64 v4, null, 0, v4, vcc_lo
	s_cbranch_scc1 .LBB31_84
.LBB31_85:                              ;   in Loop: Header=BB31_78 Depth=1
	s_delay_alu instid0(VALU_DEP_1)
	v_add_nc_u32_e32 v4, v4, v5
	s_mov_b32 s1, s5
	s_mov_b32 s12, s9
.LBB31_86:                              ;   in Loop: Header=BB31_78 Depth=1
	s_delay_alu instid0(SALU_CYCLE_1)
	s_and_b32 vcc_lo, exec_lo, s12
	s_cbranch_vccz .LBB31_77
; %bb.87:                               ;   in Loop: Header=BB31_78 Depth=1
	s_lshl_b32 s12, s1, 2
	s_delay_alu instid0(SALU_CYCLE_1)
	s_add_co_i32 s12, s12, 0
.LBB31_88:                              ;   Parent Loop BB31_78 Depth=1
                                        ; =>  This Inner Loop Header: Depth=2
	s_delay_alu instid0(SALU_CYCLE_1)
	v_mov_b32_e32 v5, s12
	s_add_co_i32 s1, s1, 1
	s_add_co_i32 s12, s12, 4
	s_cmp_ge_i32 s1, s4
	ds_load_b32 v5, v5
	s_wait_dscnt 0x0
	v_cmp_gt_i32_e32 vcc_lo, v1, v5
	v_add_co_ci_u32_e64 v4, null, 0, v4, vcc_lo
	s_cbranch_scc0 .LBB31_88
	s_branch .LBB31_77
.LBB31_89:
	s_endpgm
	.section	.rodata,"a",@progbits
	.p2align	6, 0x0
	.amdhsa_kernel _ZN9rocsparseL41csrgemm_numeric_fill_block_per_row_kernelILj1024ELj64ELj4096ELj137ELj64EiidEEvT5_PKS1_S3_NS_24const_host_device_scalarIT6_EEPKT4_S3_PKS5_S9_S3_SB_S6_S9_S3_SB_S9_S3_PS5_21rocsparse_index_base_SD_SD_SD_bbb
		.amdhsa_group_segment_fixed_size 0
		.amdhsa_private_segment_fixed_size 0
		.amdhsa_kernarg_size 156
		.amdhsa_user_sgpr_count 2
		.amdhsa_user_sgpr_dispatch_ptr 0
		.amdhsa_user_sgpr_queue_ptr 0
		.amdhsa_user_sgpr_kernarg_segment_ptr 1
		.amdhsa_user_sgpr_dispatch_id 0
		.amdhsa_user_sgpr_kernarg_preload_length 0
		.amdhsa_user_sgpr_kernarg_preload_offset 0
		.amdhsa_user_sgpr_private_segment_size 0
		.amdhsa_wavefront_size32 1
		.amdhsa_uses_dynamic_stack 0
		.amdhsa_enable_private_segment 0
		.amdhsa_system_sgpr_workgroup_id_x 1
		.amdhsa_system_sgpr_workgroup_id_y 0
		.amdhsa_system_sgpr_workgroup_id_z 0
		.amdhsa_system_sgpr_workgroup_info 0
		.amdhsa_system_vgpr_workitem_id 0
		.amdhsa_next_free_vgpr 22
		.amdhsa_next_free_sgpr 38
		.amdhsa_named_barrier_count 0
		.amdhsa_reserve_vcc 1
		.amdhsa_float_round_mode_32 0
		.amdhsa_float_round_mode_16_64 0
		.amdhsa_float_denorm_mode_32 3
		.amdhsa_float_denorm_mode_16_64 3
		.amdhsa_fp16_overflow 0
		.amdhsa_memory_ordered 1
		.amdhsa_forward_progress 1
		.amdhsa_inst_pref_size 27
		.amdhsa_round_robin_scheduling 0
		.amdhsa_exception_fp_ieee_invalid_op 0
		.amdhsa_exception_fp_denorm_src 0
		.amdhsa_exception_fp_ieee_div_zero 0
		.amdhsa_exception_fp_ieee_overflow 0
		.amdhsa_exception_fp_ieee_underflow 0
		.amdhsa_exception_fp_ieee_inexact 0
		.amdhsa_exception_int_div_zero 0
	.end_amdhsa_kernel
	.section	.text._ZN9rocsparseL41csrgemm_numeric_fill_block_per_row_kernelILj1024ELj64ELj4096ELj137ELj64EiidEEvT5_PKS1_S3_NS_24const_host_device_scalarIT6_EEPKT4_S3_PKS5_S9_S3_SB_S6_S9_S3_SB_S9_S3_PS5_21rocsparse_index_base_SD_SD_SD_bbb,"axG",@progbits,_ZN9rocsparseL41csrgemm_numeric_fill_block_per_row_kernelILj1024ELj64ELj4096ELj137ELj64EiidEEvT5_PKS1_S3_NS_24const_host_device_scalarIT6_EEPKT4_S3_PKS5_S9_S3_SB_S6_S9_S3_SB_S9_S3_PS5_21rocsparse_index_base_SD_SD_SD_bbb,comdat
.Lfunc_end31:
	.size	_ZN9rocsparseL41csrgemm_numeric_fill_block_per_row_kernelILj1024ELj64ELj4096ELj137ELj64EiidEEvT5_PKS1_S3_NS_24const_host_device_scalarIT6_EEPKT4_S3_PKS5_S9_S3_SB_S6_S9_S3_SB_S9_S3_PS5_21rocsparse_index_base_SD_SD_SD_bbb, .Lfunc_end31-_ZN9rocsparseL41csrgemm_numeric_fill_block_per_row_kernelILj1024ELj64ELj4096ELj137ELj64EiidEEvT5_PKS1_S3_NS_24const_host_device_scalarIT6_EEPKT4_S3_PKS5_S9_S3_SB_S6_S9_S3_SB_S9_S3_PS5_21rocsparse_index_base_SD_SD_SD_bbb
                                        ; -- End function
	.set _ZN9rocsparseL41csrgemm_numeric_fill_block_per_row_kernelILj1024ELj64ELj4096ELj137ELj64EiidEEvT5_PKS1_S3_NS_24const_host_device_scalarIT6_EEPKT4_S3_PKS5_S9_S3_SB_S6_S9_S3_SB_S9_S3_PS5_21rocsparse_index_base_SD_SD_SD_bbb.num_vgpr, 22
	.set _ZN9rocsparseL41csrgemm_numeric_fill_block_per_row_kernelILj1024ELj64ELj4096ELj137ELj64EiidEEvT5_PKS1_S3_NS_24const_host_device_scalarIT6_EEPKT4_S3_PKS5_S9_S3_SB_S6_S9_S3_SB_S9_S3_PS5_21rocsparse_index_base_SD_SD_SD_bbb.num_agpr, 0
	.set _ZN9rocsparseL41csrgemm_numeric_fill_block_per_row_kernelILj1024ELj64ELj4096ELj137ELj64EiidEEvT5_PKS1_S3_NS_24const_host_device_scalarIT6_EEPKT4_S3_PKS5_S9_S3_SB_S6_S9_S3_SB_S9_S3_PS5_21rocsparse_index_base_SD_SD_SD_bbb.numbered_sgpr, 38
	.set _ZN9rocsparseL41csrgemm_numeric_fill_block_per_row_kernelILj1024ELj64ELj4096ELj137ELj64EiidEEvT5_PKS1_S3_NS_24const_host_device_scalarIT6_EEPKT4_S3_PKS5_S9_S3_SB_S6_S9_S3_SB_S9_S3_PS5_21rocsparse_index_base_SD_SD_SD_bbb.num_named_barrier, 0
	.set _ZN9rocsparseL41csrgemm_numeric_fill_block_per_row_kernelILj1024ELj64ELj4096ELj137ELj64EiidEEvT5_PKS1_S3_NS_24const_host_device_scalarIT6_EEPKT4_S3_PKS5_S9_S3_SB_S6_S9_S3_SB_S9_S3_PS5_21rocsparse_index_base_SD_SD_SD_bbb.private_seg_size, 0
	.set _ZN9rocsparseL41csrgemm_numeric_fill_block_per_row_kernelILj1024ELj64ELj4096ELj137ELj64EiidEEvT5_PKS1_S3_NS_24const_host_device_scalarIT6_EEPKT4_S3_PKS5_S9_S3_SB_S6_S9_S3_SB_S9_S3_PS5_21rocsparse_index_base_SD_SD_SD_bbb.uses_vcc, 1
	.set _ZN9rocsparseL41csrgemm_numeric_fill_block_per_row_kernelILj1024ELj64ELj4096ELj137ELj64EiidEEvT5_PKS1_S3_NS_24const_host_device_scalarIT6_EEPKT4_S3_PKS5_S9_S3_SB_S6_S9_S3_SB_S9_S3_PS5_21rocsparse_index_base_SD_SD_SD_bbb.uses_flat_scratch, 0
	.set _ZN9rocsparseL41csrgemm_numeric_fill_block_per_row_kernelILj1024ELj64ELj4096ELj137ELj64EiidEEvT5_PKS1_S3_NS_24const_host_device_scalarIT6_EEPKT4_S3_PKS5_S9_S3_SB_S6_S9_S3_SB_S9_S3_PS5_21rocsparse_index_base_SD_SD_SD_bbb.has_dyn_sized_stack, 0
	.set _ZN9rocsparseL41csrgemm_numeric_fill_block_per_row_kernelILj1024ELj64ELj4096ELj137ELj64EiidEEvT5_PKS1_S3_NS_24const_host_device_scalarIT6_EEPKT4_S3_PKS5_S9_S3_SB_S6_S9_S3_SB_S9_S3_PS5_21rocsparse_index_base_SD_SD_SD_bbb.has_recursion, 0
	.set _ZN9rocsparseL41csrgemm_numeric_fill_block_per_row_kernelILj1024ELj64ELj4096ELj137ELj64EiidEEvT5_PKS1_S3_NS_24const_host_device_scalarIT6_EEPKT4_S3_PKS5_S9_S3_SB_S6_S9_S3_SB_S9_S3_PS5_21rocsparse_index_base_SD_SD_SD_bbb.has_indirect_call, 0
	.section	.AMDGPU.csdata,"",@progbits
; Kernel info:
; codeLenInByte = 3448
; TotalNumSgprs: 40
; NumVgprs: 22
; ScratchSize: 0
; MemoryBound: 0
; FloatMode: 240
; IeeeMode: 1
; LDSByteSize: 0 bytes/workgroup (compile time only)
; SGPRBlocks: 0
; VGPRBlocks: 1
; NumSGPRsForWavesPerEU: 40
; NumVGPRsForWavesPerEU: 22
; NamedBarCnt: 0
; Occupancy: 16
; WaveLimiterHint : 1
; COMPUTE_PGM_RSRC2:SCRATCH_EN: 0
; COMPUTE_PGM_RSRC2:USER_SGPR: 2
; COMPUTE_PGM_RSRC2:TRAP_HANDLER: 0
; COMPUTE_PGM_RSRC2:TGID_X_EN: 1
; COMPUTE_PGM_RSRC2:TGID_Y_EN: 0
; COMPUTE_PGM_RSRC2:TGID_Z_EN: 0
; COMPUTE_PGM_RSRC2:TIDIG_COMP_CNT: 0
	.section	.text._ZN9rocsparseL41csrgemm_numeric_fill_block_per_row_kernelILj1024ELj64ELj8192ELj137ELj32EiidEEvT5_PKS1_S3_NS_24const_host_device_scalarIT6_EEPKT4_S3_PKS5_S9_S3_SB_S6_S9_S3_SB_S9_S3_PS5_21rocsparse_index_base_SD_SD_SD_bbb,"axG",@progbits,_ZN9rocsparseL41csrgemm_numeric_fill_block_per_row_kernelILj1024ELj64ELj8192ELj137ELj32EiidEEvT5_PKS1_S3_NS_24const_host_device_scalarIT6_EEPKT4_S3_PKS5_S9_S3_SB_S6_S9_S3_SB_S9_S3_PS5_21rocsparse_index_base_SD_SD_SD_bbb,comdat
	.globl	_ZN9rocsparseL41csrgemm_numeric_fill_block_per_row_kernelILj1024ELj64ELj8192ELj137ELj32EiidEEvT5_PKS1_S3_NS_24const_host_device_scalarIT6_EEPKT4_S3_PKS5_S9_S3_SB_S6_S9_S3_SB_S9_S3_PS5_21rocsparse_index_base_SD_SD_SD_bbb ; -- Begin function _ZN9rocsparseL41csrgemm_numeric_fill_block_per_row_kernelILj1024ELj64ELj8192ELj137ELj32EiidEEvT5_PKS1_S3_NS_24const_host_device_scalarIT6_EEPKT4_S3_PKS5_S9_S3_SB_S6_S9_S3_SB_S9_S3_PS5_21rocsparse_index_base_SD_SD_SD_bbb
	.p2align	8
	.type	_ZN9rocsparseL41csrgemm_numeric_fill_block_per_row_kernelILj1024ELj64ELj8192ELj137ELj32EiidEEvT5_PKS1_S3_NS_24const_host_device_scalarIT6_EEPKT4_S3_PKS5_S9_S3_SB_S6_S9_S3_SB_S9_S3_PS5_21rocsparse_index_base_SD_SD_SD_bbb,@function
_ZN9rocsparseL41csrgemm_numeric_fill_block_per_row_kernelILj1024ELj64ELj8192ELj137ELj32EiidEEvT5_PKS1_S3_NS_24const_host_device_scalarIT6_EEPKT4_S3_PKS5_S9_S3_SB_S6_S9_S3_SB_S9_S3_PS5_21rocsparse_index_base_SD_SD_SD_bbb: ; @_ZN9rocsparseL41csrgemm_numeric_fill_block_per_row_kernelILj1024ELj64ELj8192ELj137ELj32EiidEEvT5_PKS1_S3_NS_24const_host_device_scalarIT6_EEPKT4_S3_PKS5_S9_S3_SB_S6_S9_S3_SB_S9_S3_PS5_21rocsparse_index_base_SD_SD_SD_bbb
; %bb.0:
	s_clause 0x4
	s_load_b32 s11, s[0:1], 0x98
	s_load_b64 s[8:9], s[0:1], 0x18
	s_load_b128 s[4:7], s[0:1], 0x8
	s_load_b128 s[36:39], s[0:1], 0x88
	s_load_b64 s[2:3], s[0:1], 0x50
	s_wait_kmcnt 0x0
	s_bitcmp1_b32 s11, 0
	s_cselect_b32 s10, -1, 0
	s_bitcmp1_b32 s11, 16
	s_cselect_b32 s13, -1, 0
	s_xor_b32 s12, s10, -1
	s_delay_alu instid0(SALU_CYCLE_1)
	s_or_b32 s12, s13, s12
	s_and_b32 s14, s10, exec_lo
	s_cselect_b32 s15, s9, 0
	s_cselect_b32 s14, s8, 0
	s_and_b32 vcc_lo, exec_lo, s12
	v_mov_b64_e32 v[4:5], s[14:15]
	s_cbranch_vccnz .LBB32_2
; %bb.1:
	v_mov_b32_e32 v1, 0
	flat_load_b64 v[4:5], v1, s[8:9]
.LBB32_2:
	s_bitcmp1_b32 s11, 8
	s_cselect_b32 s12, -1, 0
	s_wait_xcnt 0x0
	s_xor_b32 s8, s12, -1
	s_delay_alu instid0(SALU_CYCLE_1)
	s_or_b32 s11, s13, s8
	s_and_b32 s8, s12, exec_lo
	s_cselect_b32 s9, s3, 0
	s_cselect_b32 s8, s2, 0
	s_and_b32 vcc_lo, exec_lo, s11
	v_mov_b64_e32 v[2:3], s[8:9]
	s_cbranch_vccnz .LBB32_4
; %bb.3:
	v_mov_b32_e32 v1, 0
	flat_load_b64 v[2:3], v1, s[2:3]
.LBB32_4:
	s_load_b32 s33, s[0:1], 0x0
	v_dual_lshlrev_b32 v8, 2, v0 :: v_dual_lshlrev_b32 v12, 3, v0
	v_mov_b64_e32 v[6:7], 0
	s_bfe_u32 s3, ttmp6, 0x4000c
	s_delay_alu instid0(VALU_DEP_2) | instskip(NEXT) | instid1(VALU_DEP_3)
	v_add_nc_u32_e32 v1, 0, v8
	v_add3_u32 v9, 0x8000, 0, v12
	s_add_co_i32 s3, s3, 1
	s_delay_alu instid0(SALU_CYCLE_1)
	s_mul_i32 s3, ttmp9, s3
	s_wait_kmcnt 0x0
	v_dual_add_nc_u32 v8, v1, v8 :: v_dual_mov_b32 v10, s33
	ds_store_2addr_stride64_b64 v8, v[6:7], v[6:7] offset0:64 offset1:80
	ds_store_2addr_stride64_b64 v8, v[6:7], v[6:7] offset0:96 offset1:112
	ds_store_2addr_stride64_b64 v9, v[6:7], v[6:7] offset0:64 offset1:80
	v_dual_mov_b32 v8, s33 :: v_dual_mov_b32 v11, s33
	v_dual_mov_b32 v13, s33 :: v_dual_mov_b32 v14, s33
	;; [unrolled: 1-line block ×3, first 2 shown]
	v_mov_b32_e32 v17, s33
	ds_store_2addr_stride64_b64 v9, v[6:7], v[6:7] offset0:96 offset1:112
	ds_store_2addr_stride64_b32 v1, v8, v10 offset1:16
	ds_store_2addr_stride64_b32 v1, v11, v13 offset0:32 offset1:48
	ds_store_2addr_stride64_b32 v1, v14, v15 offset0:64 offset1:80
	;; [unrolled: 1-line block ×3, first 2 shown]
	s_wait_loadcnt_dscnt 0x0
	s_barrier_signal -1
	s_barrier_wait -1
	s_load_b32 s2, s[4:5], 0x0
	s_wait_xcnt 0x0
	s_and_b32 s4, ttmp6, 15
	s_getreg_b32 s5, hwreg(HW_REG_IB_STS2, 6, 4)
	s_add_co_i32 s4, s4, s3
	s_cmp_eq_u32 s5, 0
	s_cselect_b32 s3, ttmp9, s4
	s_and_not1_b32 vcc_lo, exec_lo, s10
	s_wait_kmcnt 0x0
	s_add_co_i32 s2, s2, s3
	s_load_b32 s40, s[6:7], s2 offset:0x0 scale_offset
	s_cbranch_vccnz .LBB32_22
; %bb.5:
	s_wait_xcnt 0x0
	s_load_b64 s[2:3], s[0:1], 0x20
	s_wait_kmcnt 0x0
	s_ashr_i32 s41, s40, 31
	v_lshrrev_b32_e32 v6, 6, v0
	s_lshl_b64 s[4:5], s[40:41], 2
	s_mov_b32 s14, exec_lo
	s_delay_alu instid0(VALU_DEP_1) | instskip(SKIP_3) | instid1(VALU_DEP_1)
	v_subrev_nc_u32_e32 v6, s36, v6
	s_add_nc_u64 s[2:3], s[2:3], s[4:5]
	s_load_b64 s[4:5], s[2:3], 0x0
	s_wait_kmcnt 0x0
	v_add_nc_u32_e32 v6, s4, v6
	s_sub_co_i32 s13, s5, s36
	s_delay_alu instid0(VALU_DEP_1) | instid1(SALU_CYCLE_1)
	v_cmpx_gt_i32_e64 s13, v6
	s_cbranch_execz .LBB32_21
; %bb.6:
	s_clause 0x1
	s_load_b64 s[2:3], s[0:1], 0x48
	s_load_b256 s[4:11], s[0:1], 0x28
	v_and_b32_e32 v7, 63, v0
	s_mov_b32 s15, 0
	s_delay_alu instid0(VALU_DEP_1)
	v_subrev_nc_u32_e32 v13, s37, v7
	s_branch .LBB32_8
.LBB32_7:                               ;   in Loop: Header=BB32_8 Depth=1
	s_or_b32 exec_lo, exec_lo, s16
	v_add_nc_u32_e32 v6, 16, v6
	s_delay_alu instid0(VALU_DEP_1) | instskip(SKIP_1) | instid1(SALU_CYCLE_1)
	v_cmp_le_i32_e32 vcc_lo, s13, v6
	s_or_b32 s15, vcc_lo, s15
	s_and_not1_b32 exec_lo, exec_lo, s15
	s_cbranch_execz .LBB32_21
.LBB32_8:                               ; =>This Loop Header: Depth=1
                                        ;     Child Loop BB32_12 Depth 2
                                        ;       Child Loop BB32_15 Depth 3
	s_wait_kmcnt 0x0
	global_load_b32 v7, v6, s[4:5] scale_offset
	s_mov_b32 s16, exec_lo
	s_wait_loadcnt 0x0
	v_subrev_nc_u32_e32 v8, s36, v7
	s_delay_alu instid0(VALU_DEP_1) | instskip(NEXT) | instid1(VALU_DEP_1)
	v_ashrrev_i32_e32 v9, 31, v8
	v_lshl_add_u64 v[8:9], v[8:9], 2, s[8:9]
	global_load_b64 v[8:9], v[8:9], off
	s_wait_loadcnt 0x0
	v_subrev_nc_u32_e32 v14, s37, v9
	v_add_nc_u32_e32 v15, v8, v13
	s_wait_xcnt 0x0
	s_delay_alu instid0(VALU_DEP_1)
	v_cmpx_lt_i32_e64 v15, v14
	s_cbranch_execz .LBB32_7
; %bb.9:                                ;   in Loop: Header=BB32_8 Depth=1
	v_ashrrev_i32_e32 v7, 31, v6
	s_mov_b32 s17, 0
	s_delay_alu instid0(VALU_DEP_1)
	v_lshl_add_u64 v[8:9], v[6:7], 3, s[6:7]
	global_load_b64 v[8:9], v[8:9], off
	s_wait_loadcnt 0x0
	s_wait_xcnt 0x0
	v_mul_f64_e32 v[8:9], v[4:5], v[8:9]
	s_branch .LBB32_12
.LBB32_10:                              ;   in Loop: Header=BB32_12 Depth=2
	s_or_b32 exec_lo, exec_lo, s19
.LBB32_11:                              ;   in Loop: Header=BB32_12 Depth=2
	s_delay_alu instid0(SALU_CYCLE_1) | instskip(SKIP_4) | instid1(VALU_DEP_1)
	s_or_b32 exec_lo, exec_lo, s18
	s_wait_loadcnt 0x0
	v_mul_f64_e32 v[10:11], v[8:9], v[10:11]
	v_lshl_add_u32 v7, v7, 3, 0
	v_add_nc_u32_e32 v15, 64, v15
	v_cmp_ge_i32_e32 vcc_lo, v15, v14
	s_or_b32 s17, vcc_lo, s17
	ds_add_f64 v7, v[10:11] offset:32768
	s_and_not1_b32 exec_lo, exec_lo, s17
	s_cbranch_execz .LBB32_7
.LBB32_12:                              ;   Parent Loop BB32_8 Depth=1
                                        ; =>  This Loop Header: Depth=2
                                        ;       Child Loop BB32_15 Depth 3
	s_clause 0x1
	global_load_b32 v7, v15, s[10:11] scale_offset
	global_load_b64 v[10:11], v15, s[2:3] scale_offset
	s_mov_b32 s18, exec_lo
	s_wait_loadcnt 0x1
	v_subrev_nc_u32_e32 v16, s37, v7
	s_delay_alu instid0(VALU_DEP_1) | instskip(NEXT) | instid1(VALU_DEP_1)
	v_mul_lo_u32 v7, 0x89, v16
	v_and_b32_e32 v7, 0x1fff, v7
	s_delay_alu instid0(VALU_DEP_1)
	v_lshl_add_u32 v17, v7, 2, 0
	ds_load_b32 v18, v17
	s_wait_dscnt 0x0
	s_wait_xcnt 0x0
	v_cmpx_ne_u32_e64 v18, v16
	s_cbranch_execz .LBB32_11
; %bb.13:                               ;   in Loop: Header=BB32_12 Depth=2
	s_mov_b32 s19, 0
	s_branch .LBB32_15
.LBB32_14:                              ;   in Loop: Header=BB32_15 Depth=3
	s_or_b32 exec_lo, exec_lo, s22
	s_delay_alu instid0(SALU_CYCLE_1) | instskip(NEXT) | instid1(SALU_CYCLE_1)
	s_and_b32 s20, exec_lo, s21
	s_or_b32 s19, s20, s19
	s_delay_alu instid0(SALU_CYCLE_1)
	s_and_not1_b32 exec_lo, exec_lo, s19
	s_cbranch_execz .LBB32_10
.LBB32_15:                              ;   Parent Loop BB32_8 Depth=1
                                        ;     Parent Loop BB32_12 Depth=2
                                        ; =>    This Inner Loop Header: Depth=3
	s_mov_b32 s20, 0
	s_mov_b32 s21, exec_lo
	v_cmpx_ne_u32_e64 s33, v18
	s_xor_b32 s21, exec_lo, s21
	s_cbranch_execz .LBB32_17
; %bb.16:                               ;   in Loop: Header=BB32_15 Depth=3
	v_add_nc_u32_e32 v7, 1, v7
	s_mov_b32 s20, exec_lo
                                        ; implicit-def: $vgpr17
	s_delay_alu instid0(VALU_DEP_1)
	v_and_b32_e32 v7, 0x1fff, v7
	s_and_not1_saveexec_b32 s21, s21
	s_cbranch_execz .LBB32_19
	s_branch .LBB32_18
.LBB32_17:                              ;   in Loop: Header=BB32_15 Depth=3
	s_and_not1_saveexec_b32 s21, s21
	s_cbranch_execz .LBB32_19
.LBB32_18:                              ;   in Loop: Header=BB32_15 Depth=3
	v_mov_b32_e32 v18, s33
	s_and_not1_b32 s20, s20, exec_lo
	ds_cmpstore_rtn_b32 v17, v17, v16, v18
	s_wait_dscnt 0x0
	v_cmp_ne_u32_e32 vcc_lo, s33, v17
	s_and_b32 s22, vcc_lo, exec_lo
	s_delay_alu instid0(SALU_CYCLE_1)
	s_or_b32 s20, s20, s22
.LBB32_19:                              ;   in Loop: Header=BB32_15 Depth=3
	s_or_b32 exec_lo, exec_lo, s21
	s_mov_b32 s21, -1
                                        ; implicit-def: $vgpr17
                                        ; implicit-def: $vgpr18
	s_and_saveexec_b32 s22, s20
	s_cbranch_execz .LBB32_14
; %bb.20:                               ;   in Loop: Header=BB32_15 Depth=3
	v_lshl_add_u32 v17, v7, 2, 0
	ds_load_b32 v18, v17
	s_wait_dscnt 0x0
	v_cmp_eq_u32_e32 vcc_lo, v18, v16
	s_or_not1_b32 s21, vcc_lo, exec_lo
	s_branch .LBB32_14
.LBB32_21:
	s_or_b32 exec_lo, exec_lo, s14
.LBB32_22:
	s_load_b64 s[34:35], s[0:1], 0x80
	s_and_not1_b32 vcc_lo, exec_lo, s12
	s_cbranch_vccnz .LBB32_37
; %bb.23:
	s_wait_xcnt 0x0
	s_load_b64 s[2:3], s[0:1], 0x58
	s_wait_kmcnt 0x0
	s_ashr_i32 s41, s40, 31
	v_subrev_nc_u32_e32 v4, s39, v0
	s_lshl_b64 s[4:5], s[40:41], 2
	s_delay_alu instid0(SALU_CYCLE_1)
	s_add_nc_u64 s[2:3], s[2:3], s[4:5]
	s_load_b64 s[4:5], s[2:3], 0x0
	s_wait_xcnt 0x0
	s_mov_b32 s3, exec_lo
	s_wait_kmcnt 0x0
	v_add_nc_u32_e32 v6, s4, v4
	s_sub_co_i32 s2, s5, s39
	s_delay_alu instid0(VALU_DEP_1) | instid1(SALU_CYCLE_1)
	v_cmpx_gt_i32_e64 s2, v6
	s_cbranch_execz .LBB32_36
; %bb.24:
	s_load_b128 s[4:7], s[0:1], 0x60
	s_mov_b32 s8, 0
	s_branch .LBB32_27
.LBB32_25:                              ;   in Loop: Header=BB32_27 Depth=1
	s_or_b32 exec_lo, exec_lo, s10
.LBB32_26:                              ;   in Loop: Header=BB32_27 Depth=1
	s_delay_alu instid0(SALU_CYCLE_1) | instskip(SKIP_4) | instid1(VALU_DEP_1)
	s_or_b32 exec_lo, exec_lo, s9
	s_wait_loadcnt 0x0
	v_mul_f64_e32 v[4:5], v[2:3], v[4:5]
	v_lshl_add_u32 v7, v7, 3, 0
	v_add_nc_u32_e32 v6, 0x400, v6
	v_cmp_le_i32_e32 vcc_lo, s2, v6
	s_or_b32 s8, vcc_lo, s8
	ds_add_f64 v7, v[4:5] offset:32768
	s_and_not1_b32 exec_lo, exec_lo, s8
	s_cbranch_execz .LBB32_36
.LBB32_27:                              ; =>This Loop Header: Depth=1
                                        ;     Child Loop BB32_30 Depth 2
	s_wait_kmcnt 0x0
	s_clause 0x1
	global_load_b32 v7, v6, s[4:5] scale_offset
	global_load_b64 v[4:5], v6, s[6:7] scale_offset
	s_mov_b32 s9, exec_lo
	s_wait_loadcnt 0x1
	v_subrev_nc_u32_e32 v8, s39, v7
	s_delay_alu instid0(VALU_DEP_1) | instskip(NEXT) | instid1(VALU_DEP_1)
	v_mul_lo_u32 v7, 0x89, v8
	v_and_b32_e32 v7, 0x1fff, v7
	s_delay_alu instid0(VALU_DEP_1)
	v_lshl_add_u32 v9, v7, 2, 0
	ds_load_b32 v10, v9
	s_wait_dscnt 0x0
	s_wait_xcnt 0x0
	v_cmpx_ne_u32_e64 v10, v8
	s_cbranch_execz .LBB32_26
; %bb.28:                               ;   in Loop: Header=BB32_27 Depth=1
	s_mov_b32 s10, 0
	s_branch .LBB32_30
.LBB32_29:                              ;   in Loop: Header=BB32_30 Depth=2
	s_or_b32 exec_lo, exec_lo, s13
	s_delay_alu instid0(SALU_CYCLE_1) | instskip(NEXT) | instid1(SALU_CYCLE_1)
	s_and_b32 s11, exec_lo, s12
	s_or_b32 s10, s11, s10
	s_delay_alu instid0(SALU_CYCLE_1)
	s_and_not1_b32 exec_lo, exec_lo, s10
	s_cbranch_execz .LBB32_25
.LBB32_30:                              ;   Parent Loop BB32_27 Depth=1
                                        ; =>  This Inner Loop Header: Depth=2
	s_mov_b32 s11, 0
	s_mov_b32 s12, exec_lo
	v_cmpx_ne_u32_e64 s33, v10
	s_xor_b32 s12, exec_lo, s12
	s_cbranch_execz .LBB32_32
; %bb.31:                               ;   in Loop: Header=BB32_30 Depth=2
	v_add_nc_u32_e32 v7, 1, v7
	s_mov_b32 s11, exec_lo
                                        ; implicit-def: $vgpr9
	s_delay_alu instid0(VALU_DEP_1)
	v_and_b32_e32 v7, 0x1fff, v7
	s_and_not1_saveexec_b32 s12, s12
	s_cbranch_execz .LBB32_34
	s_branch .LBB32_33
.LBB32_32:                              ;   in Loop: Header=BB32_30 Depth=2
	s_and_not1_saveexec_b32 s12, s12
	s_cbranch_execz .LBB32_34
.LBB32_33:                              ;   in Loop: Header=BB32_30 Depth=2
	v_mov_b32_e32 v10, s33
	s_and_not1_b32 s11, s11, exec_lo
	ds_cmpstore_rtn_b32 v9, v9, v8, v10
	s_wait_dscnt 0x0
	v_cmp_ne_u32_e32 vcc_lo, s33, v9
	s_and_b32 s13, vcc_lo, exec_lo
	s_delay_alu instid0(SALU_CYCLE_1)
	s_or_b32 s11, s11, s13
.LBB32_34:                              ;   in Loop: Header=BB32_30 Depth=2
	s_or_b32 exec_lo, exec_lo, s12
	s_mov_b32 s12, -1
                                        ; implicit-def: $vgpr9
                                        ; implicit-def: $vgpr10
	s_and_saveexec_b32 s13, s11
	s_cbranch_execz .LBB32_29
; %bb.35:                               ;   in Loop: Header=BB32_30 Depth=2
	v_lshl_add_u32 v9, v7, 2, 0
	ds_load_b32 v10, v9
	s_wait_dscnt 0x0
	v_cmp_eq_u32_e32 vcc_lo, v10, v8
	s_or_not1_b32 s12, vcc_lo, exec_lo
	s_branch .LBB32_29
.LBB32_36:
	s_or_b32 exec_lo, exec_lo, s3
.LBB32_37:
	s_load_b64 s[36:37], s[0:1], 0x70
	v_mbcnt_lo_u32_b32 v2, -1, 0
	v_lshrrev_b32_e32 v3, 3, v0
	s_wait_xcnt 0x0
	v_cmp_lt_u32_e64 s0, 31, v0
	v_cmp_lt_u32_e64 s1, 63, v0
	;; [unrolled: 1-line block ×3, first 2 shown]
	v_xor_b32_e32 v2, 31, v2
	v_and_b32_e32 v4, 0x7c, v3
	v_mov_b32_e32 v3, 0
	v_cmp_lt_u32_e64 s3, 0x7f, v0
	v_cmp_lt_u32_e64 s4, 0x9f, v0
	v_lshrrev_b32_e64 v2, v2, -1
	v_add3_u32 v6, 0x18000, 0, v4
	v_cmp_lt_u32_e64 s5, 0xbf, v0
	v_cmp_lt_u32_e64 s6, 0xdf, v0
	;; [unrolled: 1-line block ×26, first 2 shown]
	v_add3_u32 v7, v12, 0, 0x8000
	v_or_b32_e32 v8, 0xfffffc00, v0
	s_mov_b32 s39, 0
	s_add_co_i32 s41, 0, 0x18000
	s_add_co_i32 s42, 0, 0x18004
	;; [unrolled: 1-line block ×32, first 2 shown]
	s_wait_dscnt 0x0
	s_barrier_signal -1
	s_barrier_wait -1
	v_cmp_eq_u32_e32 vcc_lo, 0x3ff, v0
	s_branch .LBB32_39
.LBB32_38:                              ;   in Loop: Header=BB32_39 Depth=1
	s_or_b32 exec_lo, exec_lo, s31
	v_dual_mov_b32 v4, s72 :: v_dual_add_nc_u32 v7, 0x2000, v7
	s_wait_dscnt 0x0
	s_barrier_signal -1
	s_barrier_wait -1
	ds_load_b32 v4, v4
	v_add_nc_u32_e32 v8, 0x400, v8
	v_add_nc_u32_e32 v1, 0x1000, v1
	s_delay_alu instid0(VALU_DEP_2)
	v_cmp_lt_u32_e64 s31, 0x1bff, v8
	s_or_b32 s39, s31, s39
	s_wait_dscnt 0x0
	v_add_nc_u32_e32 v3, v4, v3
	s_and_not1_b32 exec_lo, exec_lo, s39
	s_cbranch_execz .LBB32_105
.LBB32_39:                              ; =>This Inner Loop Header: Depth=1
	ds_load_b32 v9, v1
	ds_load_b64 v[4:5], v7
	s_wait_dscnt 0x0
	s_barrier_signal -1
	s_barrier_wait -1
	v_cmp_gt_i32_e64 s31, s33, v9
	s_bcnt1_i32_b32 s73, s31
	s_delay_alu instid0(SALU_CYCLE_1) | instskip(NEXT) | instid1(VALU_DEP_1)
	v_dual_mov_b32 v11, s73 :: v_dual_bitop2_b32 v10, s31, v2 bitop3:0x40
	v_bcnt_u32_b32 v10, v10, 0
	ds_store_b32 v6, v11
	s_wait_dscnt 0x0
	s_barrier_signal -1
	s_barrier_wait -1
	s_and_saveexec_b32 s73, s0
	s_cbranch_execz .LBB32_72
; %bb.40:                               ;   in Loop: Header=BB32_39 Depth=1
	v_mov_b32_e32 v11, s41
	ds_load_b32 v11, v11
	s_wait_dscnt 0x0
	v_add_nc_u32_e32 v10, v11, v10
	s_or_b32 exec_lo, exec_lo, s73
	s_and_saveexec_b32 s73, s1
	s_cbranch_execnz .LBB32_73
.LBB32_41:                              ;   in Loop: Header=BB32_39 Depth=1
	s_or_b32 exec_lo, exec_lo, s73
	s_and_saveexec_b32 s73, s2
	s_cbranch_execz .LBB32_74
.LBB32_42:                              ;   in Loop: Header=BB32_39 Depth=1
	v_mov_b32_e32 v11, s43
	ds_load_b32 v11, v11
	s_wait_dscnt 0x0
	v_add_nc_u32_e32 v10, v11, v10
	s_or_b32 exec_lo, exec_lo, s73
	s_and_saveexec_b32 s73, s3
	s_cbranch_execnz .LBB32_75
.LBB32_43:                              ;   in Loop: Header=BB32_39 Depth=1
	s_or_b32 exec_lo, exec_lo, s73
	s_and_saveexec_b32 s73, s4
	s_cbranch_execz .LBB32_76
.LBB32_44:                              ;   in Loop: Header=BB32_39 Depth=1
	v_mov_b32_e32 v11, s45
	ds_load_b32 v11, v11
	s_wait_dscnt 0x0
	v_add_nc_u32_e32 v10, v11, v10
	s_or_b32 exec_lo, exec_lo, s73
	s_and_saveexec_b32 s73, s5
	s_cbranch_execnz .LBB32_77
.LBB32_45:                              ;   in Loop: Header=BB32_39 Depth=1
	s_or_b32 exec_lo, exec_lo, s73
	s_and_saveexec_b32 s73, s6
	s_cbranch_execz .LBB32_78
.LBB32_46:                              ;   in Loop: Header=BB32_39 Depth=1
	v_mov_b32_e32 v11, s47
	ds_load_b32 v11, v11
	s_wait_dscnt 0x0
	v_add_nc_u32_e32 v10, v11, v10
	s_or_b32 exec_lo, exec_lo, s73
	s_and_saveexec_b32 s73, s7
	s_cbranch_execnz .LBB32_79
.LBB32_47:                              ;   in Loop: Header=BB32_39 Depth=1
	s_or_b32 exec_lo, exec_lo, s73
	s_and_saveexec_b32 s73, s8
	s_cbranch_execz .LBB32_80
.LBB32_48:                              ;   in Loop: Header=BB32_39 Depth=1
	v_mov_b32_e32 v11, s49
	ds_load_b32 v11, v11
	s_wait_dscnt 0x0
	v_add_nc_u32_e32 v10, v11, v10
	s_or_b32 exec_lo, exec_lo, s73
	s_and_saveexec_b32 s73, s9
	s_cbranch_execnz .LBB32_81
.LBB32_49:                              ;   in Loop: Header=BB32_39 Depth=1
	s_or_b32 exec_lo, exec_lo, s73
	s_and_saveexec_b32 s73, s10
	s_cbranch_execz .LBB32_82
.LBB32_50:                              ;   in Loop: Header=BB32_39 Depth=1
	v_mov_b32_e32 v11, s51
	ds_load_b32 v11, v11
	s_wait_dscnt 0x0
	v_add_nc_u32_e32 v10, v11, v10
	s_or_b32 exec_lo, exec_lo, s73
	s_and_saveexec_b32 s73, s11
	s_cbranch_execnz .LBB32_83
.LBB32_51:                              ;   in Loop: Header=BB32_39 Depth=1
	s_or_b32 exec_lo, exec_lo, s73
	s_and_saveexec_b32 s73, s12
	s_cbranch_execz .LBB32_84
.LBB32_52:                              ;   in Loop: Header=BB32_39 Depth=1
	v_mov_b32_e32 v11, s53
	ds_load_b32 v11, v11
	s_wait_dscnt 0x0
	v_add_nc_u32_e32 v10, v11, v10
	s_or_b32 exec_lo, exec_lo, s73
	s_and_saveexec_b32 s73, s13
	s_cbranch_execnz .LBB32_85
.LBB32_53:                              ;   in Loop: Header=BB32_39 Depth=1
	s_or_b32 exec_lo, exec_lo, s73
	s_and_saveexec_b32 s73, s14
	s_cbranch_execz .LBB32_86
.LBB32_54:                              ;   in Loop: Header=BB32_39 Depth=1
	v_mov_b32_e32 v11, s55
	ds_load_b32 v11, v11
	s_wait_dscnt 0x0
	v_add_nc_u32_e32 v10, v11, v10
	s_or_b32 exec_lo, exec_lo, s73
	s_and_saveexec_b32 s73, s15
	s_cbranch_execnz .LBB32_87
.LBB32_55:                              ;   in Loop: Header=BB32_39 Depth=1
	s_or_b32 exec_lo, exec_lo, s73
	s_and_saveexec_b32 s73, s16
	s_cbranch_execz .LBB32_88
.LBB32_56:                              ;   in Loop: Header=BB32_39 Depth=1
	v_mov_b32_e32 v11, s57
	ds_load_b32 v11, v11
	s_wait_dscnt 0x0
	v_add_nc_u32_e32 v10, v11, v10
	s_or_b32 exec_lo, exec_lo, s73
	s_and_saveexec_b32 s73, s17
	s_cbranch_execnz .LBB32_89
.LBB32_57:                              ;   in Loop: Header=BB32_39 Depth=1
	s_or_b32 exec_lo, exec_lo, s73
	s_and_saveexec_b32 s73, s18
	s_cbranch_execz .LBB32_90
.LBB32_58:                              ;   in Loop: Header=BB32_39 Depth=1
	v_mov_b32_e32 v11, s59
	ds_load_b32 v11, v11
	s_wait_dscnt 0x0
	v_add_nc_u32_e32 v10, v11, v10
	s_or_b32 exec_lo, exec_lo, s73
	s_and_saveexec_b32 s73, s19
	s_cbranch_execnz .LBB32_91
.LBB32_59:                              ;   in Loop: Header=BB32_39 Depth=1
	s_or_b32 exec_lo, exec_lo, s73
	s_and_saveexec_b32 s73, s20
	s_cbranch_execz .LBB32_92
.LBB32_60:                              ;   in Loop: Header=BB32_39 Depth=1
	v_mov_b32_e32 v11, s61
	ds_load_b32 v11, v11
	s_wait_dscnt 0x0
	v_add_nc_u32_e32 v10, v11, v10
	s_or_b32 exec_lo, exec_lo, s73
	s_and_saveexec_b32 s73, s21
	s_cbranch_execnz .LBB32_93
.LBB32_61:                              ;   in Loop: Header=BB32_39 Depth=1
	s_or_b32 exec_lo, exec_lo, s73
	s_and_saveexec_b32 s73, s22
	s_cbranch_execz .LBB32_94
.LBB32_62:                              ;   in Loop: Header=BB32_39 Depth=1
	v_mov_b32_e32 v11, s63
	ds_load_b32 v11, v11
	s_wait_dscnt 0x0
	v_add_nc_u32_e32 v10, v11, v10
	s_or_b32 exec_lo, exec_lo, s73
	s_and_saveexec_b32 s73, s23
	s_cbranch_execnz .LBB32_95
.LBB32_63:                              ;   in Loop: Header=BB32_39 Depth=1
	s_or_b32 exec_lo, exec_lo, s73
	s_and_saveexec_b32 s73, s24
	s_cbranch_execz .LBB32_96
.LBB32_64:                              ;   in Loop: Header=BB32_39 Depth=1
	v_mov_b32_e32 v11, s65
	ds_load_b32 v11, v11
	s_wait_dscnt 0x0
	v_add_nc_u32_e32 v10, v11, v10
	s_or_b32 exec_lo, exec_lo, s73
	s_and_saveexec_b32 s73, s25
	s_cbranch_execnz .LBB32_97
.LBB32_65:                              ;   in Loop: Header=BB32_39 Depth=1
	s_or_b32 exec_lo, exec_lo, s73
	s_and_saveexec_b32 s73, s26
	s_cbranch_execz .LBB32_98
.LBB32_66:                              ;   in Loop: Header=BB32_39 Depth=1
	v_mov_b32_e32 v11, s67
	ds_load_b32 v11, v11
	s_wait_dscnt 0x0
	v_add_nc_u32_e32 v10, v11, v10
	s_or_b32 exec_lo, exec_lo, s73
	s_and_saveexec_b32 s73, s27
	s_cbranch_execnz .LBB32_99
.LBB32_67:                              ;   in Loop: Header=BB32_39 Depth=1
	s_or_b32 exec_lo, exec_lo, s73
	s_and_saveexec_b32 s73, s28
	s_cbranch_execz .LBB32_100
.LBB32_68:                              ;   in Loop: Header=BB32_39 Depth=1
	v_mov_b32_e32 v11, s69
	ds_load_b32 v11, v11
	s_wait_dscnt 0x0
	v_add_nc_u32_e32 v10, v11, v10
	s_or_b32 exec_lo, exec_lo, s73
	s_and_saveexec_b32 s73, s29
	s_cbranch_execnz .LBB32_101
.LBB32_69:                              ;   in Loop: Header=BB32_39 Depth=1
	s_or_b32 exec_lo, exec_lo, s73
	s_and_saveexec_b32 s73, s30
	s_cbranch_execz .LBB32_102
.LBB32_70:                              ;   in Loop: Header=BB32_39 Depth=1
	v_mov_b32_e32 v11, s71
	ds_load_b32 v11, v11
	s_wait_dscnt 0x0
	v_add_nc_u32_e32 v10, v11, v10
	s_or_b32 exec_lo, exec_lo, s73
	s_and_saveexec_b32 s73, s31
	s_cbranch_execnz .LBB32_103
.LBB32_71:                              ;   in Loop: Header=BB32_39 Depth=1
	s_or_b32 exec_lo, exec_lo, s73
	s_and_saveexec_b32 s31, vcc_lo
	s_cbranch_execz .LBB32_38
	s_branch .LBB32_104
.LBB32_72:                              ;   in Loop: Header=BB32_39 Depth=1
	s_or_b32 exec_lo, exec_lo, s73
	s_and_saveexec_b32 s73, s1
	s_cbranch_execz .LBB32_41
.LBB32_73:                              ;   in Loop: Header=BB32_39 Depth=1
	v_mov_b32_e32 v11, s42
	ds_load_b32 v11, v11
	s_wait_dscnt 0x0
	v_add_nc_u32_e32 v10, v11, v10
	s_or_b32 exec_lo, exec_lo, s73
	s_and_saveexec_b32 s73, s2
	s_cbranch_execnz .LBB32_42
.LBB32_74:                              ;   in Loop: Header=BB32_39 Depth=1
	s_or_b32 exec_lo, exec_lo, s73
	s_and_saveexec_b32 s73, s3
	s_cbranch_execz .LBB32_43
.LBB32_75:                              ;   in Loop: Header=BB32_39 Depth=1
	v_mov_b32_e32 v11, s44
	ds_load_b32 v11, v11
	s_wait_dscnt 0x0
	v_add_nc_u32_e32 v10, v11, v10
	s_or_b32 exec_lo, exec_lo, s73
	s_and_saveexec_b32 s73, s4
	s_cbranch_execnz .LBB32_44
.LBB32_76:                              ;   in Loop: Header=BB32_39 Depth=1
	s_or_b32 exec_lo, exec_lo, s73
	s_and_saveexec_b32 s73, s5
	s_cbranch_execz .LBB32_45
.LBB32_77:                              ;   in Loop: Header=BB32_39 Depth=1
	v_mov_b32_e32 v11, s46
	ds_load_b32 v11, v11
	s_wait_dscnt 0x0
	v_add_nc_u32_e32 v10, v11, v10
	s_or_b32 exec_lo, exec_lo, s73
	s_and_saveexec_b32 s73, s6
	s_cbranch_execnz .LBB32_46
.LBB32_78:                              ;   in Loop: Header=BB32_39 Depth=1
	s_or_b32 exec_lo, exec_lo, s73
	s_and_saveexec_b32 s73, s7
	s_cbranch_execz .LBB32_47
.LBB32_79:                              ;   in Loop: Header=BB32_39 Depth=1
	v_mov_b32_e32 v11, s48
	ds_load_b32 v11, v11
	s_wait_dscnt 0x0
	v_add_nc_u32_e32 v10, v11, v10
	s_or_b32 exec_lo, exec_lo, s73
	s_and_saveexec_b32 s73, s8
	s_cbranch_execnz .LBB32_48
.LBB32_80:                              ;   in Loop: Header=BB32_39 Depth=1
	s_or_b32 exec_lo, exec_lo, s73
	s_and_saveexec_b32 s73, s9
	s_cbranch_execz .LBB32_49
.LBB32_81:                              ;   in Loop: Header=BB32_39 Depth=1
	v_mov_b32_e32 v11, s50
	ds_load_b32 v11, v11
	s_wait_dscnt 0x0
	v_add_nc_u32_e32 v10, v11, v10
	s_or_b32 exec_lo, exec_lo, s73
	s_and_saveexec_b32 s73, s10
	s_cbranch_execnz .LBB32_50
.LBB32_82:                              ;   in Loop: Header=BB32_39 Depth=1
	s_or_b32 exec_lo, exec_lo, s73
	s_and_saveexec_b32 s73, s11
	s_cbranch_execz .LBB32_51
.LBB32_83:                              ;   in Loop: Header=BB32_39 Depth=1
	v_mov_b32_e32 v11, s52
	ds_load_b32 v11, v11
	s_wait_dscnt 0x0
	v_add_nc_u32_e32 v10, v11, v10
	s_or_b32 exec_lo, exec_lo, s73
	s_and_saveexec_b32 s73, s12
	s_cbranch_execnz .LBB32_52
.LBB32_84:                              ;   in Loop: Header=BB32_39 Depth=1
	s_or_b32 exec_lo, exec_lo, s73
	s_and_saveexec_b32 s73, s13
	s_cbranch_execz .LBB32_53
.LBB32_85:                              ;   in Loop: Header=BB32_39 Depth=1
	v_mov_b32_e32 v11, s54
	ds_load_b32 v11, v11
	s_wait_dscnt 0x0
	v_add_nc_u32_e32 v10, v11, v10
	s_or_b32 exec_lo, exec_lo, s73
	s_and_saveexec_b32 s73, s14
	s_cbranch_execnz .LBB32_54
.LBB32_86:                              ;   in Loop: Header=BB32_39 Depth=1
	s_or_b32 exec_lo, exec_lo, s73
	s_and_saveexec_b32 s73, s15
	s_cbranch_execz .LBB32_55
.LBB32_87:                              ;   in Loop: Header=BB32_39 Depth=1
	v_mov_b32_e32 v11, s56
	ds_load_b32 v11, v11
	s_wait_dscnt 0x0
	v_add_nc_u32_e32 v10, v11, v10
	s_or_b32 exec_lo, exec_lo, s73
	s_and_saveexec_b32 s73, s16
	s_cbranch_execnz .LBB32_56
.LBB32_88:                              ;   in Loop: Header=BB32_39 Depth=1
	s_or_b32 exec_lo, exec_lo, s73
	s_and_saveexec_b32 s73, s17
	s_cbranch_execz .LBB32_57
.LBB32_89:                              ;   in Loop: Header=BB32_39 Depth=1
	v_mov_b32_e32 v11, s58
	ds_load_b32 v11, v11
	s_wait_dscnt 0x0
	v_add_nc_u32_e32 v10, v11, v10
	s_or_b32 exec_lo, exec_lo, s73
	s_and_saveexec_b32 s73, s18
	s_cbranch_execnz .LBB32_58
.LBB32_90:                              ;   in Loop: Header=BB32_39 Depth=1
	s_or_b32 exec_lo, exec_lo, s73
	s_and_saveexec_b32 s73, s19
	s_cbranch_execz .LBB32_59
.LBB32_91:                              ;   in Loop: Header=BB32_39 Depth=1
	v_mov_b32_e32 v11, s60
	ds_load_b32 v11, v11
	s_wait_dscnt 0x0
	v_add_nc_u32_e32 v10, v11, v10
	s_or_b32 exec_lo, exec_lo, s73
	s_and_saveexec_b32 s73, s20
	s_cbranch_execnz .LBB32_60
.LBB32_92:                              ;   in Loop: Header=BB32_39 Depth=1
	s_or_b32 exec_lo, exec_lo, s73
	s_and_saveexec_b32 s73, s21
	s_cbranch_execz .LBB32_61
.LBB32_93:                              ;   in Loop: Header=BB32_39 Depth=1
	v_mov_b32_e32 v11, s62
	ds_load_b32 v11, v11
	s_wait_dscnt 0x0
	v_add_nc_u32_e32 v10, v11, v10
	s_or_b32 exec_lo, exec_lo, s73
	s_and_saveexec_b32 s73, s22
	s_cbranch_execnz .LBB32_62
.LBB32_94:                              ;   in Loop: Header=BB32_39 Depth=1
	s_or_b32 exec_lo, exec_lo, s73
	s_and_saveexec_b32 s73, s23
	s_cbranch_execz .LBB32_63
.LBB32_95:                              ;   in Loop: Header=BB32_39 Depth=1
	v_mov_b32_e32 v11, s64
	ds_load_b32 v11, v11
	s_wait_dscnt 0x0
	v_add_nc_u32_e32 v10, v11, v10
	s_or_b32 exec_lo, exec_lo, s73
	s_and_saveexec_b32 s73, s24
	s_cbranch_execnz .LBB32_64
.LBB32_96:                              ;   in Loop: Header=BB32_39 Depth=1
	s_or_b32 exec_lo, exec_lo, s73
	s_and_saveexec_b32 s73, s25
	s_cbranch_execz .LBB32_65
.LBB32_97:                              ;   in Loop: Header=BB32_39 Depth=1
	v_mov_b32_e32 v11, s66
	ds_load_b32 v11, v11
	s_wait_dscnt 0x0
	v_add_nc_u32_e32 v10, v11, v10
	s_or_b32 exec_lo, exec_lo, s73
	s_and_saveexec_b32 s73, s26
	s_cbranch_execnz .LBB32_66
.LBB32_98:                              ;   in Loop: Header=BB32_39 Depth=1
	s_or_b32 exec_lo, exec_lo, s73
	s_and_saveexec_b32 s73, s27
	s_cbranch_execz .LBB32_67
.LBB32_99:                              ;   in Loop: Header=BB32_39 Depth=1
	v_mov_b32_e32 v11, s68
	ds_load_b32 v11, v11
	s_wait_dscnt 0x0
	v_add_nc_u32_e32 v10, v11, v10
	s_or_b32 exec_lo, exec_lo, s73
	s_and_saveexec_b32 s73, s28
	s_cbranch_execnz .LBB32_68
.LBB32_100:                             ;   in Loop: Header=BB32_39 Depth=1
	s_or_b32 exec_lo, exec_lo, s73
	s_and_saveexec_b32 s73, s29
	s_cbranch_execz .LBB32_69
.LBB32_101:                             ;   in Loop: Header=BB32_39 Depth=1
	v_mov_b32_e32 v11, s70
	ds_load_b32 v11, v11
	s_wait_dscnt 0x0
	v_add_nc_u32_e32 v10, v11, v10
	s_or_b32 exec_lo, exec_lo, s73
	s_and_saveexec_b32 s73, s30
	s_cbranch_execnz .LBB32_70
.LBB32_102:                             ;   in Loop: Header=BB32_39 Depth=1
	s_or_b32 exec_lo, exec_lo, s73
	s_and_saveexec_b32 s73, s31
	s_cbranch_execz .LBB32_71
.LBB32_103:                             ;   in Loop: Header=BB32_39 Depth=1
	s_delay_alu instid0(VALU_DEP_1) | instskip(SKIP_1) | instid1(VALU_DEP_2)
	v_add3_u32 v11, v3, -1, v10
	v_add_nc_u32_e32 v12, v3, v10
	v_lshl_add_u32 v11, v11, 2, 0
	s_delay_alu instid0(VALU_DEP_2)
	v_lshl_add_u32 v12, v12, 3, 0
	ds_store_b32 v11, v9
	ds_store_b64 v12, v[4:5] offset:32760
	s_or_b32 exec_lo, exec_lo, s73
	s_and_saveexec_b32 s31, vcc_lo
	s_cbranch_execz .LBB32_38
.LBB32_104:                             ;   in Loop: Header=BB32_39 Depth=1
	v_mov_b32_e32 v4, s72
	ds_store_b32 v4, v10
	s_branch .LBB32_38
.LBB32_105:
	s_or_b32 exec_lo, exec_lo, s39
	s_wait_kmcnt 0x0
	s_ashr_i32 s41, s40, 31
	s_delay_alu instid0(SALU_CYCLE_1) | instskip(NEXT) | instid1(SALU_CYCLE_1)
	s_lshl_b64 s[0:1], s[40:41], 2
	s_add_nc_u64 s[2:3], s[36:37], s[0:1]
	s_load_b64 s[0:1], s[2:3], 0x0
	s_wait_kmcnt 0x0
	s_sub_co_i32 s4, s1, s0
	s_mov_b32 s1, exec_lo
	v_cmpx_gt_i32_e64 s4, v0
	s_cbranch_execz .LBB32_119
; %bb.106:
	v_sub_co_u32 v1, s1, s4, 2
	s_sub_co_i32 s2, s0, s38
	s_xor_b32 s6, s1, -1
	s_and_b32 s5, s4, -2
	v_readfirstlane_b32 s3, v1
	s_lshr_b32 s0, s3, 1
	s_mov_b32 s3, 0
	s_add_co_i32 s0, s0, 1
	s_mov_b32 s11, s3
	s_and_b32 s1, s0, 7
	s_and_b32 s7, s0, -8
	s_cmp_lg_u32 s1, 0
	v_cmp_lt_u32_e64 s0, 13, v1
	s_cselect_b32 s8, -1, 0
	s_cmp_lg_u32 s4, s5
	s_cselect_b32 s9, -1, 0
	s_lshl_b32 s10, s1, 3
	s_branch .LBB32_108
.LBB32_107:                             ;   in Loop: Header=BB32_108 Depth=1
	v_add_nc_u32_e32 v0, 0x400, v0
	s_wait_dscnt 0x0
	global_store_b64 v4, v[2:3], s[34:35] scale_offset
	v_cmp_le_i32_e32 vcc_lo, s4, v0
	s_or_b32 s11, vcc_lo, s11
	s_wait_xcnt 0x0
	s_and_not1_b32 exec_lo, exec_lo, s11
	s_cbranch_execz .LBB32_119
.LBB32_108:                             ; =>This Loop Header: Depth=1
                                        ;     Child Loop BB32_111 Depth 2
                                        ;     Child Loop BB32_114 Depth 2
	;; [unrolled: 1-line block ×3, first 2 shown]
	v_dual_mov_b32 v4, s2 :: v_dual_lshlrev_b32 v1, 2, v0
	s_and_not1_b32 vcc_lo, exec_lo, s6
	s_mov_b32 s1, 0
	s_mov_b32 s12, -1
	s_delay_alu instid0(VALU_DEP_1) | instskip(NEXT) | instid1(VALU_DEP_1)
	v_add_nc_u32_e32 v2, 0, v1
	v_add_nc_u32_e32 v3, v2, v1
	ds_load_b32 v1, v2
	ds_load_b64 v[2:3], v3 offset:32768
	s_cbranch_vccnz .LBB32_116
; %bb.109:                              ;   in Loop: Header=BB32_108 Depth=1
	v_mov_b64_e32 v[4:5], s[2:3]
	s_and_not1_b32 vcc_lo, exec_lo, s0
	s_mov_b32 s12, 0
	s_cbranch_vccnz .LBB32_112
; %bb.110:                              ;   in Loop: Header=BB32_108 Depth=1
	v_dual_mov_b32 v4, s2 :: v_dual_mov_b32 v5, 0
	s_mov_b32 s13, 0
	s_mov_b32 s14, s7
.LBB32_111:                             ;   Parent Loop BB32_108 Depth=1
                                        ; =>  This Inner Loop Header: Depth=2
	v_mov_b32_e32 v20, s13
	s_add_co_i32 s14, s14, -8
	s_add_co_i32 s12, s12, 16
	s_add_co_i32 s13, s13, 64
	s_cmp_lg_u32 s14, 0
	ds_load_2addr_b32 v[6:7], v20 offset1:1
	ds_load_2addr_b32 v[8:9], v20 offset0:2 offset1:3
	ds_load_2addr_b32 v[10:11], v20 offset0:4 offset1:5
	;; [unrolled: 1-line block ×7, first 2 shown]
	s_wait_dscnt 0x7
	v_cmp_gt_i32_e32 vcc_lo, v1, v7
	s_wait_dscnt 0x5
	v_cmp_gt_i32_e64 s1, v1, v10
	v_cndmask_b32_e64 v7, 0, 1, vcc_lo
	v_cmp_gt_i32_e32 vcc_lo, v1, v6
	v_cndmask_b32_e64 v6, 0, 1, vcc_lo
	v_cmp_gt_i32_e32 vcc_lo, v1, v8
	v_cndmask_b32_e64 v8, 0, 1, s1
	v_cmp_gt_i32_e64 s1, v1, v11
	s_delay_alu instid0(VALU_DEP_4) | instskip(NEXT) | instid1(VALU_DEP_2)
	v_add_co_ci_u32_e64 v4, null, v4, v6, vcc_lo
	v_cndmask_b32_e64 v10, 0, 1, s1
	s_wait_dscnt 0x4
	v_cmp_gt_i32_e64 s1, v1, v13
	s_wait_dscnt 0x2
	v_cmp_gt_i32_e32 vcc_lo, v1, v16
	s_delay_alu instid0(VALU_DEP_2) | instskip(SKIP_4) | instid1(VALU_DEP_3)
	v_cndmask_b32_e64 v11, 0, 1, s1
	v_cmp_gt_i32_e64 s1, v1, v12
	v_add_co_ci_u32_e64 v4, null, v4, v8, vcc_lo
	s_wait_dscnt 0x1
	v_cmp_gt_i32_e32 vcc_lo, v1, v18
	v_cndmask_b32_e64 v12, 0, 1, s1
	v_cmp_gt_i32_e64 s1, v1, v14
	s_delay_alu instid0(VALU_DEP_2) | instskip(NEXT) | instid1(VALU_DEP_2)
	v_add_co_ci_u32_e64 v4, null, v4, v12, vcc_lo
	v_cndmask_b32_e64 v13, 0, 1, s1
	v_cmp_gt_i32_e64 s1, v1, v15
	s_wait_dscnt 0x0
	v_cmp_gt_i32_e32 vcc_lo, v1, v20
	s_delay_alu instid0(VALU_DEP_2) | instskip(SKIP_2) | instid1(VALU_DEP_2)
	v_cndmask_b32_e64 v14, 0, 1, s1
	v_cmp_gt_i32_e64 s1, v1, v9
	v_add_co_ci_u32_e64 v4, null, v4, v13, vcc_lo
	v_add_co_ci_u32_e64 v5, null, v5, v7, s1
	v_cmp_gt_i32_e64 s1, v1, v17
	s_delay_alu instid0(VALU_DEP_1) | instskip(SKIP_1) | instid1(VALU_DEP_1)
	v_add_co_ci_u32_e64 v5, null, v5, v10, s1
	v_cmp_gt_i32_e64 s1, v1, v19
	v_add_co_ci_u32_e64 v5, null, v5, v11, s1
	v_cmp_gt_i32_e64 s1, v1, v21
	s_delay_alu instid0(VALU_DEP_1)
	v_add_co_ci_u32_e64 v5, null, v5, v14, s1
	s_cbranch_scc1 .LBB32_111
.LBB32_112:                             ;   in Loop: Header=BB32_108 Depth=1
	s_and_not1_b32 vcc_lo, exec_lo, s8
	s_cbranch_vccnz .LBB32_115
; %bb.113:                              ;   in Loop: Header=BB32_108 Depth=1
	s_lshl_b32 s1, s12, 2
	s_mov_b32 s12, s10
	s_add_co_i32 s1, s1, 0
.LBB32_114:                             ;   Parent Loop BB32_108 Depth=1
                                        ; =>  This Inner Loop Header: Depth=2
	s_delay_alu instid0(SALU_CYCLE_1)
	v_mov_b32_e32 v6, s1
	s_add_co_i32 s12, s12, -8
	s_add_co_i32 s1, s1, 8
	s_cmp_lg_u32 s12, 0
	ds_load_2addr_b32 v[6:7], v6 offset1:1
	s_wait_dscnt 0x0
	v_cmp_gt_i32_e32 vcc_lo, v1, v7
	v_add_co_ci_u32_e64 v5, null, 0, v5, vcc_lo
	v_cmp_gt_i32_e32 vcc_lo, v1, v6
	v_add_co_ci_u32_e64 v4, null, 0, v4, vcc_lo
	s_cbranch_scc1 .LBB32_114
.LBB32_115:                             ;   in Loop: Header=BB32_108 Depth=1
	s_delay_alu instid0(VALU_DEP_1)
	v_add_nc_u32_e32 v4, v4, v5
	s_mov_b32 s1, s5
	s_mov_b32 s12, s9
.LBB32_116:                             ;   in Loop: Header=BB32_108 Depth=1
	s_delay_alu instid0(SALU_CYCLE_1)
	s_and_b32 vcc_lo, exec_lo, s12
	s_cbranch_vccz .LBB32_107
; %bb.117:                              ;   in Loop: Header=BB32_108 Depth=1
	s_lshl_b32 s12, s1, 2
	s_delay_alu instid0(SALU_CYCLE_1)
	s_add_co_i32 s12, s12, 0
.LBB32_118:                             ;   Parent Loop BB32_108 Depth=1
                                        ; =>  This Inner Loop Header: Depth=2
	s_delay_alu instid0(SALU_CYCLE_1)
	v_mov_b32_e32 v5, s12
	s_add_co_i32 s1, s1, 1
	s_add_co_i32 s12, s12, 4
	s_cmp_ge_i32 s1, s4
	ds_load_b32 v5, v5
	s_wait_dscnt 0x0
	v_cmp_gt_i32_e32 vcc_lo, v1, v5
	v_add_co_ci_u32_e64 v4, null, 0, v4, vcc_lo
	s_cbranch_scc0 .LBB32_118
	s_branch .LBB32_107
.LBB32_119:
	s_endpgm
	.section	.rodata,"a",@progbits
	.p2align	6, 0x0
	.amdhsa_kernel _ZN9rocsparseL41csrgemm_numeric_fill_block_per_row_kernelILj1024ELj64ELj8192ELj137ELj32EiidEEvT5_PKS1_S3_NS_24const_host_device_scalarIT6_EEPKT4_S3_PKS5_S9_S3_SB_S6_S9_S3_SB_S9_S3_PS5_21rocsparse_index_base_SD_SD_SD_bbb
		.amdhsa_group_segment_fixed_size 0
		.amdhsa_private_segment_fixed_size 0
		.amdhsa_kernarg_size 156
		.amdhsa_user_sgpr_count 2
		.amdhsa_user_sgpr_dispatch_ptr 0
		.amdhsa_user_sgpr_queue_ptr 0
		.amdhsa_user_sgpr_kernarg_segment_ptr 1
		.amdhsa_user_sgpr_dispatch_id 0
		.amdhsa_user_sgpr_kernarg_preload_length 0
		.amdhsa_user_sgpr_kernarg_preload_offset 0
		.amdhsa_user_sgpr_private_segment_size 0
		.amdhsa_wavefront_size32 1
		.amdhsa_uses_dynamic_stack 0
		.amdhsa_enable_private_segment 0
		.amdhsa_system_sgpr_workgroup_id_x 1
		.amdhsa_system_sgpr_workgroup_id_y 0
		.amdhsa_system_sgpr_workgroup_id_z 0
		.amdhsa_system_sgpr_workgroup_info 0
		.amdhsa_system_vgpr_workitem_id 0
		.amdhsa_next_free_vgpr 22
		.amdhsa_next_free_sgpr 74
		.amdhsa_named_barrier_count 0
		.amdhsa_reserve_vcc 1
		.amdhsa_float_round_mode_32 0
		.amdhsa_float_round_mode_16_64 0
		.amdhsa_float_denorm_mode_32 3
		.amdhsa_float_denorm_mode_16_64 3
		.amdhsa_fp16_overflow 0
		.amdhsa_memory_ordered 1
		.amdhsa_forward_progress 1
		.amdhsa_inst_pref_size 37
		.amdhsa_round_robin_scheduling 0
		.amdhsa_exception_fp_ieee_invalid_op 0
		.amdhsa_exception_fp_denorm_src 0
		.amdhsa_exception_fp_ieee_div_zero 0
		.amdhsa_exception_fp_ieee_overflow 0
		.amdhsa_exception_fp_ieee_underflow 0
		.amdhsa_exception_fp_ieee_inexact 0
		.amdhsa_exception_int_div_zero 0
	.end_amdhsa_kernel
	.section	.text._ZN9rocsparseL41csrgemm_numeric_fill_block_per_row_kernelILj1024ELj64ELj8192ELj137ELj32EiidEEvT5_PKS1_S3_NS_24const_host_device_scalarIT6_EEPKT4_S3_PKS5_S9_S3_SB_S6_S9_S3_SB_S9_S3_PS5_21rocsparse_index_base_SD_SD_SD_bbb,"axG",@progbits,_ZN9rocsparseL41csrgemm_numeric_fill_block_per_row_kernelILj1024ELj64ELj8192ELj137ELj32EiidEEvT5_PKS1_S3_NS_24const_host_device_scalarIT6_EEPKT4_S3_PKS5_S9_S3_SB_S6_S9_S3_SB_S9_S3_PS5_21rocsparse_index_base_SD_SD_SD_bbb,comdat
.Lfunc_end32:
	.size	_ZN9rocsparseL41csrgemm_numeric_fill_block_per_row_kernelILj1024ELj64ELj8192ELj137ELj32EiidEEvT5_PKS1_S3_NS_24const_host_device_scalarIT6_EEPKT4_S3_PKS5_S9_S3_SB_S6_S9_S3_SB_S9_S3_PS5_21rocsparse_index_base_SD_SD_SD_bbb, .Lfunc_end32-_ZN9rocsparseL41csrgemm_numeric_fill_block_per_row_kernelILj1024ELj64ELj8192ELj137ELj32EiidEEvT5_PKS1_S3_NS_24const_host_device_scalarIT6_EEPKT4_S3_PKS5_S9_S3_SB_S6_S9_S3_SB_S9_S3_PS5_21rocsparse_index_base_SD_SD_SD_bbb
                                        ; -- End function
	.set _ZN9rocsparseL41csrgemm_numeric_fill_block_per_row_kernelILj1024ELj64ELj8192ELj137ELj32EiidEEvT5_PKS1_S3_NS_24const_host_device_scalarIT6_EEPKT4_S3_PKS5_S9_S3_SB_S6_S9_S3_SB_S9_S3_PS5_21rocsparse_index_base_SD_SD_SD_bbb.num_vgpr, 22
	.set _ZN9rocsparseL41csrgemm_numeric_fill_block_per_row_kernelILj1024ELj64ELj8192ELj137ELj32EiidEEvT5_PKS1_S3_NS_24const_host_device_scalarIT6_EEPKT4_S3_PKS5_S9_S3_SB_S6_S9_S3_SB_S9_S3_PS5_21rocsparse_index_base_SD_SD_SD_bbb.num_agpr, 0
	.set _ZN9rocsparseL41csrgemm_numeric_fill_block_per_row_kernelILj1024ELj64ELj8192ELj137ELj32EiidEEvT5_PKS1_S3_NS_24const_host_device_scalarIT6_EEPKT4_S3_PKS5_S9_S3_SB_S6_S9_S3_SB_S9_S3_PS5_21rocsparse_index_base_SD_SD_SD_bbb.numbered_sgpr, 74
	.set _ZN9rocsparseL41csrgemm_numeric_fill_block_per_row_kernelILj1024ELj64ELj8192ELj137ELj32EiidEEvT5_PKS1_S3_NS_24const_host_device_scalarIT6_EEPKT4_S3_PKS5_S9_S3_SB_S6_S9_S3_SB_S9_S3_PS5_21rocsparse_index_base_SD_SD_SD_bbb.num_named_barrier, 0
	.set _ZN9rocsparseL41csrgemm_numeric_fill_block_per_row_kernelILj1024ELj64ELj8192ELj137ELj32EiidEEvT5_PKS1_S3_NS_24const_host_device_scalarIT6_EEPKT4_S3_PKS5_S9_S3_SB_S6_S9_S3_SB_S9_S3_PS5_21rocsparse_index_base_SD_SD_SD_bbb.private_seg_size, 0
	.set _ZN9rocsparseL41csrgemm_numeric_fill_block_per_row_kernelILj1024ELj64ELj8192ELj137ELj32EiidEEvT5_PKS1_S3_NS_24const_host_device_scalarIT6_EEPKT4_S3_PKS5_S9_S3_SB_S6_S9_S3_SB_S9_S3_PS5_21rocsparse_index_base_SD_SD_SD_bbb.uses_vcc, 1
	.set _ZN9rocsparseL41csrgemm_numeric_fill_block_per_row_kernelILj1024ELj64ELj8192ELj137ELj32EiidEEvT5_PKS1_S3_NS_24const_host_device_scalarIT6_EEPKT4_S3_PKS5_S9_S3_SB_S6_S9_S3_SB_S9_S3_PS5_21rocsparse_index_base_SD_SD_SD_bbb.uses_flat_scratch, 0
	.set _ZN9rocsparseL41csrgemm_numeric_fill_block_per_row_kernelILj1024ELj64ELj8192ELj137ELj32EiidEEvT5_PKS1_S3_NS_24const_host_device_scalarIT6_EEPKT4_S3_PKS5_S9_S3_SB_S6_S9_S3_SB_S9_S3_PS5_21rocsparse_index_base_SD_SD_SD_bbb.has_dyn_sized_stack, 0
	.set _ZN9rocsparseL41csrgemm_numeric_fill_block_per_row_kernelILj1024ELj64ELj8192ELj137ELj32EiidEEvT5_PKS1_S3_NS_24const_host_device_scalarIT6_EEPKT4_S3_PKS5_S9_S3_SB_S6_S9_S3_SB_S9_S3_PS5_21rocsparse_index_base_SD_SD_SD_bbb.has_recursion, 0
	.set _ZN9rocsparseL41csrgemm_numeric_fill_block_per_row_kernelILj1024ELj64ELj8192ELj137ELj32EiidEEvT5_PKS1_S3_NS_24const_host_device_scalarIT6_EEPKT4_S3_PKS5_S9_S3_SB_S6_S9_S3_SB_S9_S3_PS5_21rocsparse_index_base_SD_SD_SD_bbb.has_indirect_call, 0
	.section	.AMDGPU.csdata,"",@progbits
; Kernel info:
; codeLenInByte = 4696
; TotalNumSgprs: 76
; NumVgprs: 22
; ScratchSize: 0
; MemoryBound: 0
; FloatMode: 240
; IeeeMode: 1
; LDSByteSize: 0 bytes/workgroup (compile time only)
; SGPRBlocks: 0
; VGPRBlocks: 1
; NumSGPRsForWavesPerEU: 76
; NumVGPRsForWavesPerEU: 22
; NamedBarCnt: 0
; Occupancy: 16
; WaveLimiterHint : 1
; COMPUTE_PGM_RSRC2:SCRATCH_EN: 0
; COMPUTE_PGM_RSRC2:USER_SGPR: 2
; COMPUTE_PGM_RSRC2:TRAP_HANDLER: 0
; COMPUTE_PGM_RSRC2:TGID_X_EN: 1
; COMPUTE_PGM_RSRC2:TGID_Y_EN: 0
; COMPUTE_PGM_RSRC2:TGID_Z_EN: 0
; COMPUTE_PGM_RSRC2:TIDIG_COMP_CNT: 0
	.section	.text._ZN9rocsparseL41csrgemm_numeric_fill_block_per_row_kernelILj1024ELj64ELj8192ELj137ELj64EiidEEvT5_PKS1_S3_NS_24const_host_device_scalarIT6_EEPKT4_S3_PKS5_S9_S3_SB_S6_S9_S3_SB_S9_S3_PS5_21rocsparse_index_base_SD_SD_SD_bbb,"axG",@progbits,_ZN9rocsparseL41csrgemm_numeric_fill_block_per_row_kernelILj1024ELj64ELj8192ELj137ELj64EiidEEvT5_PKS1_S3_NS_24const_host_device_scalarIT6_EEPKT4_S3_PKS5_S9_S3_SB_S6_S9_S3_SB_S9_S3_PS5_21rocsparse_index_base_SD_SD_SD_bbb,comdat
	.globl	_ZN9rocsparseL41csrgemm_numeric_fill_block_per_row_kernelILj1024ELj64ELj8192ELj137ELj64EiidEEvT5_PKS1_S3_NS_24const_host_device_scalarIT6_EEPKT4_S3_PKS5_S9_S3_SB_S6_S9_S3_SB_S9_S3_PS5_21rocsparse_index_base_SD_SD_SD_bbb ; -- Begin function _ZN9rocsparseL41csrgemm_numeric_fill_block_per_row_kernelILj1024ELj64ELj8192ELj137ELj64EiidEEvT5_PKS1_S3_NS_24const_host_device_scalarIT6_EEPKT4_S3_PKS5_S9_S3_SB_S6_S9_S3_SB_S9_S3_PS5_21rocsparse_index_base_SD_SD_SD_bbb
	.p2align	8
	.type	_ZN9rocsparseL41csrgemm_numeric_fill_block_per_row_kernelILj1024ELj64ELj8192ELj137ELj64EiidEEvT5_PKS1_S3_NS_24const_host_device_scalarIT6_EEPKT4_S3_PKS5_S9_S3_SB_S6_S9_S3_SB_S9_S3_PS5_21rocsparse_index_base_SD_SD_SD_bbb,@function
_ZN9rocsparseL41csrgemm_numeric_fill_block_per_row_kernelILj1024ELj64ELj8192ELj137ELj64EiidEEvT5_PKS1_S3_NS_24const_host_device_scalarIT6_EEPKT4_S3_PKS5_S9_S3_SB_S6_S9_S3_SB_S9_S3_PS5_21rocsparse_index_base_SD_SD_SD_bbb: ; @_ZN9rocsparseL41csrgemm_numeric_fill_block_per_row_kernelILj1024ELj64ELj8192ELj137ELj64EiidEEvT5_PKS1_S3_NS_24const_host_device_scalarIT6_EEPKT4_S3_PKS5_S9_S3_SB_S6_S9_S3_SB_S9_S3_PS5_21rocsparse_index_base_SD_SD_SD_bbb
; %bb.0:
	s_clause 0x4
	s_load_b32 s11, s[0:1], 0x98
	s_load_b64 s[8:9], s[0:1], 0x18
	s_load_b128 s[4:7], s[0:1], 0x8
	s_load_b128 s[16:19], s[0:1], 0x88
	s_load_b64 s[2:3], s[0:1], 0x50
	s_wait_kmcnt 0x0
	s_bitcmp1_b32 s11, 0
	s_cselect_b32 s10, -1, 0
	s_bitcmp1_b32 s11, 16
	s_cselect_b32 s13, -1, 0
	s_xor_b32 s12, s10, -1
	s_delay_alu instid0(SALU_CYCLE_1)
	s_or_b32 s12, s13, s12
	s_and_b32 s14, s10, exec_lo
	s_cselect_b32 s15, s9, 0
	s_cselect_b32 s14, s8, 0
	s_and_b32 vcc_lo, exec_lo, s12
	v_mov_b64_e32 v[4:5], s[14:15]
	s_cbranch_vccnz .LBB33_2
; %bb.1:
	v_mov_b32_e32 v1, 0
	flat_load_b64 v[4:5], v1, s[8:9]
.LBB33_2:
	s_bitcmp1_b32 s11, 8
	s_cselect_b32 s12, -1, 0
	s_wait_xcnt 0x0
	s_xor_b32 s8, s12, -1
	s_delay_alu instid0(SALU_CYCLE_1)
	s_or_b32 s11, s13, s8
	s_and_b32 s8, s12, exec_lo
	s_cselect_b32 s9, s3, 0
	s_cselect_b32 s8, s2, 0
	s_and_b32 vcc_lo, exec_lo, s11
	v_mov_b64_e32 v[2:3], s[8:9]
	s_cbranch_vccnz .LBB33_4
; %bb.3:
	v_mov_b32_e32 v1, 0
	flat_load_b64 v[2:3], v1, s[2:3]
.LBB33_4:
	s_load_b32 s24, s[0:1], 0x0
	v_dual_lshlrev_b32 v8, 2, v0 :: v_dual_lshlrev_b32 v12, 3, v0
	v_mov_b64_e32 v[6:7], 0
	s_bfe_u32 s3, ttmp6, 0x4000c
	s_delay_alu instid0(VALU_DEP_2) | instskip(NEXT) | instid1(VALU_DEP_3)
	v_add_nc_u32_e32 v1, 0, v8
	v_add3_u32 v9, 0x8000, 0, v12
	s_add_co_i32 s3, s3, 1
	s_delay_alu instid0(SALU_CYCLE_1)
	s_mul_i32 s3, ttmp9, s3
	s_wait_kmcnt 0x0
	v_dual_add_nc_u32 v8, v1, v8 :: v_dual_mov_b32 v10, s24
	ds_store_2addr_stride64_b64 v8, v[6:7], v[6:7] offset0:64 offset1:80
	ds_store_2addr_stride64_b64 v8, v[6:7], v[6:7] offset0:96 offset1:112
	;; [unrolled: 1-line block ×3, first 2 shown]
	v_dual_mov_b32 v8, s24 :: v_dual_mov_b32 v11, s24
	v_dual_mov_b32 v13, s24 :: v_dual_mov_b32 v14, s24
	;; [unrolled: 1-line block ×3, first 2 shown]
	v_mov_b32_e32 v17, s24
	ds_store_2addr_stride64_b64 v9, v[6:7], v[6:7] offset0:96 offset1:112
	ds_store_2addr_stride64_b32 v1, v8, v10 offset1:16
	ds_store_2addr_stride64_b32 v1, v11, v13 offset0:32 offset1:48
	ds_store_2addr_stride64_b32 v1, v14, v15 offset0:64 offset1:80
	;; [unrolled: 1-line block ×3, first 2 shown]
	s_wait_loadcnt_dscnt 0x0
	s_barrier_signal -1
	s_barrier_wait -1
	s_load_b32 s2, s[4:5], 0x0
	s_wait_xcnt 0x0
	s_and_b32 s4, ttmp6, 15
	s_getreg_b32 s5, hwreg(HW_REG_IB_STS2, 6, 4)
	s_add_co_i32 s4, s4, s3
	s_cmp_eq_u32 s5, 0
	v_lshrrev_b32_e32 v13, 6, v0
	s_cselect_b32 s3, ttmp9, s4
	s_and_not1_b32 vcc_lo, exec_lo, s10
	s_wait_kmcnt 0x0
	s_add_co_i32 s2, s2, s3
	s_load_b32 s20, s[6:7], s2 offset:0x0 scale_offset
	s_cbranch_vccnz .LBB33_22
; %bb.5:
	s_wait_xcnt 0x0
	s_load_b64 s[2:3], s[0:1], 0x20
	s_wait_kmcnt 0x0
	s_ashr_i32 s21, s20, 31
	v_subrev_nc_u32_e32 v6, s16, v13
	s_lshl_b64 s[4:5], s[20:21], 2
	s_mov_b32 s14, exec_lo
	s_add_nc_u64 s[2:3], s[2:3], s[4:5]
	s_load_b64 s[4:5], s[2:3], 0x0
	s_wait_kmcnt 0x0
	v_add_nc_u32_e32 v6, s4, v6
	s_sub_co_i32 s13, s5, s16
	s_delay_alu instid0(VALU_DEP_1) | instid1(SALU_CYCLE_1)
	v_cmpx_gt_i32_e64 s13, v6
	s_cbranch_execz .LBB33_21
; %bb.6:
	s_clause 0x1
	s_load_b64 s[2:3], s[0:1], 0x48
	s_load_b256 s[4:11], s[0:1], 0x28
	v_and_b32_e32 v7, 63, v0
	s_mov_b32 s15, 0
	s_delay_alu instid0(VALU_DEP_1)
	v_subrev_nc_u32_e32 v14, s17, v7
	s_branch .LBB33_8
.LBB33_7:                               ;   in Loop: Header=BB33_8 Depth=1
	s_or_b32 exec_lo, exec_lo, s21
	v_add_nc_u32_e32 v6, 16, v6
	s_delay_alu instid0(VALU_DEP_1) | instskip(SKIP_1) | instid1(SALU_CYCLE_1)
	v_cmp_le_i32_e32 vcc_lo, s13, v6
	s_or_b32 s15, vcc_lo, s15
	s_and_not1_b32 exec_lo, exec_lo, s15
	s_cbranch_execz .LBB33_21
.LBB33_8:                               ; =>This Loop Header: Depth=1
                                        ;     Child Loop BB33_12 Depth 2
                                        ;       Child Loop BB33_15 Depth 3
	s_wait_kmcnt 0x0
	global_load_b32 v7, v6, s[4:5] scale_offset
	s_mov_b32 s21, exec_lo
	s_wait_loadcnt 0x0
	v_subrev_nc_u32_e32 v8, s16, v7
	s_delay_alu instid0(VALU_DEP_1) | instskip(NEXT) | instid1(VALU_DEP_1)
	v_ashrrev_i32_e32 v9, 31, v8
	v_lshl_add_u64 v[8:9], v[8:9], 2, s[8:9]
	global_load_b64 v[8:9], v[8:9], off
	s_wait_loadcnt 0x0
	v_subrev_nc_u32_e32 v15, s17, v9
	v_add_nc_u32_e32 v16, v8, v14
	s_wait_xcnt 0x0
	s_delay_alu instid0(VALU_DEP_1)
	v_cmpx_lt_i32_e64 v16, v15
	s_cbranch_execz .LBB33_7
; %bb.9:                                ;   in Loop: Header=BB33_8 Depth=1
	v_ashrrev_i32_e32 v7, 31, v6
	s_mov_b32 s22, 0
	s_delay_alu instid0(VALU_DEP_1)
	v_lshl_add_u64 v[8:9], v[6:7], 3, s[6:7]
	global_load_b64 v[8:9], v[8:9], off
	s_wait_loadcnt 0x0
	s_wait_xcnt 0x0
	v_mul_f64_e32 v[8:9], v[4:5], v[8:9]
	s_branch .LBB33_12
.LBB33_10:                              ;   in Loop: Header=BB33_12 Depth=2
	s_or_b32 exec_lo, exec_lo, s25
.LBB33_11:                              ;   in Loop: Header=BB33_12 Depth=2
	s_delay_alu instid0(SALU_CYCLE_1) | instskip(SKIP_3) | instid1(VALU_DEP_2)
	s_or_b32 exec_lo, exec_lo, s23
	s_wait_loadcnt 0x0
	v_dual_mul_f64 v[10:11], v[8:9], v[10:11] :: v_dual_add_nc_u32 v16, 64, v16
	v_lshl_add_u32 v7, v7, 3, 0
	v_cmp_ge_i32_e32 vcc_lo, v16, v15
	s_or_b32 s22, vcc_lo, s22
	ds_add_f64 v7, v[10:11] offset:32768
	s_and_not1_b32 exec_lo, exec_lo, s22
	s_cbranch_execz .LBB33_7
.LBB33_12:                              ;   Parent Loop BB33_8 Depth=1
                                        ; =>  This Loop Header: Depth=2
                                        ;       Child Loop BB33_15 Depth 3
	s_clause 0x1
	global_load_b32 v7, v16, s[10:11] scale_offset
	global_load_b64 v[10:11], v16, s[2:3] scale_offset
	s_mov_b32 s23, exec_lo
	s_wait_loadcnt 0x1
	v_subrev_nc_u32_e32 v17, s17, v7
	s_delay_alu instid0(VALU_DEP_1) | instskip(NEXT) | instid1(VALU_DEP_1)
	v_mul_lo_u32 v7, 0x89, v17
	v_and_b32_e32 v7, 0x1fff, v7
	s_delay_alu instid0(VALU_DEP_1)
	v_lshl_add_u32 v18, v7, 2, 0
	ds_load_b32 v19, v18
	s_wait_dscnt 0x0
	s_wait_xcnt 0x0
	v_cmpx_ne_u32_e64 v19, v17
	s_cbranch_execz .LBB33_11
; %bb.13:                               ;   in Loop: Header=BB33_12 Depth=2
	s_mov_b32 s25, 0
	s_branch .LBB33_15
.LBB33_14:                              ;   in Loop: Header=BB33_15 Depth=3
	s_or_b32 exec_lo, exec_lo, s28
	s_delay_alu instid0(SALU_CYCLE_1) | instskip(NEXT) | instid1(SALU_CYCLE_1)
	s_and_b32 s26, exec_lo, s27
	s_or_b32 s25, s26, s25
	s_delay_alu instid0(SALU_CYCLE_1)
	s_and_not1_b32 exec_lo, exec_lo, s25
	s_cbranch_execz .LBB33_10
.LBB33_15:                              ;   Parent Loop BB33_8 Depth=1
                                        ;     Parent Loop BB33_12 Depth=2
                                        ; =>    This Inner Loop Header: Depth=3
	s_mov_b32 s26, 0
	s_mov_b32 s27, exec_lo
	v_cmpx_ne_u32_e64 s24, v19
	s_xor_b32 s27, exec_lo, s27
	s_cbranch_execz .LBB33_17
; %bb.16:                               ;   in Loop: Header=BB33_15 Depth=3
	v_add_nc_u32_e32 v7, 1, v7
	s_mov_b32 s26, exec_lo
                                        ; implicit-def: $vgpr18
	s_delay_alu instid0(VALU_DEP_1)
	v_and_b32_e32 v7, 0x1fff, v7
	s_and_not1_saveexec_b32 s27, s27
	s_cbranch_execz .LBB33_19
	s_branch .LBB33_18
.LBB33_17:                              ;   in Loop: Header=BB33_15 Depth=3
	s_and_not1_saveexec_b32 s27, s27
	s_cbranch_execz .LBB33_19
.LBB33_18:                              ;   in Loop: Header=BB33_15 Depth=3
	v_mov_b32_e32 v19, s24
	s_and_not1_b32 s26, s26, exec_lo
	ds_cmpstore_rtn_b32 v18, v18, v17, v19
	s_wait_dscnt 0x0
	v_cmp_ne_u32_e32 vcc_lo, s24, v18
	s_and_b32 s28, vcc_lo, exec_lo
	s_delay_alu instid0(SALU_CYCLE_1)
	s_or_b32 s26, s26, s28
.LBB33_19:                              ;   in Loop: Header=BB33_15 Depth=3
	s_or_b32 exec_lo, exec_lo, s27
	s_mov_b32 s27, -1
                                        ; implicit-def: $vgpr18
                                        ; implicit-def: $vgpr19
	s_and_saveexec_b32 s28, s26
	s_cbranch_execz .LBB33_14
; %bb.20:                               ;   in Loop: Header=BB33_15 Depth=3
	v_lshl_add_u32 v18, v7, 2, 0
	ds_load_b32 v19, v18
	s_wait_dscnt 0x0
	v_cmp_eq_u32_e32 vcc_lo, v19, v17
	s_or_not1_b32 s27, vcc_lo, exec_lo
	s_branch .LBB33_14
.LBB33_21:
	s_or_b32 exec_lo, exec_lo, s14
.LBB33_22:
	s_load_b64 s[16:17], s[0:1], 0x80
	s_and_not1_b32 vcc_lo, exec_lo, s12
	s_cbranch_vccnz .LBB33_37
; %bb.23:
	s_wait_xcnt 0x0
	s_load_b64 s[2:3], s[0:1], 0x58
	s_wait_kmcnt 0x0
	s_ashr_i32 s21, s20, 31
	v_subrev_nc_u32_e32 v4, s19, v0
	s_lshl_b64 s[4:5], s[20:21], 2
	s_delay_alu instid0(SALU_CYCLE_1)
	s_add_nc_u64 s[2:3], s[2:3], s[4:5]
	s_load_b64 s[4:5], s[2:3], 0x0
	s_wait_xcnt 0x0
	s_mov_b32 s3, exec_lo
	s_wait_kmcnt 0x0
	v_add_nc_u32_e32 v6, s4, v4
	s_sub_co_i32 s2, s5, s19
	s_delay_alu instid0(VALU_DEP_1) | instid1(SALU_CYCLE_1)
	v_cmpx_gt_i32_e64 s2, v6
	s_cbranch_execz .LBB33_36
; %bb.24:
	s_load_b128 s[4:7], s[0:1], 0x60
	s_mov_b32 s8, 0
	s_branch .LBB33_27
.LBB33_25:                              ;   in Loop: Header=BB33_27 Depth=1
	s_or_b32 exec_lo, exec_lo, s10
.LBB33_26:                              ;   in Loop: Header=BB33_27 Depth=1
	s_delay_alu instid0(SALU_CYCLE_1) | instskip(SKIP_4) | instid1(VALU_DEP_1)
	s_or_b32 exec_lo, exec_lo, s9
	s_wait_loadcnt 0x0
	v_mul_f64_e32 v[4:5], v[2:3], v[4:5]
	v_lshl_add_u32 v7, v7, 3, 0
	v_add_nc_u32_e32 v6, 0x400, v6
	v_cmp_le_i32_e32 vcc_lo, s2, v6
	s_or_b32 s8, vcc_lo, s8
	ds_add_f64 v7, v[4:5] offset:32768
	s_and_not1_b32 exec_lo, exec_lo, s8
	s_cbranch_execz .LBB33_36
.LBB33_27:                              ; =>This Loop Header: Depth=1
                                        ;     Child Loop BB33_30 Depth 2
	s_wait_kmcnt 0x0
	s_clause 0x1
	global_load_b32 v7, v6, s[4:5] scale_offset
	global_load_b64 v[4:5], v6, s[6:7] scale_offset
	s_mov_b32 s9, exec_lo
	s_wait_loadcnt 0x1
	v_subrev_nc_u32_e32 v8, s19, v7
	s_delay_alu instid0(VALU_DEP_1) | instskip(NEXT) | instid1(VALU_DEP_1)
	v_mul_lo_u32 v7, 0x89, v8
	v_and_b32_e32 v7, 0x1fff, v7
	s_delay_alu instid0(VALU_DEP_1)
	v_lshl_add_u32 v9, v7, 2, 0
	ds_load_b32 v10, v9
	s_wait_dscnt 0x0
	s_wait_xcnt 0x0
	v_cmpx_ne_u32_e64 v10, v8
	s_cbranch_execz .LBB33_26
; %bb.28:                               ;   in Loop: Header=BB33_27 Depth=1
	s_mov_b32 s10, 0
	s_branch .LBB33_30
.LBB33_29:                              ;   in Loop: Header=BB33_30 Depth=2
	s_or_b32 exec_lo, exec_lo, s13
	s_delay_alu instid0(SALU_CYCLE_1) | instskip(NEXT) | instid1(SALU_CYCLE_1)
	s_and_b32 s11, exec_lo, s12
	s_or_b32 s10, s11, s10
	s_delay_alu instid0(SALU_CYCLE_1)
	s_and_not1_b32 exec_lo, exec_lo, s10
	s_cbranch_execz .LBB33_25
.LBB33_30:                              ;   Parent Loop BB33_27 Depth=1
                                        ; =>  This Inner Loop Header: Depth=2
	s_mov_b32 s11, 0
	s_mov_b32 s12, exec_lo
	v_cmpx_ne_u32_e64 s24, v10
	s_xor_b32 s12, exec_lo, s12
	s_cbranch_execz .LBB33_32
; %bb.31:                               ;   in Loop: Header=BB33_30 Depth=2
	v_add_nc_u32_e32 v7, 1, v7
	s_mov_b32 s11, exec_lo
                                        ; implicit-def: $vgpr9
	s_delay_alu instid0(VALU_DEP_1)
	v_and_b32_e32 v7, 0x1fff, v7
	s_and_not1_saveexec_b32 s12, s12
	s_cbranch_execz .LBB33_34
	s_branch .LBB33_33
.LBB33_32:                              ;   in Loop: Header=BB33_30 Depth=2
	s_and_not1_saveexec_b32 s12, s12
	s_cbranch_execz .LBB33_34
.LBB33_33:                              ;   in Loop: Header=BB33_30 Depth=2
	v_mov_b32_e32 v10, s24
	s_and_not1_b32 s11, s11, exec_lo
	ds_cmpstore_rtn_b32 v9, v9, v8, v10
	s_wait_dscnt 0x0
	v_cmp_ne_u32_e32 vcc_lo, s24, v9
	s_and_b32 s13, vcc_lo, exec_lo
	s_delay_alu instid0(SALU_CYCLE_1)
	s_or_b32 s11, s11, s13
.LBB33_34:                              ;   in Loop: Header=BB33_30 Depth=2
	s_or_b32 exec_lo, exec_lo, s12
	s_mov_b32 s12, -1
                                        ; implicit-def: $vgpr9
                                        ; implicit-def: $vgpr10
	s_and_saveexec_b32 s13, s11
	s_cbranch_execz .LBB33_29
; %bb.35:                               ;   in Loop: Header=BB33_30 Depth=2
	v_lshl_add_u32 v9, v7, 2, 0
	ds_load_b32 v10, v9
	s_wait_dscnt 0x0
	v_cmp_eq_u32_e32 vcc_lo, v10, v8
	s_or_not1_b32 s12, vcc_lo, exec_lo
	s_branch .LBB33_29
.LBB33_36:
	s_or_b32 exec_lo, exec_lo, s3
.LBB33_37:
	s_load_b64 s[22:23], s[0:1], 0x70
	v_mbcnt_lo_u32_b32 v2, -1, 0
	v_lshlrev_b32_e32 v4, 2, v13
	s_add_co_i32 s36, 0, 0x1803c
	s_delay_alu instid0(SALU_CYCLE_1) | instskip(NEXT) | instid1(VALU_DEP_3)
	v_dual_mov_b32 v3, 0 :: v_dual_mov_b32 v9, s36
	v_xor_b32_e32 v2, 31, v2
	s_delay_alu instid0(VALU_DEP_3)
	v_add3_u32 v6, 0x18000, 0, v4
	s_wait_xcnt 0x0
	v_cmp_lt_u32_e64 s0, 63, v0
	v_cmp_lt_u32_e64 s1, 0x7f, v0
	;; [unrolled: 1-line block ×3, first 2 shown]
	v_lshrrev_b32_e64 v2, v2, -1
	v_cmp_lt_u32_e64 s3, 0xff, v0
	v_cmp_lt_u32_e64 s4, 0x13f, v0
	;; [unrolled: 1-line block ×12, first 2 shown]
	v_add3_u32 v7, v12, 0, 0x8000
	v_or_b32_e32 v8, 0xfffffc00, v0
	s_mov_b32 s19, 0
	s_add_co_i32 s21, 0, 0x18000
	s_add_co_i32 s25, 0, 0x18004
	;; [unrolled: 1-line block ×15, first 2 shown]
	s_wait_dscnt 0x0
	s_barrier_signal -1
	s_barrier_wait -1
	v_cmp_eq_u32_e32 vcc_lo, 0x3ff, v0
	s_branch .LBB33_39
.LBB33_38:                              ;   in Loop: Header=BB33_39 Depth=1
	s_or_b32 exec_lo, exec_lo, s15
	s_wait_dscnt 0x0
	s_barrier_signal -1
	s_barrier_wait -1
	ds_load_b32 v4, v9
	v_add_nc_u32_e32 v8, 0x400, v8
	v_add_nc_u32_e32 v7, 0x2000, v7
	;; [unrolled: 1-line block ×3, first 2 shown]
	s_delay_alu instid0(VALU_DEP_3)
	v_cmp_lt_u32_e64 s15, 0x1bff, v8
	s_or_b32 s19, s15, s19
	s_wait_dscnt 0x0
	v_add_nc_u32_e32 v3, v4, v3
	s_and_not1_b32 exec_lo, exec_lo, s19
	s_cbranch_execz .LBB33_73
.LBB33_39:                              ; =>This Inner Loop Header: Depth=1
	ds_load_b32 v10, v1
	ds_load_b64 v[4:5], v7
	s_wait_dscnt 0x0
	s_barrier_signal -1
	s_barrier_wait -1
	v_cmp_gt_i32_e64 s15, s24, v10
	s_bcnt1_i32_b32 s41, s15
	s_delay_alu instid0(SALU_CYCLE_1) | instskip(NEXT) | instid1(VALU_DEP_1)
	v_dual_mov_b32 v12, s41 :: v_dual_bitop2_b32 v11, s15, v2 bitop3:0x40
	v_bcnt_u32_b32 v11, v11, 0
	ds_store_b32 v6, v12
	s_wait_dscnt 0x0
	s_barrier_signal -1
	s_barrier_wait -1
	s_and_saveexec_b32 s41, s0
	s_cbranch_execz .LBB33_56
; %bb.40:                               ;   in Loop: Header=BB33_39 Depth=1
	v_mov_b32_e32 v12, s21
	ds_load_b32 v12, v12
	s_wait_dscnt 0x0
	v_add_nc_u32_e32 v11, v12, v11
	s_or_b32 exec_lo, exec_lo, s41
	s_and_saveexec_b32 s41, s1
	s_cbranch_execnz .LBB33_57
.LBB33_41:                              ;   in Loop: Header=BB33_39 Depth=1
	s_or_b32 exec_lo, exec_lo, s41
	s_and_saveexec_b32 s41, s2
	s_cbranch_execz .LBB33_58
.LBB33_42:                              ;   in Loop: Header=BB33_39 Depth=1
	v_mov_b32_e32 v12, s26
	ds_load_b32 v12, v12
	s_wait_dscnt 0x0
	v_add_nc_u32_e32 v11, v12, v11
	s_or_b32 exec_lo, exec_lo, s41
	s_and_saveexec_b32 s41, s3
	s_cbranch_execnz .LBB33_59
.LBB33_43:                              ;   in Loop: Header=BB33_39 Depth=1
	s_or_b32 exec_lo, exec_lo, s41
	s_and_saveexec_b32 s41, s4
	s_cbranch_execz .LBB33_60
.LBB33_44:                              ;   in Loop: Header=BB33_39 Depth=1
	v_mov_b32_e32 v12, s28
	ds_load_b32 v12, v12
	s_wait_dscnt 0x0
	v_add_nc_u32_e32 v11, v12, v11
	s_or_b32 exec_lo, exec_lo, s41
	s_and_saveexec_b32 s41, s5
	s_cbranch_execnz .LBB33_61
.LBB33_45:                              ;   in Loop: Header=BB33_39 Depth=1
	s_or_b32 exec_lo, exec_lo, s41
	s_and_saveexec_b32 s41, s6
	s_cbranch_execz .LBB33_62
.LBB33_46:                              ;   in Loop: Header=BB33_39 Depth=1
	v_mov_b32_e32 v12, s30
	ds_load_b32 v12, v12
	s_wait_dscnt 0x0
	v_add_nc_u32_e32 v11, v12, v11
	s_or_b32 exec_lo, exec_lo, s41
	s_and_saveexec_b32 s41, s7
	s_cbranch_execnz .LBB33_63
.LBB33_47:                              ;   in Loop: Header=BB33_39 Depth=1
	s_or_b32 exec_lo, exec_lo, s41
	s_and_saveexec_b32 s41, s8
	s_cbranch_execz .LBB33_64
.LBB33_48:                              ;   in Loop: Header=BB33_39 Depth=1
	v_mov_b32_e32 v12, s33
	ds_load_b32 v12, v12
	s_wait_dscnt 0x0
	v_add_nc_u32_e32 v11, v12, v11
	s_or_b32 exec_lo, exec_lo, s41
	s_and_saveexec_b32 s41, s9
	s_cbranch_execnz .LBB33_65
.LBB33_49:                              ;   in Loop: Header=BB33_39 Depth=1
	s_or_b32 exec_lo, exec_lo, s41
	s_and_saveexec_b32 s41, s10
	s_cbranch_execz .LBB33_66
.LBB33_50:                              ;   in Loop: Header=BB33_39 Depth=1
	v_mov_b32_e32 v12, s35
	ds_load_b32 v12, v12
	s_wait_dscnt 0x0
	v_add_nc_u32_e32 v11, v12, v11
	s_or_b32 exec_lo, exec_lo, s41
	s_and_saveexec_b32 s41, s11
	s_cbranch_execnz .LBB33_67
.LBB33_51:                              ;   in Loop: Header=BB33_39 Depth=1
	s_or_b32 exec_lo, exec_lo, s41
	s_and_saveexec_b32 s41, s12
	s_cbranch_execz .LBB33_68
.LBB33_52:                              ;   in Loop: Header=BB33_39 Depth=1
	v_mov_b32_e32 v12, s38
	ds_load_b32 v12, v12
	s_wait_dscnt 0x0
	v_add_nc_u32_e32 v11, v12, v11
	s_or_b32 exec_lo, exec_lo, s41
	s_and_saveexec_b32 s41, s13
	s_cbranch_execnz .LBB33_69
.LBB33_53:                              ;   in Loop: Header=BB33_39 Depth=1
	s_or_b32 exec_lo, exec_lo, s41
	s_and_saveexec_b32 s41, s14
	s_cbranch_execz .LBB33_70
.LBB33_54:                              ;   in Loop: Header=BB33_39 Depth=1
	v_mov_b32_e32 v12, s40
	ds_load_b32 v12, v12
	s_wait_dscnt 0x0
	v_add_nc_u32_e32 v11, v12, v11
	s_or_b32 exec_lo, exec_lo, s41
	s_and_saveexec_b32 s41, s15
	s_cbranch_execnz .LBB33_71
.LBB33_55:                              ;   in Loop: Header=BB33_39 Depth=1
	s_or_b32 exec_lo, exec_lo, s41
	s_and_saveexec_b32 s15, vcc_lo
	s_cbranch_execz .LBB33_38
	s_branch .LBB33_72
.LBB33_56:                              ;   in Loop: Header=BB33_39 Depth=1
	s_or_b32 exec_lo, exec_lo, s41
	s_and_saveexec_b32 s41, s1
	s_cbranch_execz .LBB33_41
.LBB33_57:                              ;   in Loop: Header=BB33_39 Depth=1
	v_mov_b32_e32 v12, s25
	ds_load_b32 v12, v12
	s_wait_dscnt 0x0
	v_add_nc_u32_e32 v11, v12, v11
	s_or_b32 exec_lo, exec_lo, s41
	s_and_saveexec_b32 s41, s2
	s_cbranch_execnz .LBB33_42
.LBB33_58:                              ;   in Loop: Header=BB33_39 Depth=1
	s_or_b32 exec_lo, exec_lo, s41
	s_and_saveexec_b32 s41, s3
	s_cbranch_execz .LBB33_43
.LBB33_59:                              ;   in Loop: Header=BB33_39 Depth=1
	v_mov_b32_e32 v12, s27
	ds_load_b32 v12, v12
	s_wait_dscnt 0x0
	v_add_nc_u32_e32 v11, v12, v11
	s_or_b32 exec_lo, exec_lo, s41
	s_and_saveexec_b32 s41, s4
	s_cbranch_execnz .LBB33_44
.LBB33_60:                              ;   in Loop: Header=BB33_39 Depth=1
	s_or_b32 exec_lo, exec_lo, s41
	s_and_saveexec_b32 s41, s5
	s_cbranch_execz .LBB33_45
.LBB33_61:                              ;   in Loop: Header=BB33_39 Depth=1
	v_mov_b32_e32 v12, s29
	ds_load_b32 v12, v12
	s_wait_dscnt 0x0
	v_add_nc_u32_e32 v11, v12, v11
	s_or_b32 exec_lo, exec_lo, s41
	s_and_saveexec_b32 s41, s6
	s_cbranch_execnz .LBB33_46
.LBB33_62:                              ;   in Loop: Header=BB33_39 Depth=1
	s_or_b32 exec_lo, exec_lo, s41
	s_and_saveexec_b32 s41, s7
	s_cbranch_execz .LBB33_47
.LBB33_63:                              ;   in Loop: Header=BB33_39 Depth=1
	v_mov_b32_e32 v12, s31
	ds_load_b32 v12, v12
	s_wait_dscnt 0x0
	v_add_nc_u32_e32 v11, v12, v11
	s_or_b32 exec_lo, exec_lo, s41
	s_and_saveexec_b32 s41, s8
	s_cbranch_execnz .LBB33_48
.LBB33_64:                              ;   in Loop: Header=BB33_39 Depth=1
	s_or_b32 exec_lo, exec_lo, s41
	s_and_saveexec_b32 s41, s9
	s_cbranch_execz .LBB33_49
.LBB33_65:                              ;   in Loop: Header=BB33_39 Depth=1
	v_mov_b32_e32 v12, s34
	ds_load_b32 v12, v12
	s_wait_dscnt 0x0
	v_add_nc_u32_e32 v11, v12, v11
	s_or_b32 exec_lo, exec_lo, s41
	s_and_saveexec_b32 s41, s10
	s_cbranch_execnz .LBB33_50
.LBB33_66:                              ;   in Loop: Header=BB33_39 Depth=1
	s_or_b32 exec_lo, exec_lo, s41
	s_and_saveexec_b32 s41, s11
	s_cbranch_execz .LBB33_51
.LBB33_67:                              ;   in Loop: Header=BB33_39 Depth=1
	v_mov_b32_e32 v12, s37
	ds_load_b32 v12, v12
	s_wait_dscnt 0x0
	v_add_nc_u32_e32 v11, v12, v11
	s_or_b32 exec_lo, exec_lo, s41
	s_and_saveexec_b32 s41, s12
	s_cbranch_execnz .LBB33_52
.LBB33_68:                              ;   in Loop: Header=BB33_39 Depth=1
	s_or_b32 exec_lo, exec_lo, s41
	s_and_saveexec_b32 s41, s13
	s_cbranch_execz .LBB33_53
.LBB33_69:                              ;   in Loop: Header=BB33_39 Depth=1
	v_mov_b32_e32 v12, s39
	ds_load_b32 v12, v12
	s_wait_dscnt 0x0
	v_add_nc_u32_e32 v11, v12, v11
	s_or_b32 exec_lo, exec_lo, s41
	s_and_saveexec_b32 s41, s14
	s_cbranch_execnz .LBB33_54
.LBB33_70:                              ;   in Loop: Header=BB33_39 Depth=1
	s_or_b32 exec_lo, exec_lo, s41
	s_and_saveexec_b32 s41, s15
	s_cbranch_execz .LBB33_55
.LBB33_71:                              ;   in Loop: Header=BB33_39 Depth=1
	s_delay_alu instid0(VALU_DEP_1) | instskip(SKIP_1) | instid1(VALU_DEP_2)
	v_add3_u32 v12, v3, -1, v11
	v_add_nc_u32_e32 v13, v3, v11
	v_lshl_add_u32 v12, v12, 2, 0
	s_delay_alu instid0(VALU_DEP_2)
	v_lshl_add_u32 v13, v13, 3, 0
	ds_store_b32 v12, v10
	ds_store_b64 v13, v[4:5] offset:32760
	s_or_b32 exec_lo, exec_lo, s41
	s_and_saveexec_b32 s15, vcc_lo
	s_cbranch_execz .LBB33_38
.LBB33_72:                              ;   in Loop: Header=BB33_39 Depth=1
	v_mov_b32_e32 v4, s36
	ds_store_b32 v4, v11
	s_branch .LBB33_38
.LBB33_73:
	s_or_b32 exec_lo, exec_lo, s19
	s_wait_kmcnt 0x0
	s_ashr_i32 s21, s20, 31
	s_delay_alu instid0(SALU_CYCLE_1) | instskip(NEXT) | instid1(SALU_CYCLE_1)
	s_lshl_b64 s[0:1], s[20:21], 2
	s_add_nc_u64 s[2:3], s[22:23], s[0:1]
	s_load_b64 s[0:1], s[2:3], 0x0
	s_wait_kmcnt 0x0
	s_sub_co_i32 s4, s1, s0
	s_mov_b32 s1, exec_lo
	v_cmpx_gt_i32_e64 s4, v0
	s_cbranch_execz .LBB33_87
; %bb.74:
	v_sub_co_u32 v1, s1, s4, 2
	s_sub_co_i32 s2, s0, s18
	s_xor_b32 s6, s1, -1
	s_and_b32 s5, s4, -2
	v_readfirstlane_b32 s3, v1
	s_lshr_b32 s0, s3, 1
	s_mov_b32 s3, 0
	s_add_co_i32 s0, s0, 1
	s_mov_b32 s11, s3
	s_and_b32 s1, s0, 7
	s_and_b32 s7, s0, -8
	s_cmp_lg_u32 s1, 0
	v_cmp_lt_u32_e64 s0, 13, v1
	s_cselect_b32 s8, -1, 0
	s_cmp_lg_u32 s4, s5
	s_cselect_b32 s9, -1, 0
	s_lshl_b32 s10, s1, 3
	s_branch .LBB33_76
.LBB33_75:                              ;   in Loop: Header=BB33_76 Depth=1
	v_add_nc_u32_e32 v0, 0x400, v0
	s_wait_dscnt 0x0
	global_store_b64 v4, v[2:3], s[16:17] scale_offset
	v_cmp_le_i32_e32 vcc_lo, s4, v0
	s_or_b32 s11, vcc_lo, s11
	s_wait_xcnt 0x0
	s_and_not1_b32 exec_lo, exec_lo, s11
	s_cbranch_execz .LBB33_87
.LBB33_76:                              ; =>This Loop Header: Depth=1
                                        ;     Child Loop BB33_79 Depth 2
                                        ;     Child Loop BB33_82 Depth 2
	;; [unrolled: 1-line block ×3, first 2 shown]
	v_dual_mov_b32 v4, s2 :: v_dual_lshlrev_b32 v1, 2, v0
	s_and_not1_b32 vcc_lo, exec_lo, s6
	s_mov_b32 s1, 0
	s_mov_b32 s12, -1
	s_delay_alu instid0(VALU_DEP_1) | instskip(NEXT) | instid1(VALU_DEP_1)
	v_add_nc_u32_e32 v2, 0, v1
	v_add_nc_u32_e32 v3, v2, v1
	ds_load_b32 v1, v2
	ds_load_b64 v[2:3], v3 offset:32768
	s_cbranch_vccnz .LBB33_84
; %bb.77:                               ;   in Loop: Header=BB33_76 Depth=1
	v_mov_b64_e32 v[4:5], s[2:3]
	s_and_not1_b32 vcc_lo, exec_lo, s0
	s_mov_b32 s12, 0
	s_cbranch_vccnz .LBB33_80
; %bb.78:                               ;   in Loop: Header=BB33_76 Depth=1
	v_dual_mov_b32 v4, s2 :: v_dual_mov_b32 v5, 0
	s_mov_b32 s13, 0
	s_mov_b32 s14, s7
.LBB33_79:                              ;   Parent Loop BB33_76 Depth=1
                                        ; =>  This Inner Loop Header: Depth=2
	v_mov_b32_e32 v20, s13
	s_add_co_i32 s14, s14, -8
	s_add_co_i32 s12, s12, 16
	s_add_co_i32 s13, s13, 64
	s_cmp_lg_u32 s14, 0
	ds_load_2addr_b32 v[6:7], v20 offset1:1
	ds_load_2addr_b32 v[8:9], v20 offset0:2 offset1:3
	ds_load_2addr_b32 v[10:11], v20 offset0:4 offset1:5
	;; [unrolled: 1-line block ×7, first 2 shown]
	s_wait_dscnt 0x7
	v_cmp_gt_i32_e32 vcc_lo, v1, v7
	s_wait_dscnt 0x5
	v_cmp_gt_i32_e64 s1, v1, v10
	v_cndmask_b32_e64 v7, 0, 1, vcc_lo
	v_cmp_gt_i32_e32 vcc_lo, v1, v6
	v_cndmask_b32_e64 v6, 0, 1, vcc_lo
	v_cmp_gt_i32_e32 vcc_lo, v1, v8
	v_cndmask_b32_e64 v8, 0, 1, s1
	v_cmp_gt_i32_e64 s1, v1, v11
	s_delay_alu instid0(VALU_DEP_4) | instskip(NEXT) | instid1(VALU_DEP_2)
	v_add_co_ci_u32_e64 v4, null, v4, v6, vcc_lo
	v_cndmask_b32_e64 v10, 0, 1, s1
	s_wait_dscnt 0x4
	v_cmp_gt_i32_e64 s1, v1, v13
	s_wait_dscnt 0x2
	v_cmp_gt_i32_e32 vcc_lo, v1, v16
	s_delay_alu instid0(VALU_DEP_2) | instskip(SKIP_4) | instid1(VALU_DEP_3)
	v_cndmask_b32_e64 v11, 0, 1, s1
	v_cmp_gt_i32_e64 s1, v1, v12
	v_add_co_ci_u32_e64 v4, null, v4, v8, vcc_lo
	s_wait_dscnt 0x1
	v_cmp_gt_i32_e32 vcc_lo, v1, v18
	v_cndmask_b32_e64 v12, 0, 1, s1
	v_cmp_gt_i32_e64 s1, v1, v14
	s_delay_alu instid0(VALU_DEP_2) | instskip(NEXT) | instid1(VALU_DEP_2)
	v_add_co_ci_u32_e64 v4, null, v4, v12, vcc_lo
	v_cndmask_b32_e64 v13, 0, 1, s1
	v_cmp_gt_i32_e64 s1, v1, v15
	s_wait_dscnt 0x0
	v_cmp_gt_i32_e32 vcc_lo, v1, v20
	s_delay_alu instid0(VALU_DEP_2) | instskip(SKIP_2) | instid1(VALU_DEP_2)
	v_cndmask_b32_e64 v14, 0, 1, s1
	v_cmp_gt_i32_e64 s1, v1, v9
	v_add_co_ci_u32_e64 v4, null, v4, v13, vcc_lo
	v_add_co_ci_u32_e64 v5, null, v5, v7, s1
	v_cmp_gt_i32_e64 s1, v1, v17
	s_delay_alu instid0(VALU_DEP_1) | instskip(SKIP_1) | instid1(VALU_DEP_1)
	v_add_co_ci_u32_e64 v5, null, v5, v10, s1
	v_cmp_gt_i32_e64 s1, v1, v19
	v_add_co_ci_u32_e64 v5, null, v5, v11, s1
	v_cmp_gt_i32_e64 s1, v1, v21
	s_delay_alu instid0(VALU_DEP_1)
	v_add_co_ci_u32_e64 v5, null, v5, v14, s1
	s_cbranch_scc1 .LBB33_79
.LBB33_80:                              ;   in Loop: Header=BB33_76 Depth=1
	s_and_not1_b32 vcc_lo, exec_lo, s8
	s_cbranch_vccnz .LBB33_83
; %bb.81:                               ;   in Loop: Header=BB33_76 Depth=1
	s_lshl_b32 s1, s12, 2
	s_mov_b32 s12, s10
	s_add_co_i32 s1, s1, 0
.LBB33_82:                              ;   Parent Loop BB33_76 Depth=1
                                        ; =>  This Inner Loop Header: Depth=2
	s_delay_alu instid0(SALU_CYCLE_1)
	v_mov_b32_e32 v6, s1
	s_add_co_i32 s12, s12, -8
	s_add_co_i32 s1, s1, 8
	s_cmp_lg_u32 s12, 0
	ds_load_2addr_b32 v[6:7], v6 offset1:1
	s_wait_dscnt 0x0
	v_cmp_gt_i32_e32 vcc_lo, v1, v7
	v_add_co_ci_u32_e64 v5, null, 0, v5, vcc_lo
	v_cmp_gt_i32_e32 vcc_lo, v1, v6
	v_add_co_ci_u32_e64 v4, null, 0, v4, vcc_lo
	s_cbranch_scc1 .LBB33_82
.LBB33_83:                              ;   in Loop: Header=BB33_76 Depth=1
	s_delay_alu instid0(VALU_DEP_1)
	v_add_nc_u32_e32 v4, v4, v5
	s_mov_b32 s1, s5
	s_mov_b32 s12, s9
.LBB33_84:                              ;   in Loop: Header=BB33_76 Depth=1
	s_delay_alu instid0(SALU_CYCLE_1)
	s_and_b32 vcc_lo, exec_lo, s12
	s_cbranch_vccz .LBB33_75
; %bb.85:                               ;   in Loop: Header=BB33_76 Depth=1
	s_lshl_b32 s12, s1, 2
	s_delay_alu instid0(SALU_CYCLE_1)
	s_add_co_i32 s12, s12, 0
.LBB33_86:                              ;   Parent Loop BB33_76 Depth=1
                                        ; =>  This Inner Loop Header: Depth=2
	s_delay_alu instid0(SALU_CYCLE_1)
	v_mov_b32_e32 v5, s12
	s_add_co_i32 s1, s1, 1
	s_add_co_i32 s12, s12, 4
	s_cmp_ge_i32 s1, s4
	ds_load_b32 v5, v5
	s_wait_dscnt 0x0
	v_cmp_gt_i32_e32 vcc_lo, v1, v5
	v_add_co_ci_u32_e64 v4, null, 0, v4, vcc_lo
	s_cbranch_scc0 .LBB33_86
	s_branch .LBB33_75
.LBB33_87:
	s_endpgm
	.section	.rodata,"a",@progbits
	.p2align	6, 0x0
	.amdhsa_kernel _ZN9rocsparseL41csrgemm_numeric_fill_block_per_row_kernelILj1024ELj64ELj8192ELj137ELj64EiidEEvT5_PKS1_S3_NS_24const_host_device_scalarIT6_EEPKT4_S3_PKS5_S9_S3_SB_S6_S9_S3_SB_S9_S3_PS5_21rocsparse_index_base_SD_SD_SD_bbb
		.amdhsa_group_segment_fixed_size 0
		.amdhsa_private_segment_fixed_size 0
		.amdhsa_kernarg_size 156
		.amdhsa_user_sgpr_count 2
		.amdhsa_user_sgpr_dispatch_ptr 0
		.amdhsa_user_sgpr_queue_ptr 0
		.amdhsa_user_sgpr_kernarg_segment_ptr 1
		.amdhsa_user_sgpr_dispatch_id 0
		.amdhsa_user_sgpr_kernarg_preload_length 0
		.amdhsa_user_sgpr_kernarg_preload_offset 0
		.amdhsa_user_sgpr_private_segment_size 0
		.amdhsa_wavefront_size32 1
		.amdhsa_uses_dynamic_stack 0
		.amdhsa_enable_private_segment 0
		.amdhsa_system_sgpr_workgroup_id_x 1
		.amdhsa_system_sgpr_workgroup_id_y 0
		.amdhsa_system_sgpr_workgroup_id_z 0
		.amdhsa_system_sgpr_workgroup_info 0
		.amdhsa_system_vgpr_workitem_id 0
		.amdhsa_next_free_vgpr 22
		.amdhsa_next_free_sgpr 42
		.amdhsa_named_barrier_count 0
		.amdhsa_reserve_vcc 1
		.amdhsa_float_round_mode_32 0
		.amdhsa_float_round_mode_16_64 0
		.amdhsa_float_denorm_mode_32 3
		.amdhsa_float_denorm_mode_16_64 3
		.amdhsa_fp16_overflow 0
		.amdhsa_memory_ordered 1
		.amdhsa_forward_progress 1
		.amdhsa_inst_pref_size 29
		.amdhsa_round_robin_scheduling 0
		.amdhsa_exception_fp_ieee_invalid_op 0
		.amdhsa_exception_fp_denorm_src 0
		.amdhsa_exception_fp_ieee_div_zero 0
		.amdhsa_exception_fp_ieee_overflow 0
		.amdhsa_exception_fp_ieee_underflow 0
		.amdhsa_exception_fp_ieee_inexact 0
		.amdhsa_exception_int_div_zero 0
	.end_amdhsa_kernel
	.section	.text._ZN9rocsparseL41csrgemm_numeric_fill_block_per_row_kernelILj1024ELj64ELj8192ELj137ELj64EiidEEvT5_PKS1_S3_NS_24const_host_device_scalarIT6_EEPKT4_S3_PKS5_S9_S3_SB_S6_S9_S3_SB_S9_S3_PS5_21rocsparse_index_base_SD_SD_SD_bbb,"axG",@progbits,_ZN9rocsparseL41csrgemm_numeric_fill_block_per_row_kernelILj1024ELj64ELj8192ELj137ELj64EiidEEvT5_PKS1_S3_NS_24const_host_device_scalarIT6_EEPKT4_S3_PKS5_S9_S3_SB_S6_S9_S3_SB_S9_S3_PS5_21rocsparse_index_base_SD_SD_SD_bbb,comdat
.Lfunc_end33:
	.size	_ZN9rocsparseL41csrgemm_numeric_fill_block_per_row_kernelILj1024ELj64ELj8192ELj137ELj64EiidEEvT5_PKS1_S3_NS_24const_host_device_scalarIT6_EEPKT4_S3_PKS5_S9_S3_SB_S6_S9_S3_SB_S9_S3_PS5_21rocsparse_index_base_SD_SD_SD_bbb, .Lfunc_end33-_ZN9rocsparseL41csrgemm_numeric_fill_block_per_row_kernelILj1024ELj64ELj8192ELj137ELj64EiidEEvT5_PKS1_S3_NS_24const_host_device_scalarIT6_EEPKT4_S3_PKS5_S9_S3_SB_S6_S9_S3_SB_S9_S3_PS5_21rocsparse_index_base_SD_SD_SD_bbb
                                        ; -- End function
	.set _ZN9rocsparseL41csrgemm_numeric_fill_block_per_row_kernelILj1024ELj64ELj8192ELj137ELj64EiidEEvT5_PKS1_S3_NS_24const_host_device_scalarIT6_EEPKT4_S3_PKS5_S9_S3_SB_S6_S9_S3_SB_S9_S3_PS5_21rocsparse_index_base_SD_SD_SD_bbb.num_vgpr, 22
	.set _ZN9rocsparseL41csrgemm_numeric_fill_block_per_row_kernelILj1024ELj64ELj8192ELj137ELj64EiidEEvT5_PKS1_S3_NS_24const_host_device_scalarIT6_EEPKT4_S3_PKS5_S9_S3_SB_S6_S9_S3_SB_S9_S3_PS5_21rocsparse_index_base_SD_SD_SD_bbb.num_agpr, 0
	.set _ZN9rocsparseL41csrgemm_numeric_fill_block_per_row_kernelILj1024ELj64ELj8192ELj137ELj64EiidEEvT5_PKS1_S3_NS_24const_host_device_scalarIT6_EEPKT4_S3_PKS5_S9_S3_SB_S6_S9_S3_SB_S9_S3_PS5_21rocsparse_index_base_SD_SD_SD_bbb.numbered_sgpr, 42
	.set _ZN9rocsparseL41csrgemm_numeric_fill_block_per_row_kernelILj1024ELj64ELj8192ELj137ELj64EiidEEvT5_PKS1_S3_NS_24const_host_device_scalarIT6_EEPKT4_S3_PKS5_S9_S3_SB_S6_S9_S3_SB_S9_S3_PS5_21rocsparse_index_base_SD_SD_SD_bbb.num_named_barrier, 0
	.set _ZN9rocsparseL41csrgemm_numeric_fill_block_per_row_kernelILj1024ELj64ELj8192ELj137ELj64EiidEEvT5_PKS1_S3_NS_24const_host_device_scalarIT6_EEPKT4_S3_PKS5_S9_S3_SB_S6_S9_S3_SB_S9_S3_PS5_21rocsparse_index_base_SD_SD_SD_bbb.private_seg_size, 0
	.set _ZN9rocsparseL41csrgemm_numeric_fill_block_per_row_kernelILj1024ELj64ELj8192ELj137ELj64EiidEEvT5_PKS1_S3_NS_24const_host_device_scalarIT6_EEPKT4_S3_PKS5_S9_S3_SB_S6_S9_S3_SB_S9_S3_PS5_21rocsparse_index_base_SD_SD_SD_bbb.uses_vcc, 1
	.set _ZN9rocsparseL41csrgemm_numeric_fill_block_per_row_kernelILj1024ELj64ELj8192ELj137ELj64EiidEEvT5_PKS1_S3_NS_24const_host_device_scalarIT6_EEPKT4_S3_PKS5_S9_S3_SB_S6_S9_S3_SB_S9_S3_PS5_21rocsparse_index_base_SD_SD_SD_bbb.uses_flat_scratch, 0
	.set _ZN9rocsparseL41csrgemm_numeric_fill_block_per_row_kernelILj1024ELj64ELj8192ELj137ELj64EiidEEvT5_PKS1_S3_NS_24const_host_device_scalarIT6_EEPKT4_S3_PKS5_S9_S3_SB_S6_S9_S3_SB_S9_S3_PS5_21rocsparse_index_base_SD_SD_SD_bbb.has_dyn_sized_stack, 0
	.set _ZN9rocsparseL41csrgemm_numeric_fill_block_per_row_kernelILj1024ELj64ELj8192ELj137ELj64EiidEEvT5_PKS1_S3_NS_24const_host_device_scalarIT6_EEPKT4_S3_PKS5_S9_S3_SB_S6_S9_S3_SB_S9_S3_PS5_21rocsparse_index_base_SD_SD_SD_bbb.has_recursion, 0
	.set _ZN9rocsparseL41csrgemm_numeric_fill_block_per_row_kernelILj1024ELj64ELj8192ELj137ELj64EiidEEvT5_PKS1_S3_NS_24const_host_device_scalarIT6_EEPKT4_S3_PKS5_S9_S3_SB_S6_S9_S3_SB_S9_S3_PS5_21rocsparse_index_base_SD_SD_SD_bbb.has_indirect_call, 0
	.section	.AMDGPU.csdata,"",@progbits
; Kernel info:
; codeLenInByte = 3680
; TotalNumSgprs: 44
; NumVgprs: 22
; ScratchSize: 0
; MemoryBound: 0
; FloatMode: 240
; IeeeMode: 1
; LDSByteSize: 0 bytes/workgroup (compile time only)
; SGPRBlocks: 0
; VGPRBlocks: 1
; NumSGPRsForWavesPerEU: 44
; NumVGPRsForWavesPerEU: 22
; NamedBarCnt: 0
; Occupancy: 16
; WaveLimiterHint : 1
; COMPUTE_PGM_RSRC2:SCRATCH_EN: 0
; COMPUTE_PGM_RSRC2:USER_SGPR: 2
; COMPUTE_PGM_RSRC2:TRAP_HANDLER: 0
; COMPUTE_PGM_RSRC2:TGID_X_EN: 1
; COMPUTE_PGM_RSRC2:TGID_Y_EN: 0
; COMPUTE_PGM_RSRC2:TGID_Z_EN: 0
; COMPUTE_PGM_RSRC2:TIDIG_COMP_CNT: 0
	.section	.text._ZN9rocsparseL41csrgemm_numeric_fill_block_per_row_kernelILj1024ELj64ELj16384ELj137ELj32EiidEEvT5_PKS1_S3_NS_24const_host_device_scalarIT6_EEPKT4_S3_PKS5_S9_S3_SB_S6_S9_S3_SB_S9_S3_PS5_21rocsparse_index_base_SD_SD_SD_bbb,"axG",@progbits,_ZN9rocsparseL41csrgemm_numeric_fill_block_per_row_kernelILj1024ELj64ELj16384ELj137ELj32EiidEEvT5_PKS1_S3_NS_24const_host_device_scalarIT6_EEPKT4_S3_PKS5_S9_S3_SB_S6_S9_S3_SB_S9_S3_PS5_21rocsparse_index_base_SD_SD_SD_bbb,comdat
	.globl	_ZN9rocsparseL41csrgemm_numeric_fill_block_per_row_kernelILj1024ELj64ELj16384ELj137ELj32EiidEEvT5_PKS1_S3_NS_24const_host_device_scalarIT6_EEPKT4_S3_PKS5_S9_S3_SB_S6_S9_S3_SB_S9_S3_PS5_21rocsparse_index_base_SD_SD_SD_bbb ; -- Begin function _ZN9rocsparseL41csrgemm_numeric_fill_block_per_row_kernelILj1024ELj64ELj16384ELj137ELj32EiidEEvT5_PKS1_S3_NS_24const_host_device_scalarIT6_EEPKT4_S3_PKS5_S9_S3_SB_S6_S9_S3_SB_S9_S3_PS5_21rocsparse_index_base_SD_SD_SD_bbb
	.p2align	8
	.type	_ZN9rocsparseL41csrgemm_numeric_fill_block_per_row_kernelILj1024ELj64ELj16384ELj137ELj32EiidEEvT5_PKS1_S3_NS_24const_host_device_scalarIT6_EEPKT4_S3_PKS5_S9_S3_SB_S6_S9_S3_SB_S9_S3_PS5_21rocsparse_index_base_SD_SD_SD_bbb,@function
_ZN9rocsparseL41csrgemm_numeric_fill_block_per_row_kernelILj1024ELj64ELj16384ELj137ELj32EiidEEvT5_PKS1_S3_NS_24const_host_device_scalarIT6_EEPKT4_S3_PKS5_S9_S3_SB_S6_S9_S3_SB_S9_S3_PS5_21rocsparse_index_base_SD_SD_SD_bbb: ; @_ZN9rocsparseL41csrgemm_numeric_fill_block_per_row_kernelILj1024ELj64ELj16384ELj137ELj32EiidEEvT5_PKS1_S3_NS_24const_host_device_scalarIT6_EEPKT4_S3_PKS5_S9_S3_SB_S6_S9_S3_SB_S9_S3_PS5_21rocsparse_index_base_SD_SD_SD_bbb
; %bb.0:
	s_clause 0x3
	s_load_b32 s14, s[0:1], 0x98
	s_load_b64 s[2:3], s[0:1], 0x18
	s_load_b128 s[36:39], s[0:1], 0x88
	s_load_b64 s[12:13], s[0:1], 0x50
	s_wait_kmcnt 0x0
	s_bitcmp1_b32 s14, 0
	s_cselect_b32 s25, -1, 0
	s_bitcmp1_b32 s14, 16
	s_cselect_b32 s15, -1, 0
	s_xor_b32 s4, s25, -1
	s_delay_alu instid0(SALU_CYCLE_1)
	s_or_b32 s6, s15, s4
	s_and_b32 s4, s25, exec_lo
	s_cselect_b32 s5, s3, 0
	s_cselect_b32 s4, s2, 0
	s_and_b32 vcc_lo, exec_lo, s6
	v_mov_b64_e32 v[4:5], s[4:5]
	s_cbranch_vccnz .LBB34_2
; %bb.1:
	v_mov_b32_e32 v1, 0
	flat_load_b64 v[4:5], v1, s[2:3]
.LBB34_2:
	s_clause 0x4
	s_load_b64 s[34:35], s[0:1], 0x80
	s_load_b128 s[4:7], s[0:1], 0x60
	s_load_b128 s[8:11], s[0:1], 0x40
	;; [unrolled: 1-line block ×3, first 2 shown]
	s_load_b64 s[2:3], s[0:1], 0x28
	s_bitcmp1_b32 s14, 8
	s_cselect_b32 s24, -1, 0
	s_delay_alu instid0(SALU_CYCLE_1) | instskip(NEXT) | instid1(SALU_CYCLE_1)
	s_xor_b32 s14, s24, -1
	s_or_b32 s20, s15, s14
	s_and_b32 s14, s24, exec_lo
	s_cselect_b32 s15, s13, 0
	s_cselect_b32 s14, s12, 0
	s_and_b32 vcc_lo, exec_lo, s20
	v_mov_b64_e32 v[2:3], s[14:15]
	s_cbranch_vccnz .LBB34_4
; %bb.3:
	v_mov_b32_e32 v1, 0
	flat_load_b64 v[2:3], v1, s[12:13]
.LBB34_4:
	s_clause 0x4
	s_load_b32 s33, s[0:1], 0x0
	s_load_b64 s[22:23], s[0:1], 0x20
	s_load_b64 s[40:41], s[0:1], 0x70
	s_load_b64 s[20:21], s[0:1], 0x58
	s_load_b128 s[12:15], s[0:1], 0x30
	v_lshl_add_u32 v1, v0, 2, 0
	v_lshlrev_b32_e32 v6, 3, v0
	v_or_b32_e32 v13, 0xfffffc00, v0
	s_wait_xcnt 0x0
	s_mov_b32 s0, 0
	v_mov_b32_e32 v8, v1
	v_add3_u32 v12, v6, 0, 0x10000
	v_mov_b64_e32 v[6:7], 0
	s_delay_alu instid0(VALU_DEP_2)
	v_dual_mov_b32 v11, v13 :: v_dual_mov_b32 v9, v12
	s_wait_kmcnt 0x0
	v_mov_b32_e32 v10, s33
.LBB34_5:                               ; =>This Inner Loop Header: Depth=1
	s_delay_alu instid0(VALU_DEP_2)
	v_add_nc_u32_e32 v11, 0x400, v11
	ds_store_b32 v8, v10
	ds_store_b64 v9, v[6:7]
	v_add_nc_u32_e32 v9, 0x2000, v9
	v_add_nc_u32_e32 v8, 0x1000, v8
	v_cmp_lt_u32_e32 vcc_lo, 0x3bff, v11
	s_or_b32 s0, vcc_lo, s0
	s_delay_alu instid0(SALU_CYCLE_1)
	s_and_not1_b32 exec_lo, exec_lo, s0
	s_cbranch_execnz .LBB34_5
; %bb.6:
	s_or_b32 exec_lo, exec_lo, s0
	s_wait_loadcnt_dscnt 0x0
	s_barrier_signal -1
	s_barrier_wait -1
	s_load_b32 s0, s[16:17], 0x0
	s_bfe_u32 s1, ttmp6, 0x4000c
	s_wait_xcnt 0x0
	s_and_b32 s16, ttmp6, 15
	s_add_co_i32 s1, s1, 1
	s_getreg_b32 s17, hwreg(HW_REG_IB_STS2, 6, 4)
	s_mul_i32 s1, ttmp9, s1
	s_delay_alu instid0(SALU_CYCLE_1)
	s_add_co_i32 s16, s16, s1
	s_cmp_eq_u32 s17, 0
	s_cselect_b32 s1, ttmp9, s16
	s_and_b32 vcc_lo, exec_lo, s25
	s_wait_kmcnt 0x0
	s_add_co_i32 s0, s0, s1
	s_load_b32 s42, s[18:19], s0 offset:0x0 scale_offset
	s_cbranch_vccz .LBB34_24
; %bb.7:
	s_wait_kmcnt 0x0
	s_ashr_i32 s43, s42, 31
	v_lshrrev_b32_e32 v6, 6, v0
	s_lshl_b64 s[0:1], s[42:43], 2
	s_delay_alu instid0(SALU_CYCLE_1) | instskip(NEXT) | instid1(VALU_DEP_1)
	s_add_nc_u64 s[0:1], s[22:23], s[0:1]
	v_subrev_nc_u32_e32 v6, s36, v6
	s_load_b64 s[16:17], s[0:1], 0x0
	s_wait_xcnt 0x0
	s_mov_b32 s1, exec_lo
	s_wait_kmcnt 0x0
	v_add_nc_u32_e32 v6, s16, v6
	s_sub_co_i32 s0, s17, s36
	s_delay_alu instid0(VALU_DEP_1) | instid1(SALU_CYCLE_1)
	v_cmpx_gt_i32_e64 s0, v6
	s_cbranch_execz .LBB34_23
; %bb.8:
	v_and_b32_e32 v7, 63, v0
	s_mov_b32 s16, 0
	s_delay_alu instid0(VALU_DEP_1)
	v_subrev_nc_u32_e32 v14, s37, v7
	s_branch .LBB34_10
.LBB34_9:                               ;   in Loop: Header=BB34_10 Depth=1
	s_or_b32 exec_lo, exec_lo, s17
	v_add_nc_u32_e32 v6, 16, v6
	s_delay_alu instid0(VALU_DEP_1) | instskip(SKIP_1) | instid1(SALU_CYCLE_1)
	v_cmp_le_i32_e32 vcc_lo, s0, v6
	s_or_b32 s16, vcc_lo, s16
	s_and_not1_b32 exec_lo, exec_lo, s16
	s_cbranch_execz .LBB34_23
.LBB34_10:                              ; =>This Loop Header: Depth=1
                                        ;     Child Loop BB34_14 Depth 2
                                        ;       Child Loop BB34_17 Depth 3
	global_load_b32 v7, v6, s[2:3] scale_offset
	s_mov_b32 s17, exec_lo
	s_wait_loadcnt 0x0
	v_subrev_nc_u32_e32 v8, s36, v7
	s_delay_alu instid0(VALU_DEP_1) | instskip(NEXT) | instid1(VALU_DEP_1)
	v_ashrrev_i32_e32 v9, 31, v8
	v_lshl_add_u64 v[8:9], v[8:9], 2, s[14:15]
	global_load_b64 v[8:9], v[8:9], off
	s_wait_loadcnt 0x0
	v_subrev_nc_u32_e32 v15, s37, v9
	v_add_nc_u32_e32 v16, v8, v14
	s_wait_xcnt 0x0
	s_delay_alu instid0(VALU_DEP_1)
	v_cmpx_lt_i32_e64 v16, v15
	s_cbranch_execz .LBB34_9
; %bb.11:                               ;   in Loop: Header=BB34_10 Depth=1
	v_ashrrev_i32_e32 v7, 31, v6
	s_mov_b32 s18, 0
	s_delay_alu instid0(VALU_DEP_1)
	v_lshl_add_u64 v[8:9], v[6:7], 3, s[12:13]
	global_load_b64 v[8:9], v[8:9], off
	s_wait_loadcnt 0x0
	s_wait_xcnt 0x0
	v_mul_f64_e32 v[8:9], v[4:5], v[8:9]
	s_branch .LBB34_14
.LBB34_12:                              ;   in Loop: Header=BB34_14 Depth=2
	s_or_b32 exec_lo, exec_lo, s22
.LBB34_13:                              ;   in Loop: Header=BB34_14 Depth=2
	s_delay_alu instid0(SALU_CYCLE_1) | instskip(SKIP_3) | instid1(VALU_DEP_2)
	s_or_b32 exec_lo, exec_lo, s19
	s_wait_loadcnt 0x0
	v_dual_mul_f64 v[10:11], v[8:9], v[10:11] :: v_dual_add_nc_u32 v16, 64, v16
	v_lshlrev_b32_e32 v7, 3, v7
	v_cmp_ge_i32_e32 vcc_lo, v16, v15
	s_delay_alu instid0(VALU_DEP_2)
	v_add3_u32 v7, 0, v7, 0x10000
	s_or_b32 s18, vcc_lo, s18
	ds_add_f64 v7, v[10:11]
	s_and_not1_b32 exec_lo, exec_lo, s18
	s_cbranch_execz .LBB34_9
.LBB34_14:                              ;   Parent Loop BB34_10 Depth=1
                                        ; =>  This Loop Header: Depth=2
                                        ;       Child Loop BB34_17 Depth 3
	s_clause 0x1
	global_load_b32 v7, v16, s[8:9] scale_offset
	global_load_b64 v[10:11], v16, s[10:11] scale_offset
	s_mov_b32 s19, exec_lo
	s_wait_loadcnt 0x1
	v_subrev_nc_u32_e32 v17, s37, v7
	s_delay_alu instid0(VALU_DEP_1) | instskip(NEXT) | instid1(VALU_DEP_1)
	v_mul_lo_u32 v7, 0x89, v17
	v_and_b32_e32 v7, 0x3fff, v7
	s_delay_alu instid0(VALU_DEP_1)
	v_lshl_add_u32 v18, v7, 2, 0
	ds_load_b32 v19, v18
	s_wait_dscnt 0x0
	s_wait_xcnt 0x0
	v_cmpx_ne_u32_e64 v19, v17
	s_cbranch_execz .LBB34_13
; %bb.15:                               ;   in Loop: Header=BB34_14 Depth=2
	s_mov_b32 s22, 0
	s_branch .LBB34_17
.LBB34_16:                              ;   in Loop: Header=BB34_17 Depth=3
	s_or_b32 exec_lo, exec_lo, s26
	s_delay_alu instid0(SALU_CYCLE_1) | instskip(NEXT) | instid1(SALU_CYCLE_1)
	s_and_b32 s23, exec_lo, s25
	s_or_b32 s22, s23, s22
	s_delay_alu instid0(SALU_CYCLE_1)
	s_and_not1_b32 exec_lo, exec_lo, s22
	s_cbranch_execz .LBB34_12
.LBB34_17:                              ;   Parent Loop BB34_10 Depth=1
                                        ;     Parent Loop BB34_14 Depth=2
                                        ; =>    This Inner Loop Header: Depth=3
	s_mov_b32 s23, 0
	s_mov_b32 s25, exec_lo
	v_cmpx_ne_u32_e64 s33, v19
	s_xor_b32 s25, exec_lo, s25
	s_cbranch_execz .LBB34_19
; %bb.18:                               ;   in Loop: Header=BB34_17 Depth=3
	v_add_nc_u32_e32 v7, 1, v7
	s_mov_b32 s23, exec_lo
                                        ; implicit-def: $vgpr18
	s_delay_alu instid0(VALU_DEP_1)
	v_and_b32_e32 v7, 0x3fff, v7
	s_and_not1_saveexec_b32 s25, s25
	s_cbranch_execz .LBB34_21
	s_branch .LBB34_20
.LBB34_19:                              ;   in Loop: Header=BB34_17 Depth=3
	s_and_not1_saveexec_b32 s25, s25
	s_cbranch_execz .LBB34_21
.LBB34_20:                              ;   in Loop: Header=BB34_17 Depth=3
	v_mov_b32_e32 v19, s33
	s_and_not1_b32 s23, s23, exec_lo
	ds_cmpstore_rtn_b32 v18, v18, v17, v19
	s_wait_dscnt 0x0
	v_cmp_ne_u32_e32 vcc_lo, s33, v18
	s_and_b32 s26, vcc_lo, exec_lo
	s_delay_alu instid0(SALU_CYCLE_1)
	s_or_b32 s23, s23, s26
.LBB34_21:                              ;   in Loop: Header=BB34_17 Depth=3
	s_or_b32 exec_lo, exec_lo, s25
	s_mov_b32 s25, -1
                                        ; implicit-def: $vgpr18
                                        ; implicit-def: $vgpr19
	s_and_saveexec_b32 s26, s23
	s_cbranch_execz .LBB34_16
; %bb.22:                               ;   in Loop: Header=BB34_17 Depth=3
	v_lshl_add_u32 v18, v7, 2, 0
	ds_load_b32 v19, v18
	s_wait_dscnt 0x0
	v_cmp_eq_u32_e32 vcc_lo, v19, v17
	s_or_not1_b32 s25, vcc_lo, exec_lo
	s_branch .LBB34_16
.LBB34_23:
	s_or_b32 exec_lo, exec_lo, s1
.LBB34_24:
	s_delay_alu instid0(SALU_CYCLE_1)
	s_and_not1_b32 vcc_lo, exec_lo, s24
	s_cbranch_vccnz .LBB34_39
; %bb.25:
	s_wait_kmcnt 0x0
	s_ashr_i32 s43, s42, 31
	v_subrev_nc_u32_e32 v4, s39, v0
	s_lshl_b64 s[0:1], s[42:43], 2
	s_delay_alu instid0(SALU_CYCLE_1)
	s_add_nc_u64 s[0:1], s[20:21], s[0:1]
	s_load_b64 s[2:3], s[0:1], 0x0
	s_wait_xcnt 0x0
	s_mov_b32 s1, exec_lo
	s_wait_kmcnt 0x0
	v_add_nc_u32_e32 v6, s2, v4
	s_sub_co_i32 s0, s3, s39
	s_delay_alu instid0(VALU_DEP_1) | instid1(SALU_CYCLE_1)
	v_cmpx_gt_i32_e64 s0, v6
	s_cbranch_execz .LBB34_38
; %bb.26:
	s_mov_b32 s2, 0
	s_branch .LBB34_29
.LBB34_27:                              ;   in Loop: Header=BB34_29 Depth=1
	s_or_b32 exec_lo, exec_lo, s8
.LBB34_28:                              ;   in Loop: Header=BB34_29 Depth=1
	s_delay_alu instid0(SALU_CYCLE_1) | instskip(SKIP_3) | instid1(VALU_DEP_2)
	s_or_b32 exec_lo, exec_lo, s3
	s_wait_loadcnt 0x0
	v_dual_mul_f64 v[4:5], v[2:3], v[4:5] :: v_dual_lshlrev_b32 v7, 3, v7
	v_add_nc_u32_e32 v6, 0x400, v6
	v_add3_u32 v7, 0, v7, 0x10000
	s_delay_alu instid0(VALU_DEP_2)
	v_cmp_le_i32_e32 vcc_lo, s0, v6
	s_or_b32 s2, vcc_lo, s2
	ds_add_f64 v7, v[4:5]
	s_and_not1_b32 exec_lo, exec_lo, s2
	s_cbranch_execz .LBB34_38
.LBB34_29:                              ; =>This Loop Header: Depth=1
                                        ;     Child Loop BB34_32 Depth 2
	s_clause 0x1
	global_load_b32 v7, v6, s[4:5] scale_offset
	global_load_b64 v[4:5], v6, s[6:7] scale_offset
	s_mov_b32 s3, exec_lo
	s_wait_loadcnt 0x1
	v_subrev_nc_u32_e32 v8, s39, v7
	s_delay_alu instid0(VALU_DEP_1) | instskip(NEXT) | instid1(VALU_DEP_1)
	v_mul_lo_u32 v7, 0x89, v8
	v_and_b32_e32 v7, 0x3fff, v7
	s_delay_alu instid0(VALU_DEP_1)
	v_lshl_add_u32 v9, v7, 2, 0
	ds_load_b32 v10, v9
	s_wait_dscnt 0x0
	s_wait_xcnt 0x0
	v_cmpx_ne_u32_e64 v10, v8
	s_cbranch_execz .LBB34_28
; %bb.30:                               ;   in Loop: Header=BB34_29 Depth=1
	s_mov_b32 s8, 0
	s_branch .LBB34_32
.LBB34_31:                              ;   in Loop: Header=BB34_32 Depth=2
	s_or_b32 exec_lo, exec_lo, s11
	s_delay_alu instid0(SALU_CYCLE_1) | instskip(NEXT) | instid1(SALU_CYCLE_1)
	s_and_b32 s9, exec_lo, s10
	s_or_b32 s8, s9, s8
	s_delay_alu instid0(SALU_CYCLE_1)
	s_and_not1_b32 exec_lo, exec_lo, s8
	s_cbranch_execz .LBB34_27
.LBB34_32:                              ;   Parent Loop BB34_29 Depth=1
                                        ; =>  This Inner Loop Header: Depth=2
	s_mov_b32 s9, 0
	s_mov_b32 s10, exec_lo
	v_cmpx_ne_u32_e64 s33, v10
	s_xor_b32 s10, exec_lo, s10
	s_cbranch_execz .LBB34_34
; %bb.33:                               ;   in Loop: Header=BB34_32 Depth=2
	v_add_nc_u32_e32 v7, 1, v7
	s_mov_b32 s9, exec_lo
                                        ; implicit-def: $vgpr9
	s_delay_alu instid0(VALU_DEP_1)
	v_and_b32_e32 v7, 0x3fff, v7
	s_and_not1_saveexec_b32 s10, s10
	s_cbranch_execz .LBB34_36
	s_branch .LBB34_35
.LBB34_34:                              ;   in Loop: Header=BB34_32 Depth=2
	s_and_not1_saveexec_b32 s10, s10
	s_cbranch_execz .LBB34_36
.LBB34_35:                              ;   in Loop: Header=BB34_32 Depth=2
	v_mov_b32_e32 v10, s33
	s_and_not1_b32 s9, s9, exec_lo
	ds_cmpstore_rtn_b32 v9, v9, v8, v10
	s_wait_dscnt 0x0
	v_cmp_ne_u32_e32 vcc_lo, s33, v9
	s_and_b32 s11, vcc_lo, exec_lo
	s_delay_alu instid0(SALU_CYCLE_1)
	s_or_b32 s9, s9, s11
.LBB34_36:                              ;   in Loop: Header=BB34_32 Depth=2
	s_or_b32 exec_lo, exec_lo, s10
	s_mov_b32 s10, -1
                                        ; implicit-def: $vgpr9
                                        ; implicit-def: $vgpr10
	s_and_saveexec_b32 s11, s9
	s_cbranch_execz .LBB34_31
; %bb.37:                               ;   in Loop: Header=BB34_32 Depth=2
	v_lshl_add_u32 v9, v7, 2, 0
	ds_load_b32 v10, v9
	s_wait_dscnt 0x0
	v_cmp_eq_u32_e32 vcc_lo, v10, v8
	s_or_not1_b32 s10, vcc_lo, exec_lo
	s_branch .LBB34_31
.LBB34_38:
	s_or_b32 exec_lo, exec_lo, s1
.LBB34_39:
	v_mbcnt_lo_u32_b32 v2, -1, 0
	v_lshrrev_b32_e32 v3, 3, v0
	s_wait_xcnt 0x0
	v_cmp_lt_u32_e64 s0, 31, v0
	v_cmp_lt_u32_e64 s1, 63, v0
	;; [unrolled: 1-line block ×3, first 2 shown]
	v_xor_b32_e32 v2, 31, v2
	v_and_b32_e32 v4, 0x7c, v3
	v_mov_b32_e32 v3, 0
	v_cmp_lt_u32_e64 s3, 0x7f, v0
	v_cmp_lt_u32_e64 s4, 0x9f, v0
	v_lshrrev_b32_e64 v2, v2, -1
	v_add3_u32 v6, 0x30000, 0, v4
	v_cmp_lt_u32_e64 s5, 0xbf, v0
	v_cmp_lt_u32_e64 s6, 0xdf, v0
	;; [unrolled: 1-line block ×26, first 2 shown]
	s_mov_b32 s36, 0
	s_add_co_i32 s37, 0, 0x30000
	s_add_co_i32 s39, 0, 0x30004
	;; [unrolled: 1-line block ×32, first 2 shown]
	s_wait_dscnt 0x0
	s_barrier_signal -1
	s_barrier_wait -1
	v_cmp_eq_u32_e32 vcc_lo, 0x3ff, v0
	s_branch .LBB34_41
.LBB34_40:                              ;   in Loop: Header=BB34_41 Depth=1
	s_or_b32 exec_lo, exec_lo, s31
	v_dual_mov_b32 v4, s72 :: v_dual_add_nc_u32 v13, 0x400, v13
	s_wait_dscnt 0x0
	s_barrier_signal -1
	s_barrier_wait -1
	ds_load_b32 v4, v4
	v_cmp_lt_u32_e64 s31, 0x3bff, v13
	v_add_nc_u32_e32 v12, 0x2000, v12
	v_add_nc_u32_e32 v1, 0x1000, v1
	s_or_b32 s36, s31, s36
	s_wait_dscnt 0x0
	v_add_nc_u32_e32 v3, v4, v3
	s_and_not1_b32 exec_lo, exec_lo, s36
	s_cbranch_execz .LBB34_107
.LBB34_41:                              ; =>This Inner Loop Header: Depth=1
	ds_load_b32 v7, v1
	ds_load_b64 v[4:5], v12
	s_wait_dscnt 0x0
	s_barrier_signal -1
	s_barrier_wait -1
	v_cmp_gt_i32_e64 s31, s33, v7
	s_bcnt1_i32_b32 s73, s31
	s_delay_alu instid0(SALU_CYCLE_1) | instskip(NEXT) | instid1(VALU_DEP_1)
	v_dual_mov_b32 v9, s73 :: v_dual_bitop2_b32 v8, s31, v2 bitop3:0x40
	v_bcnt_u32_b32 v8, v8, 0
	ds_store_b32 v6, v9
	s_wait_dscnt 0x0
	s_barrier_signal -1
	s_barrier_wait -1
	s_and_saveexec_b32 s73, s0
	s_cbranch_execz .LBB34_74
; %bb.42:                               ;   in Loop: Header=BB34_41 Depth=1
	v_mov_b32_e32 v9, s37
	ds_load_b32 v9, v9
	s_wait_dscnt 0x0
	v_add_nc_u32_e32 v8, v9, v8
	s_or_b32 exec_lo, exec_lo, s73
	s_and_saveexec_b32 s73, s1
	s_cbranch_execnz .LBB34_75
.LBB34_43:                              ;   in Loop: Header=BB34_41 Depth=1
	s_or_b32 exec_lo, exec_lo, s73
	s_and_saveexec_b32 s73, s2
	s_cbranch_execz .LBB34_76
.LBB34_44:                              ;   in Loop: Header=BB34_41 Depth=1
	v_mov_b32_e32 v9, s43
	ds_load_b32 v9, v9
	s_wait_dscnt 0x0
	v_add_nc_u32_e32 v8, v9, v8
	s_or_b32 exec_lo, exec_lo, s73
	s_and_saveexec_b32 s73, s3
	s_cbranch_execnz .LBB34_77
.LBB34_45:                              ;   in Loop: Header=BB34_41 Depth=1
	s_or_b32 exec_lo, exec_lo, s73
	s_and_saveexec_b32 s73, s4
	s_cbranch_execz .LBB34_78
.LBB34_46:                              ;   in Loop: Header=BB34_41 Depth=1
	v_mov_b32_e32 v9, s45
	ds_load_b32 v9, v9
	s_wait_dscnt 0x0
	v_add_nc_u32_e32 v8, v9, v8
	s_or_b32 exec_lo, exec_lo, s73
	s_and_saveexec_b32 s73, s5
	s_cbranch_execnz .LBB34_79
.LBB34_47:                              ;   in Loop: Header=BB34_41 Depth=1
	s_or_b32 exec_lo, exec_lo, s73
	s_and_saveexec_b32 s73, s6
	s_cbranch_execz .LBB34_80
.LBB34_48:                              ;   in Loop: Header=BB34_41 Depth=1
	v_mov_b32_e32 v9, s47
	ds_load_b32 v9, v9
	s_wait_dscnt 0x0
	v_add_nc_u32_e32 v8, v9, v8
	s_or_b32 exec_lo, exec_lo, s73
	s_and_saveexec_b32 s73, s7
	s_cbranch_execnz .LBB34_81
.LBB34_49:                              ;   in Loop: Header=BB34_41 Depth=1
	s_or_b32 exec_lo, exec_lo, s73
	s_and_saveexec_b32 s73, s8
	s_cbranch_execz .LBB34_82
.LBB34_50:                              ;   in Loop: Header=BB34_41 Depth=1
	v_mov_b32_e32 v9, s49
	ds_load_b32 v9, v9
	s_wait_dscnt 0x0
	v_add_nc_u32_e32 v8, v9, v8
	s_or_b32 exec_lo, exec_lo, s73
	s_and_saveexec_b32 s73, s9
	s_cbranch_execnz .LBB34_83
.LBB34_51:                              ;   in Loop: Header=BB34_41 Depth=1
	s_or_b32 exec_lo, exec_lo, s73
	s_and_saveexec_b32 s73, s10
	s_cbranch_execz .LBB34_84
.LBB34_52:                              ;   in Loop: Header=BB34_41 Depth=1
	v_mov_b32_e32 v9, s51
	ds_load_b32 v9, v9
	s_wait_dscnt 0x0
	v_add_nc_u32_e32 v8, v9, v8
	s_or_b32 exec_lo, exec_lo, s73
	s_and_saveexec_b32 s73, s11
	s_cbranch_execnz .LBB34_85
.LBB34_53:                              ;   in Loop: Header=BB34_41 Depth=1
	s_or_b32 exec_lo, exec_lo, s73
	s_and_saveexec_b32 s73, s12
	s_cbranch_execz .LBB34_86
.LBB34_54:                              ;   in Loop: Header=BB34_41 Depth=1
	v_mov_b32_e32 v9, s53
	ds_load_b32 v9, v9
	s_wait_dscnt 0x0
	v_add_nc_u32_e32 v8, v9, v8
	s_or_b32 exec_lo, exec_lo, s73
	s_and_saveexec_b32 s73, s13
	s_cbranch_execnz .LBB34_87
.LBB34_55:                              ;   in Loop: Header=BB34_41 Depth=1
	s_or_b32 exec_lo, exec_lo, s73
	s_and_saveexec_b32 s73, s14
	s_cbranch_execz .LBB34_88
.LBB34_56:                              ;   in Loop: Header=BB34_41 Depth=1
	v_mov_b32_e32 v9, s55
	ds_load_b32 v9, v9
	s_wait_dscnt 0x0
	v_add_nc_u32_e32 v8, v9, v8
	s_or_b32 exec_lo, exec_lo, s73
	s_and_saveexec_b32 s73, s15
	s_cbranch_execnz .LBB34_89
.LBB34_57:                              ;   in Loop: Header=BB34_41 Depth=1
	s_or_b32 exec_lo, exec_lo, s73
	s_and_saveexec_b32 s73, s16
	s_cbranch_execz .LBB34_90
.LBB34_58:                              ;   in Loop: Header=BB34_41 Depth=1
	v_mov_b32_e32 v9, s57
	ds_load_b32 v9, v9
	s_wait_dscnt 0x0
	v_add_nc_u32_e32 v8, v9, v8
	s_or_b32 exec_lo, exec_lo, s73
	s_and_saveexec_b32 s73, s17
	s_cbranch_execnz .LBB34_91
.LBB34_59:                              ;   in Loop: Header=BB34_41 Depth=1
	s_or_b32 exec_lo, exec_lo, s73
	s_and_saveexec_b32 s73, s18
	s_cbranch_execz .LBB34_92
.LBB34_60:                              ;   in Loop: Header=BB34_41 Depth=1
	v_mov_b32_e32 v9, s59
	ds_load_b32 v9, v9
	s_wait_dscnt 0x0
	v_add_nc_u32_e32 v8, v9, v8
	s_or_b32 exec_lo, exec_lo, s73
	s_and_saveexec_b32 s73, s19
	s_cbranch_execnz .LBB34_93
.LBB34_61:                              ;   in Loop: Header=BB34_41 Depth=1
	s_or_b32 exec_lo, exec_lo, s73
	s_and_saveexec_b32 s73, s20
	s_cbranch_execz .LBB34_94
.LBB34_62:                              ;   in Loop: Header=BB34_41 Depth=1
	v_mov_b32_e32 v9, s61
	ds_load_b32 v9, v9
	s_wait_dscnt 0x0
	v_add_nc_u32_e32 v8, v9, v8
	s_or_b32 exec_lo, exec_lo, s73
	s_and_saveexec_b32 s73, s21
	s_cbranch_execnz .LBB34_95
.LBB34_63:                              ;   in Loop: Header=BB34_41 Depth=1
	s_or_b32 exec_lo, exec_lo, s73
	s_and_saveexec_b32 s73, s22
	s_cbranch_execz .LBB34_96
.LBB34_64:                              ;   in Loop: Header=BB34_41 Depth=1
	v_mov_b32_e32 v9, s63
	ds_load_b32 v9, v9
	s_wait_dscnt 0x0
	v_add_nc_u32_e32 v8, v9, v8
	s_or_b32 exec_lo, exec_lo, s73
	s_and_saveexec_b32 s73, s23
	s_cbranch_execnz .LBB34_97
.LBB34_65:                              ;   in Loop: Header=BB34_41 Depth=1
	s_or_b32 exec_lo, exec_lo, s73
	s_and_saveexec_b32 s73, s24
	s_cbranch_execz .LBB34_98
.LBB34_66:                              ;   in Loop: Header=BB34_41 Depth=1
	v_mov_b32_e32 v9, s65
	ds_load_b32 v9, v9
	s_wait_dscnt 0x0
	v_add_nc_u32_e32 v8, v9, v8
	s_or_b32 exec_lo, exec_lo, s73
	s_and_saveexec_b32 s73, s25
	s_cbranch_execnz .LBB34_99
.LBB34_67:                              ;   in Loop: Header=BB34_41 Depth=1
	s_or_b32 exec_lo, exec_lo, s73
	s_and_saveexec_b32 s73, s26
	s_cbranch_execz .LBB34_100
.LBB34_68:                              ;   in Loop: Header=BB34_41 Depth=1
	v_mov_b32_e32 v9, s67
	ds_load_b32 v9, v9
	s_wait_dscnt 0x0
	v_add_nc_u32_e32 v8, v9, v8
	s_or_b32 exec_lo, exec_lo, s73
	s_and_saveexec_b32 s73, s27
	s_cbranch_execnz .LBB34_101
.LBB34_69:                              ;   in Loop: Header=BB34_41 Depth=1
	s_or_b32 exec_lo, exec_lo, s73
	s_and_saveexec_b32 s73, s28
	s_cbranch_execz .LBB34_102
.LBB34_70:                              ;   in Loop: Header=BB34_41 Depth=1
	v_mov_b32_e32 v9, s69
	ds_load_b32 v9, v9
	s_wait_dscnt 0x0
	v_add_nc_u32_e32 v8, v9, v8
	s_or_b32 exec_lo, exec_lo, s73
	s_and_saveexec_b32 s73, s29
	s_cbranch_execnz .LBB34_103
.LBB34_71:                              ;   in Loop: Header=BB34_41 Depth=1
	s_or_b32 exec_lo, exec_lo, s73
	s_and_saveexec_b32 s73, s30
	s_cbranch_execz .LBB34_104
.LBB34_72:                              ;   in Loop: Header=BB34_41 Depth=1
	v_mov_b32_e32 v9, s71
	ds_load_b32 v9, v9
	s_wait_dscnt 0x0
	v_add_nc_u32_e32 v8, v9, v8
	s_or_b32 exec_lo, exec_lo, s73
	s_and_saveexec_b32 s73, s31
	s_cbranch_execnz .LBB34_105
.LBB34_73:                              ;   in Loop: Header=BB34_41 Depth=1
	s_or_b32 exec_lo, exec_lo, s73
	s_and_saveexec_b32 s31, vcc_lo
	s_cbranch_execz .LBB34_40
	s_branch .LBB34_106
.LBB34_74:                              ;   in Loop: Header=BB34_41 Depth=1
	s_or_b32 exec_lo, exec_lo, s73
	s_and_saveexec_b32 s73, s1
	s_cbranch_execz .LBB34_43
.LBB34_75:                              ;   in Loop: Header=BB34_41 Depth=1
	v_mov_b32_e32 v9, s39
	ds_load_b32 v9, v9
	s_wait_dscnt 0x0
	v_add_nc_u32_e32 v8, v9, v8
	s_or_b32 exec_lo, exec_lo, s73
	s_and_saveexec_b32 s73, s2
	s_cbranch_execnz .LBB34_44
.LBB34_76:                              ;   in Loop: Header=BB34_41 Depth=1
	s_or_b32 exec_lo, exec_lo, s73
	s_and_saveexec_b32 s73, s3
	s_cbranch_execz .LBB34_45
.LBB34_77:                              ;   in Loop: Header=BB34_41 Depth=1
	v_mov_b32_e32 v9, s44
	ds_load_b32 v9, v9
	s_wait_dscnt 0x0
	v_add_nc_u32_e32 v8, v9, v8
	s_or_b32 exec_lo, exec_lo, s73
	s_and_saveexec_b32 s73, s4
	s_cbranch_execnz .LBB34_46
.LBB34_78:                              ;   in Loop: Header=BB34_41 Depth=1
	s_or_b32 exec_lo, exec_lo, s73
	s_and_saveexec_b32 s73, s5
	s_cbranch_execz .LBB34_47
.LBB34_79:                              ;   in Loop: Header=BB34_41 Depth=1
	v_mov_b32_e32 v9, s46
	ds_load_b32 v9, v9
	s_wait_dscnt 0x0
	v_add_nc_u32_e32 v8, v9, v8
	s_or_b32 exec_lo, exec_lo, s73
	s_and_saveexec_b32 s73, s6
	s_cbranch_execnz .LBB34_48
.LBB34_80:                              ;   in Loop: Header=BB34_41 Depth=1
	s_or_b32 exec_lo, exec_lo, s73
	s_and_saveexec_b32 s73, s7
	s_cbranch_execz .LBB34_49
.LBB34_81:                              ;   in Loop: Header=BB34_41 Depth=1
	v_mov_b32_e32 v9, s48
	ds_load_b32 v9, v9
	s_wait_dscnt 0x0
	v_add_nc_u32_e32 v8, v9, v8
	s_or_b32 exec_lo, exec_lo, s73
	s_and_saveexec_b32 s73, s8
	s_cbranch_execnz .LBB34_50
.LBB34_82:                              ;   in Loop: Header=BB34_41 Depth=1
	s_or_b32 exec_lo, exec_lo, s73
	s_and_saveexec_b32 s73, s9
	s_cbranch_execz .LBB34_51
.LBB34_83:                              ;   in Loop: Header=BB34_41 Depth=1
	v_mov_b32_e32 v9, s50
	ds_load_b32 v9, v9
	s_wait_dscnt 0x0
	v_add_nc_u32_e32 v8, v9, v8
	s_or_b32 exec_lo, exec_lo, s73
	s_and_saveexec_b32 s73, s10
	s_cbranch_execnz .LBB34_52
.LBB34_84:                              ;   in Loop: Header=BB34_41 Depth=1
	s_or_b32 exec_lo, exec_lo, s73
	s_and_saveexec_b32 s73, s11
	s_cbranch_execz .LBB34_53
.LBB34_85:                              ;   in Loop: Header=BB34_41 Depth=1
	v_mov_b32_e32 v9, s52
	ds_load_b32 v9, v9
	s_wait_dscnt 0x0
	v_add_nc_u32_e32 v8, v9, v8
	s_or_b32 exec_lo, exec_lo, s73
	s_and_saveexec_b32 s73, s12
	s_cbranch_execnz .LBB34_54
.LBB34_86:                              ;   in Loop: Header=BB34_41 Depth=1
	s_or_b32 exec_lo, exec_lo, s73
	s_and_saveexec_b32 s73, s13
	s_cbranch_execz .LBB34_55
.LBB34_87:                              ;   in Loop: Header=BB34_41 Depth=1
	v_mov_b32_e32 v9, s54
	ds_load_b32 v9, v9
	s_wait_dscnt 0x0
	v_add_nc_u32_e32 v8, v9, v8
	s_or_b32 exec_lo, exec_lo, s73
	s_and_saveexec_b32 s73, s14
	s_cbranch_execnz .LBB34_56
.LBB34_88:                              ;   in Loop: Header=BB34_41 Depth=1
	s_or_b32 exec_lo, exec_lo, s73
	s_and_saveexec_b32 s73, s15
	s_cbranch_execz .LBB34_57
.LBB34_89:                              ;   in Loop: Header=BB34_41 Depth=1
	v_mov_b32_e32 v9, s56
	ds_load_b32 v9, v9
	s_wait_dscnt 0x0
	v_add_nc_u32_e32 v8, v9, v8
	s_or_b32 exec_lo, exec_lo, s73
	s_and_saveexec_b32 s73, s16
	s_cbranch_execnz .LBB34_58
.LBB34_90:                              ;   in Loop: Header=BB34_41 Depth=1
	s_or_b32 exec_lo, exec_lo, s73
	s_and_saveexec_b32 s73, s17
	s_cbranch_execz .LBB34_59
.LBB34_91:                              ;   in Loop: Header=BB34_41 Depth=1
	v_mov_b32_e32 v9, s58
	ds_load_b32 v9, v9
	s_wait_dscnt 0x0
	v_add_nc_u32_e32 v8, v9, v8
	s_or_b32 exec_lo, exec_lo, s73
	s_and_saveexec_b32 s73, s18
	s_cbranch_execnz .LBB34_60
.LBB34_92:                              ;   in Loop: Header=BB34_41 Depth=1
	s_or_b32 exec_lo, exec_lo, s73
	s_and_saveexec_b32 s73, s19
	s_cbranch_execz .LBB34_61
.LBB34_93:                              ;   in Loop: Header=BB34_41 Depth=1
	v_mov_b32_e32 v9, s60
	ds_load_b32 v9, v9
	s_wait_dscnt 0x0
	v_add_nc_u32_e32 v8, v9, v8
	s_or_b32 exec_lo, exec_lo, s73
	s_and_saveexec_b32 s73, s20
	s_cbranch_execnz .LBB34_62
.LBB34_94:                              ;   in Loop: Header=BB34_41 Depth=1
	s_or_b32 exec_lo, exec_lo, s73
	s_and_saveexec_b32 s73, s21
	s_cbranch_execz .LBB34_63
.LBB34_95:                              ;   in Loop: Header=BB34_41 Depth=1
	v_mov_b32_e32 v9, s62
	ds_load_b32 v9, v9
	s_wait_dscnt 0x0
	v_add_nc_u32_e32 v8, v9, v8
	s_or_b32 exec_lo, exec_lo, s73
	s_and_saveexec_b32 s73, s22
	s_cbranch_execnz .LBB34_64
.LBB34_96:                              ;   in Loop: Header=BB34_41 Depth=1
	s_or_b32 exec_lo, exec_lo, s73
	s_and_saveexec_b32 s73, s23
	s_cbranch_execz .LBB34_65
.LBB34_97:                              ;   in Loop: Header=BB34_41 Depth=1
	v_mov_b32_e32 v9, s64
	ds_load_b32 v9, v9
	s_wait_dscnt 0x0
	v_add_nc_u32_e32 v8, v9, v8
	s_or_b32 exec_lo, exec_lo, s73
	s_and_saveexec_b32 s73, s24
	s_cbranch_execnz .LBB34_66
.LBB34_98:                              ;   in Loop: Header=BB34_41 Depth=1
	s_or_b32 exec_lo, exec_lo, s73
	s_and_saveexec_b32 s73, s25
	s_cbranch_execz .LBB34_67
.LBB34_99:                              ;   in Loop: Header=BB34_41 Depth=1
	v_mov_b32_e32 v9, s66
	ds_load_b32 v9, v9
	s_wait_dscnt 0x0
	v_add_nc_u32_e32 v8, v9, v8
	s_or_b32 exec_lo, exec_lo, s73
	s_and_saveexec_b32 s73, s26
	s_cbranch_execnz .LBB34_68
.LBB34_100:                             ;   in Loop: Header=BB34_41 Depth=1
	s_or_b32 exec_lo, exec_lo, s73
	s_and_saveexec_b32 s73, s27
	s_cbranch_execz .LBB34_69
.LBB34_101:                             ;   in Loop: Header=BB34_41 Depth=1
	v_mov_b32_e32 v9, s68
	ds_load_b32 v9, v9
	s_wait_dscnt 0x0
	v_add_nc_u32_e32 v8, v9, v8
	s_or_b32 exec_lo, exec_lo, s73
	s_and_saveexec_b32 s73, s28
	s_cbranch_execnz .LBB34_70
.LBB34_102:                             ;   in Loop: Header=BB34_41 Depth=1
	s_or_b32 exec_lo, exec_lo, s73
	s_and_saveexec_b32 s73, s29
	s_cbranch_execz .LBB34_71
.LBB34_103:                             ;   in Loop: Header=BB34_41 Depth=1
	v_mov_b32_e32 v9, s70
	ds_load_b32 v9, v9
	s_wait_dscnt 0x0
	v_add_nc_u32_e32 v8, v9, v8
	s_or_b32 exec_lo, exec_lo, s73
	s_and_saveexec_b32 s73, s30
	s_cbranch_execnz .LBB34_72
.LBB34_104:                             ;   in Loop: Header=BB34_41 Depth=1
	s_or_b32 exec_lo, exec_lo, s73
	s_and_saveexec_b32 s73, s31
	s_cbranch_execz .LBB34_73
.LBB34_105:                             ;   in Loop: Header=BB34_41 Depth=1
	s_delay_alu instid0(VALU_DEP_1) | instskip(SKIP_1) | instid1(VALU_DEP_2)
	v_add3_u32 v9, v3, -1, v8
	v_add_nc_u32_e32 v10, v3, v8
	v_lshl_add_u32 v9, v9, 2, 0
	s_delay_alu instid0(VALU_DEP_2)
	v_lshl_add_u32 v10, v10, 3, 0
	ds_store_b32 v9, v7
	ds_store_b64 v10, v[4:5] offset:65528
	s_or_b32 exec_lo, exec_lo, s73
	s_and_saveexec_b32 s31, vcc_lo
	s_cbranch_execz .LBB34_40
.LBB34_106:                             ;   in Loop: Header=BB34_41 Depth=1
	v_mov_b32_e32 v4, s72
	ds_store_b32 v4, v8
	s_branch .LBB34_40
.LBB34_107:
	s_or_b32 exec_lo, exec_lo, s36
	s_wait_kmcnt 0x0
	s_ashr_i32 s43, s42, 31
	s_delay_alu instid0(SALU_CYCLE_1) | instskip(NEXT) | instid1(SALU_CYCLE_1)
	s_lshl_b64 s[0:1], s[42:43], 2
	s_add_nc_u64 s[2:3], s[40:41], s[0:1]
	s_load_b64 s[0:1], s[2:3], 0x0
	s_wait_kmcnt 0x0
	s_sub_co_i32 s4, s1, s0
	s_mov_b32 s1, exec_lo
	v_cmpx_gt_i32_e64 s4, v0
	s_cbranch_execz .LBB34_121
; %bb.108:
	v_sub_co_u32 v1, s1, s4, 2
	s_sub_co_i32 s2, s0, s38
	s_xor_b32 s6, s1, -1
	s_and_b32 s5, s4, -2
	v_readfirstlane_b32 s3, v1
	s_lshr_b32 s0, s3, 1
	s_mov_b32 s3, 0
	s_add_co_i32 s0, s0, 1
	s_mov_b32 s11, s3
	s_and_b32 s1, s0, 7
	s_and_b32 s7, s0, -8
	s_cmp_lg_u32 s1, 0
	v_cmp_lt_u32_e64 s0, 13, v1
	s_cselect_b32 s8, -1, 0
	s_cmp_lg_u32 s4, s5
	s_cselect_b32 s9, -1, 0
	s_lshl_b32 s10, s1, 3
	s_branch .LBB34_110
.LBB34_109:                             ;   in Loop: Header=BB34_110 Depth=1
	v_add_nc_u32_e32 v0, 0x400, v0
	s_wait_dscnt 0x0
	global_store_b64 v4, v[2:3], s[34:35] scale_offset
	v_cmp_le_i32_e32 vcc_lo, s4, v0
	s_or_b32 s11, vcc_lo, s11
	s_wait_xcnt 0x0
	s_and_not1_b32 exec_lo, exec_lo, s11
	s_cbranch_execz .LBB34_121
.LBB34_110:                             ; =>This Loop Header: Depth=1
                                        ;     Child Loop BB34_113 Depth 2
                                        ;     Child Loop BB34_116 Depth 2
	;; [unrolled: 1-line block ×3, first 2 shown]
	v_dual_mov_b32 v4, s2 :: v_dual_lshlrev_b32 v1, 3, v0
	v_lshl_add_u32 v2, v0, 2, 0
	s_and_not1_b32 vcc_lo, exec_lo, s6
	s_mov_b32 s1, 0
	s_delay_alu instid0(VALU_DEP_2)
	v_add3_u32 v3, 0, v1, 0x10000
	s_mov_b32 s12, -1
	ds_load_b32 v1, v2
	ds_load_b64 v[2:3], v3
	s_cbranch_vccnz .LBB34_118
; %bb.111:                              ;   in Loop: Header=BB34_110 Depth=1
	v_mov_b64_e32 v[4:5], s[2:3]
	s_and_not1_b32 vcc_lo, exec_lo, s0
	s_mov_b32 s12, 0
	s_cbranch_vccnz .LBB34_114
; %bb.112:                              ;   in Loop: Header=BB34_110 Depth=1
	v_dual_mov_b32 v4, s2 :: v_dual_mov_b32 v5, 0
	s_mov_b32 s13, 0
	s_mov_b32 s14, s7
.LBB34_113:                             ;   Parent Loop BB34_110 Depth=1
                                        ; =>  This Inner Loop Header: Depth=2
	v_mov_b32_e32 v20, s13
	s_add_co_i32 s14, s14, -8
	s_add_co_i32 s12, s12, 16
	s_add_co_i32 s13, s13, 64
	s_cmp_lg_u32 s14, 0
	ds_load_2addr_b32 v[6:7], v20 offset1:1
	ds_load_2addr_b32 v[8:9], v20 offset0:2 offset1:3
	ds_load_2addr_b32 v[10:11], v20 offset0:4 offset1:5
	;; [unrolled: 1-line block ×7, first 2 shown]
	s_wait_dscnt 0x7
	v_cmp_gt_i32_e32 vcc_lo, v1, v7
	s_wait_dscnt 0x5
	v_cmp_gt_i32_e64 s1, v1, v10
	v_cndmask_b32_e64 v7, 0, 1, vcc_lo
	v_cmp_gt_i32_e32 vcc_lo, v1, v6
	v_cndmask_b32_e64 v6, 0, 1, vcc_lo
	v_cmp_gt_i32_e32 vcc_lo, v1, v8
	v_cndmask_b32_e64 v8, 0, 1, s1
	v_cmp_gt_i32_e64 s1, v1, v11
	s_delay_alu instid0(VALU_DEP_4) | instskip(NEXT) | instid1(VALU_DEP_2)
	v_add_co_ci_u32_e64 v4, null, v4, v6, vcc_lo
	v_cndmask_b32_e64 v10, 0, 1, s1
	s_wait_dscnt 0x4
	v_cmp_gt_i32_e64 s1, v1, v13
	s_wait_dscnt 0x2
	v_cmp_gt_i32_e32 vcc_lo, v1, v16
	s_delay_alu instid0(VALU_DEP_2) | instskip(SKIP_4) | instid1(VALU_DEP_3)
	v_cndmask_b32_e64 v11, 0, 1, s1
	v_cmp_gt_i32_e64 s1, v1, v12
	v_add_co_ci_u32_e64 v4, null, v4, v8, vcc_lo
	s_wait_dscnt 0x1
	v_cmp_gt_i32_e32 vcc_lo, v1, v18
	v_cndmask_b32_e64 v12, 0, 1, s1
	v_cmp_gt_i32_e64 s1, v1, v14
	s_delay_alu instid0(VALU_DEP_2) | instskip(NEXT) | instid1(VALU_DEP_2)
	v_add_co_ci_u32_e64 v4, null, v4, v12, vcc_lo
	v_cndmask_b32_e64 v13, 0, 1, s1
	v_cmp_gt_i32_e64 s1, v1, v15
	s_wait_dscnt 0x0
	v_cmp_gt_i32_e32 vcc_lo, v1, v20
	s_delay_alu instid0(VALU_DEP_2) | instskip(SKIP_2) | instid1(VALU_DEP_2)
	v_cndmask_b32_e64 v14, 0, 1, s1
	v_cmp_gt_i32_e64 s1, v1, v9
	v_add_co_ci_u32_e64 v4, null, v4, v13, vcc_lo
	v_add_co_ci_u32_e64 v5, null, v5, v7, s1
	v_cmp_gt_i32_e64 s1, v1, v17
	s_delay_alu instid0(VALU_DEP_1) | instskip(SKIP_1) | instid1(VALU_DEP_1)
	v_add_co_ci_u32_e64 v5, null, v5, v10, s1
	v_cmp_gt_i32_e64 s1, v1, v19
	v_add_co_ci_u32_e64 v5, null, v5, v11, s1
	v_cmp_gt_i32_e64 s1, v1, v21
	s_delay_alu instid0(VALU_DEP_1)
	v_add_co_ci_u32_e64 v5, null, v5, v14, s1
	s_cbranch_scc1 .LBB34_113
.LBB34_114:                             ;   in Loop: Header=BB34_110 Depth=1
	s_and_not1_b32 vcc_lo, exec_lo, s8
	s_cbranch_vccnz .LBB34_117
; %bb.115:                              ;   in Loop: Header=BB34_110 Depth=1
	s_lshl_b32 s1, s12, 2
	s_mov_b32 s12, s10
	s_add_co_i32 s1, s1, 0
.LBB34_116:                             ;   Parent Loop BB34_110 Depth=1
                                        ; =>  This Inner Loop Header: Depth=2
	s_delay_alu instid0(SALU_CYCLE_1)
	v_mov_b32_e32 v6, s1
	s_add_co_i32 s12, s12, -8
	s_add_co_i32 s1, s1, 8
	s_cmp_lg_u32 s12, 0
	ds_load_2addr_b32 v[6:7], v6 offset1:1
	s_wait_dscnt 0x0
	v_cmp_gt_i32_e32 vcc_lo, v1, v7
	v_add_co_ci_u32_e64 v5, null, 0, v5, vcc_lo
	v_cmp_gt_i32_e32 vcc_lo, v1, v6
	v_add_co_ci_u32_e64 v4, null, 0, v4, vcc_lo
	s_cbranch_scc1 .LBB34_116
.LBB34_117:                             ;   in Loop: Header=BB34_110 Depth=1
	s_delay_alu instid0(VALU_DEP_1)
	v_add_nc_u32_e32 v4, v4, v5
	s_mov_b32 s1, s5
	s_mov_b32 s12, s9
.LBB34_118:                             ;   in Loop: Header=BB34_110 Depth=1
	s_delay_alu instid0(SALU_CYCLE_1)
	s_and_b32 vcc_lo, exec_lo, s12
	s_cbranch_vccz .LBB34_109
; %bb.119:                              ;   in Loop: Header=BB34_110 Depth=1
	s_lshl_b32 s12, s1, 2
	s_delay_alu instid0(SALU_CYCLE_1)
	s_add_co_i32 s12, s12, 0
.LBB34_120:                             ;   Parent Loop BB34_110 Depth=1
                                        ; =>  This Inner Loop Header: Depth=2
	s_delay_alu instid0(SALU_CYCLE_1)
	v_mov_b32_e32 v5, s12
	s_add_co_i32 s1, s1, 1
	s_add_co_i32 s12, s12, 4
	s_cmp_ge_i32 s1, s4
	ds_load_b32 v5, v5
	s_wait_dscnt 0x0
	v_cmp_gt_i32_e32 vcc_lo, v1, v5
	v_add_co_ci_u32_e64 v4, null, 0, v4, vcc_lo
	s_cbranch_scc0 .LBB34_120
	s_branch .LBB34_109
.LBB34_121:
	s_endpgm
	.section	.rodata,"a",@progbits
	.p2align	6, 0x0
	.amdhsa_kernel _ZN9rocsparseL41csrgemm_numeric_fill_block_per_row_kernelILj1024ELj64ELj16384ELj137ELj32EiidEEvT5_PKS1_S3_NS_24const_host_device_scalarIT6_EEPKT4_S3_PKS5_S9_S3_SB_S6_S9_S3_SB_S9_S3_PS5_21rocsparse_index_base_SD_SD_SD_bbb
		.amdhsa_group_segment_fixed_size 0
		.amdhsa_private_segment_fixed_size 0
		.amdhsa_kernarg_size 156
		.amdhsa_user_sgpr_count 2
		.amdhsa_user_sgpr_dispatch_ptr 0
		.amdhsa_user_sgpr_queue_ptr 0
		.amdhsa_user_sgpr_kernarg_segment_ptr 1
		.amdhsa_user_sgpr_dispatch_id 0
		.amdhsa_user_sgpr_kernarg_preload_length 0
		.amdhsa_user_sgpr_kernarg_preload_offset 0
		.amdhsa_user_sgpr_private_segment_size 0
		.amdhsa_wavefront_size32 1
		.amdhsa_uses_dynamic_stack 0
		.amdhsa_enable_private_segment 0
		.amdhsa_system_sgpr_workgroup_id_x 1
		.amdhsa_system_sgpr_workgroup_id_y 0
		.amdhsa_system_sgpr_workgroup_id_z 0
		.amdhsa_system_sgpr_workgroup_info 0
		.amdhsa_system_vgpr_workitem_id 0
		.amdhsa_next_free_vgpr 22
		.amdhsa_next_free_sgpr 74
		.amdhsa_named_barrier_count 0
		.amdhsa_reserve_vcc 1
		.amdhsa_float_round_mode_32 0
		.amdhsa_float_round_mode_16_64 0
		.amdhsa_float_denorm_mode_32 3
		.amdhsa_float_denorm_mode_16_64 3
		.amdhsa_fp16_overflow 0
		.amdhsa_memory_ordered 1
		.amdhsa_forward_progress 1
		.amdhsa_inst_pref_size 37
		.amdhsa_round_robin_scheduling 0
		.amdhsa_exception_fp_ieee_invalid_op 0
		.amdhsa_exception_fp_denorm_src 0
		.amdhsa_exception_fp_ieee_div_zero 0
		.amdhsa_exception_fp_ieee_overflow 0
		.amdhsa_exception_fp_ieee_underflow 0
		.amdhsa_exception_fp_ieee_inexact 0
		.amdhsa_exception_int_div_zero 0
	.end_amdhsa_kernel
	.section	.text._ZN9rocsparseL41csrgemm_numeric_fill_block_per_row_kernelILj1024ELj64ELj16384ELj137ELj32EiidEEvT5_PKS1_S3_NS_24const_host_device_scalarIT6_EEPKT4_S3_PKS5_S9_S3_SB_S6_S9_S3_SB_S9_S3_PS5_21rocsparse_index_base_SD_SD_SD_bbb,"axG",@progbits,_ZN9rocsparseL41csrgemm_numeric_fill_block_per_row_kernelILj1024ELj64ELj16384ELj137ELj32EiidEEvT5_PKS1_S3_NS_24const_host_device_scalarIT6_EEPKT4_S3_PKS5_S9_S3_SB_S6_S9_S3_SB_S9_S3_PS5_21rocsparse_index_base_SD_SD_SD_bbb,comdat
.Lfunc_end34:
	.size	_ZN9rocsparseL41csrgemm_numeric_fill_block_per_row_kernelILj1024ELj64ELj16384ELj137ELj32EiidEEvT5_PKS1_S3_NS_24const_host_device_scalarIT6_EEPKT4_S3_PKS5_S9_S3_SB_S6_S9_S3_SB_S9_S3_PS5_21rocsparse_index_base_SD_SD_SD_bbb, .Lfunc_end34-_ZN9rocsparseL41csrgemm_numeric_fill_block_per_row_kernelILj1024ELj64ELj16384ELj137ELj32EiidEEvT5_PKS1_S3_NS_24const_host_device_scalarIT6_EEPKT4_S3_PKS5_S9_S3_SB_S6_S9_S3_SB_S9_S3_PS5_21rocsparse_index_base_SD_SD_SD_bbb
                                        ; -- End function
	.set _ZN9rocsparseL41csrgemm_numeric_fill_block_per_row_kernelILj1024ELj64ELj16384ELj137ELj32EiidEEvT5_PKS1_S3_NS_24const_host_device_scalarIT6_EEPKT4_S3_PKS5_S9_S3_SB_S6_S9_S3_SB_S9_S3_PS5_21rocsparse_index_base_SD_SD_SD_bbb.num_vgpr, 22
	.set _ZN9rocsparseL41csrgemm_numeric_fill_block_per_row_kernelILj1024ELj64ELj16384ELj137ELj32EiidEEvT5_PKS1_S3_NS_24const_host_device_scalarIT6_EEPKT4_S3_PKS5_S9_S3_SB_S6_S9_S3_SB_S9_S3_PS5_21rocsparse_index_base_SD_SD_SD_bbb.num_agpr, 0
	.set _ZN9rocsparseL41csrgemm_numeric_fill_block_per_row_kernelILj1024ELj64ELj16384ELj137ELj32EiidEEvT5_PKS1_S3_NS_24const_host_device_scalarIT6_EEPKT4_S3_PKS5_S9_S3_SB_S6_S9_S3_SB_S9_S3_PS5_21rocsparse_index_base_SD_SD_SD_bbb.numbered_sgpr, 74
	.set _ZN9rocsparseL41csrgemm_numeric_fill_block_per_row_kernelILj1024ELj64ELj16384ELj137ELj32EiidEEvT5_PKS1_S3_NS_24const_host_device_scalarIT6_EEPKT4_S3_PKS5_S9_S3_SB_S6_S9_S3_SB_S9_S3_PS5_21rocsparse_index_base_SD_SD_SD_bbb.num_named_barrier, 0
	.set _ZN9rocsparseL41csrgemm_numeric_fill_block_per_row_kernelILj1024ELj64ELj16384ELj137ELj32EiidEEvT5_PKS1_S3_NS_24const_host_device_scalarIT6_EEPKT4_S3_PKS5_S9_S3_SB_S6_S9_S3_SB_S9_S3_PS5_21rocsparse_index_base_SD_SD_SD_bbb.private_seg_size, 0
	.set _ZN9rocsparseL41csrgemm_numeric_fill_block_per_row_kernelILj1024ELj64ELj16384ELj137ELj32EiidEEvT5_PKS1_S3_NS_24const_host_device_scalarIT6_EEPKT4_S3_PKS5_S9_S3_SB_S6_S9_S3_SB_S9_S3_PS5_21rocsparse_index_base_SD_SD_SD_bbb.uses_vcc, 1
	.set _ZN9rocsparseL41csrgemm_numeric_fill_block_per_row_kernelILj1024ELj64ELj16384ELj137ELj32EiidEEvT5_PKS1_S3_NS_24const_host_device_scalarIT6_EEPKT4_S3_PKS5_S9_S3_SB_S6_S9_S3_SB_S9_S3_PS5_21rocsparse_index_base_SD_SD_SD_bbb.uses_flat_scratch, 0
	.set _ZN9rocsparseL41csrgemm_numeric_fill_block_per_row_kernelILj1024ELj64ELj16384ELj137ELj32EiidEEvT5_PKS1_S3_NS_24const_host_device_scalarIT6_EEPKT4_S3_PKS5_S9_S3_SB_S6_S9_S3_SB_S9_S3_PS5_21rocsparse_index_base_SD_SD_SD_bbb.has_dyn_sized_stack, 0
	.set _ZN9rocsparseL41csrgemm_numeric_fill_block_per_row_kernelILj1024ELj64ELj16384ELj137ELj32EiidEEvT5_PKS1_S3_NS_24const_host_device_scalarIT6_EEPKT4_S3_PKS5_S9_S3_SB_S6_S9_S3_SB_S9_S3_PS5_21rocsparse_index_base_SD_SD_SD_bbb.has_recursion, 0
	.set _ZN9rocsparseL41csrgemm_numeric_fill_block_per_row_kernelILj1024ELj64ELj16384ELj137ELj32EiidEEvT5_PKS1_S3_NS_24const_host_device_scalarIT6_EEPKT4_S3_PKS5_S9_S3_SB_S6_S9_S3_SB_S9_S3_PS5_21rocsparse_index_base_SD_SD_SD_bbb.has_indirect_call, 0
	.section	.AMDGPU.csdata,"",@progbits
; Kernel info:
; codeLenInByte = 4716
; TotalNumSgprs: 76
; NumVgprs: 22
; ScratchSize: 0
; MemoryBound: 0
; FloatMode: 240
; IeeeMode: 1
; LDSByteSize: 0 bytes/workgroup (compile time only)
; SGPRBlocks: 0
; VGPRBlocks: 1
; NumSGPRsForWavesPerEU: 76
; NumVGPRsForWavesPerEU: 22
; NamedBarCnt: 0
; Occupancy: 16
; WaveLimiterHint : 1
; COMPUTE_PGM_RSRC2:SCRATCH_EN: 0
; COMPUTE_PGM_RSRC2:USER_SGPR: 2
; COMPUTE_PGM_RSRC2:TRAP_HANDLER: 0
; COMPUTE_PGM_RSRC2:TGID_X_EN: 1
; COMPUTE_PGM_RSRC2:TGID_Y_EN: 0
; COMPUTE_PGM_RSRC2:TGID_Z_EN: 0
; COMPUTE_PGM_RSRC2:TIDIG_COMP_CNT: 0
	.section	.text._ZN9rocsparseL41csrgemm_numeric_fill_block_per_row_kernelILj1024ELj64ELj16384ELj137ELj64EiidEEvT5_PKS1_S3_NS_24const_host_device_scalarIT6_EEPKT4_S3_PKS5_S9_S3_SB_S6_S9_S3_SB_S9_S3_PS5_21rocsparse_index_base_SD_SD_SD_bbb,"axG",@progbits,_ZN9rocsparseL41csrgemm_numeric_fill_block_per_row_kernelILj1024ELj64ELj16384ELj137ELj64EiidEEvT5_PKS1_S3_NS_24const_host_device_scalarIT6_EEPKT4_S3_PKS5_S9_S3_SB_S6_S9_S3_SB_S9_S3_PS5_21rocsparse_index_base_SD_SD_SD_bbb,comdat
	.globl	_ZN9rocsparseL41csrgemm_numeric_fill_block_per_row_kernelILj1024ELj64ELj16384ELj137ELj64EiidEEvT5_PKS1_S3_NS_24const_host_device_scalarIT6_EEPKT4_S3_PKS5_S9_S3_SB_S6_S9_S3_SB_S9_S3_PS5_21rocsparse_index_base_SD_SD_SD_bbb ; -- Begin function _ZN9rocsparseL41csrgemm_numeric_fill_block_per_row_kernelILj1024ELj64ELj16384ELj137ELj64EiidEEvT5_PKS1_S3_NS_24const_host_device_scalarIT6_EEPKT4_S3_PKS5_S9_S3_SB_S6_S9_S3_SB_S9_S3_PS5_21rocsparse_index_base_SD_SD_SD_bbb
	.p2align	8
	.type	_ZN9rocsparseL41csrgemm_numeric_fill_block_per_row_kernelILj1024ELj64ELj16384ELj137ELj64EiidEEvT5_PKS1_S3_NS_24const_host_device_scalarIT6_EEPKT4_S3_PKS5_S9_S3_SB_S6_S9_S3_SB_S9_S3_PS5_21rocsparse_index_base_SD_SD_SD_bbb,@function
_ZN9rocsparseL41csrgemm_numeric_fill_block_per_row_kernelILj1024ELj64ELj16384ELj137ELj64EiidEEvT5_PKS1_S3_NS_24const_host_device_scalarIT6_EEPKT4_S3_PKS5_S9_S3_SB_S6_S9_S3_SB_S9_S3_PS5_21rocsparse_index_base_SD_SD_SD_bbb: ; @_ZN9rocsparseL41csrgemm_numeric_fill_block_per_row_kernelILj1024ELj64ELj16384ELj137ELj64EiidEEvT5_PKS1_S3_NS_24const_host_device_scalarIT6_EEPKT4_S3_PKS5_S9_S3_SB_S6_S9_S3_SB_S9_S3_PS5_21rocsparse_index_base_SD_SD_SD_bbb
; %bb.0:
	s_clause 0x3
	s_load_b32 s14, s[0:1], 0x98
	s_load_b64 s[2:3], s[0:1], 0x18
	s_load_b128 s[16:19], s[0:1], 0x88
	s_load_b64 s[12:13], s[0:1], 0x50
	s_wait_kmcnt 0x0
	s_bitcmp1_b32 s14, 0
	s_cselect_b32 s35, -1, 0
	s_bitcmp1_b32 s14, 16
	s_cselect_b32 s15, -1, 0
	s_xor_b32 s4, s35, -1
	s_delay_alu instid0(SALU_CYCLE_1)
	s_or_b32 s6, s15, s4
	s_and_b32 s4, s35, exec_lo
	s_cselect_b32 s5, s3, 0
	s_cselect_b32 s4, s2, 0
	s_and_b32 vcc_lo, exec_lo, s6
	v_mov_b64_e32 v[4:5], s[4:5]
	s_cbranch_vccnz .LBB35_2
; %bb.1:
	v_mov_b32_e32 v1, 0
	flat_load_b64 v[4:5], v1, s[2:3]
.LBB35_2:
	s_clause 0x4
	s_load_b64 s[24:25], s[0:1], 0x80
	s_load_b128 s[4:7], s[0:1], 0x60
	s_load_b128 s[8:11], s[0:1], 0x40
	;; [unrolled: 1-line block ×3, first 2 shown]
	s_load_b64 s[2:3], s[0:1], 0x28
	s_bitcmp1_b32 s14, 8
	s_cselect_b32 s34, -1, 0
	s_delay_alu instid0(SALU_CYCLE_1) | instskip(NEXT) | instid1(SALU_CYCLE_1)
	s_xor_b32 s14, s34, -1
	s_or_b32 s26, s15, s14
	s_and_b32 s14, s34, exec_lo
	s_cselect_b32 s15, s13, 0
	s_cselect_b32 s14, s12, 0
	s_and_b32 vcc_lo, exec_lo, s26
	v_mov_b64_e32 v[2:3], s[14:15]
	s_cbranch_vccnz .LBB35_4
; %bb.3:
	v_mov_b32_e32 v1, 0
	flat_load_b64 v[2:3], v1, s[12:13]
.LBB35_4:
	s_clause 0x4
	s_load_b32 s33, s[0:1], 0x0
	s_load_b64 s[30:31], s[0:1], 0x20
	s_load_b64 s[26:27], s[0:1], 0x70
	;; [unrolled: 1-line block ×3, first 2 shown]
	s_load_b128 s[12:15], s[0:1], 0x30
	v_lshl_add_u32 v1, v0, 2, 0
	v_lshlrev_b32_e32 v6, 3, v0
	v_or_b32_e32 v13, 0xfffffc00, v0
	s_wait_xcnt 0x0
	s_mov_b32 s0, 0
	v_mov_b32_e32 v8, v1
	v_add3_u32 v12, v6, 0, 0x10000
	v_mov_b64_e32 v[6:7], 0
	s_delay_alu instid0(VALU_DEP_2)
	v_dual_mov_b32 v11, v13 :: v_dual_mov_b32 v9, v12
	s_wait_kmcnt 0x0
	v_mov_b32_e32 v10, s33
.LBB35_5:                               ; =>This Inner Loop Header: Depth=1
	s_delay_alu instid0(VALU_DEP_2)
	v_add_nc_u32_e32 v11, 0x400, v11
	ds_store_b32 v8, v10
	ds_store_b64 v9, v[6:7]
	v_add_nc_u32_e32 v9, 0x2000, v9
	v_add_nc_u32_e32 v8, 0x1000, v8
	v_cmp_lt_u32_e32 vcc_lo, 0x3bff, v11
	s_or_b32 s0, vcc_lo, s0
	s_delay_alu instid0(SALU_CYCLE_1)
	s_and_not1_b32 exec_lo, exec_lo, s0
	s_cbranch_execnz .LBB35_5
; %bb.6:
	s_or_b32 exec_lo, exec_lo, s0
	s_wait_loadcnt_dscnt 0x0
	s_barrier_signal -1
	s_barrier_wait -1
	s_load_b32 s0, s[20:21], 0x0
	s_bfe_u32 s1, ttmp6, 0x4000c
	s_wait_xcnt 0x0
	s_and_b32 s20, ttmp6, 15
	s_add_co_i32 s1, s1, 1
	s_getreg_b32 s21, hwreg(HW_REG_IB_STS2, 6, 4)
	s_mul_i32 s1, ttmp9, s1
	v_lshrrev_b32_e32 v14, 6, v0
	s_add_co_i32 s20, s20, s1
	s_cmp_eq_u32 s21, 0
	s_cselect_b32 s1, ttmp9, s20
	s_and_b32 vcc_lo, exec_lo, s35
	s_wait_kmcnt 0x0
	s_add_co_i32 s0, s0, s1
	s_load_b32 s20, s[22:23], s0 offset:0x0 scale_offset
	s_cbranch_vccz .LBB35_24
; %bb.7:
	s_wait_kmcnt 0x0
	s_ashr_i32 s21, s20, 31
	v_subrev_nc_u32_e32 v6, s16, v14
	s_lshl_b64 s[0:1], s[20:21], 2
	s_delay_alu instid0(SALU_CYCLE_1)
	s_add_nc_u64 s[0:1], s[30:31], s[0:1]
	s_load_b64 s[22:23], s[0:1], 0x0
	s_wait_xcnt 0x0
	s_mov_b32 s1, exec_lo
	s_wait_kmcnt 0x0
	v_add_nc_u32_e32 v6, s22, v6
	s_sub_co_i32 s0, s23, s16
	s_delay_alu instid0(VALU_DEP_1) | instid1(SALU_CYCLE_1)
	v_cmpx_gt_i32_e64 s0, v6
	s_cbranch_execz .LBB35_23
; %bb.8:
	v_and_b32_e32 v7, 63, v0
	s_mov_b32 s21, 0
	s_delay_alu instid0(VALU_DEP_1)
	v_subrev_nc_u32_e32 v15, s17, v7
	s_branch .LBB35_10
.LBB35_9:                               ;   in Loop: Header=BB35_10 Depth=1
	s_or_b32 exec_lo, exec_lo, s22
	v_add_nc_u32_e32 v6, 16, v6
	s_delay_alu instid0(VALU_DEP_1) | instskip(SKIP_1) | instid1(SALU_CYCLE_1)
	v_cmp_le_i32_e32 vcc_lo, s0, v6
	s_or_b32 s21, vcc_lo, s21
	s_and_not1_b32 exec_lo, exec_lo, s21
	s_cbranch_execz .LBB35_23
.LBB35_10:                              ; =>This Loop Header: Depth=1
                                        ;     Child Loop BB35_14 Depth 2
                                        ;       Child Loop BB35_17 Depth 3
	global_load_b32 v7, v6, s[2:3] scale_offset
	s_mov_b32 s22, exec_lo
	s_wait_loadcnt 0x0
	v_subrev_nc_u32_e32 v8, s16, v7
	s_delay_alu instid0(VALU_DEP_1) | instskip(NEXT) | instid1(VALU_DEP_1)
	v_ashrrev_i32_e32 v9, 31, v8
	v_lshl_add_u64 v[8:9], v[8:9], 2, s[14:15]
	global_load_b64 v[8:9], v[8:9], off
	s_wait_loadcnt 0x0
	v_subrev_nc_u32_e32 v16, s17, v9
	v_add_nc_u32_e32 v17, v8, v15
	s_wait_xcnt 0x0
	s_delay_alu instid0(VALU_DEP_1)
	v_cmpx_lt_i32_e64 v17, v16
	s_cbranch_execz .LBB35_9
; %bb.11:                               ;   in Loop: Header=BB35_10 Depth=1
	v_ashrrev_i32_e32 v7, 31, v6
	s_mov_b32 s23, 0
	s_delay_alu instid0(VALU_DEP_1)
	v_lshl_add_u64 v[8:9], v[6:7], 3, s[12:13]
	global_load_b64 v[8:9], v[8:9], off
	s_wait_loadcnt 0x0
	s_wait_xcnt 0x0
	v_mul_f64_e32 v[8:9], v[4:5], v[8:9]
	s_branch .LBB35_14
.LBB35_12:                              ;   in Loop: Header=BB35_14 Depth=2
	s_or_b32 exec_lo, exec_lo, s31
.LBB35_13:                              ;   in Loop: Header=BB35_14 Depth=2
	s_delay_alu instid0(SALU_CYCLE_1) | instskip(SKIP_3) | instid1(VALU_DEP_2)
	s_or_b32 exec_lo, exec_lo, s30
	s_wait_loadcnt 0x0
	v_dual_mul_f64 v[10:11], v[8:9], v[10:11] :: v_dual_add_nc_u32 v17, 64, v17
	v_lshlrev_b32_e32 v7, 3, v7
	v_cmp_ge_i32_e32 vcc_lo, v17, v16
	s_delay_alu instid0(VALU_DEP_2)
	v_add3_u32 v7, 0, v7, 0x10000
	s_or_b32 s23, vcc_lo, s23
	ds_add_f64 v7, v[10:11]
	s_and_not1_b32 exec_lo, exec_lo, s23
	s_cbranch_execz .LBB35_9
.LBB35_14:                              ;   Parent Loop BB35_10 Depth=1
                                        ; =>  This Loop Header: Depth=2
                                        ;       Child Loop BB35_17 Depth 3
	s_clause 0x1
	global_load_b32 v7, v17, s[8:9] scale_offset
	global_load_b64 v[10:11], v17, s[10:11] scale_offset
	s_mov_b32 s30, exec_lo
	s_wait_loadcnt 0x1
	v_subrev_nc_u32_e32 v18, s17, v7
	s_delay_alu instid0(VALU_DEP_1) | instskip(NEXT) | instid1(VALU_DEP_1)
	v_mul_lo_u32 v7, 0x89, v18
	v_and_b32_e32 v7, 0x3fff, v7
	s_delay_alu instid0(VALU_DEP_1)
	v_lshl_add_u32 v19, v7, 2, 0
	ds_load_b32 v20, v19
	s_wait_dscnt 0x0
	s_wait_xcnt 0x0
	v_cmpx_ne_u32_e64 v20, v18
	s_cbranch_execz .LBB35_13
; %bb.15:                               ;   in Loop: Header=BB35_14 Depth=2
	s_mov_b32 s31, 0
	s_branch .LBB35_17
.LBB35_16:                              ;   in Loop: Header=BB35_17 Depth=3
	s_or_b32 exec_lo, exec_lo, s37
	s_delay_alu instid0(SALU_CYCLE_1) | instskip(NEXT) | instid1(SALU_CYCLE_1)
	s_and_b32 s35, exec_lo, s36
	s_or_b32 s31, s35, s31
	s_delay_alu instid0(SALU_CYCLE_1)
	s_and_not1_b32 exec_lo, exec_lo, s31
	s_cbranch_execz .LBB35_12
.LBB35_17:                              ;   Parent Loop BB35_10 Depth=1
                                        ;     Parent Loop BB35_14 Depth=2
                                        ; =>    This Inner Loop Header: Depth=3
	s_mov_b32 s35, 0
	s_mov_b32 s36, exec_lo
	v_cmpx_ne_u32_e64 s33, v20
	s_xor_b32 s36, exec_lo, s36
	s_cbranch_execz .LBB35_19
; %bb.18:                               ;   in Loop: Header=BB35_17 Depth=3
	v_add_nc_u32_e32 v7, 1, v7
	s_mov_b32 s35, exec_lo
                                        ; implicit-def: $vgpr19
	s_delay_alu instid0(VALU_DEP_1)
	v_and_b32_e32 v7, 0x3fff, v7
	s_and_not1_saveexec_b32 s36, s36
	s_cbranch_execz .LBB35_21
	s_branch .LBB35_20
.LBB35_19:                              ;   in Loop: Header=BB35_17 Depth=3
	s_and_not1_saveexec_b32 s36, s36
	s_cbranch_execz .LBB35_21
.LBB35_20:                              ;   in Loop: Header=BB35_17 Depth=3
	v_mov_b32_e32 v20, s33
	s_and_not1_b32 s35, s35, exec_lo
	ds_cmpstore_rtn_b32 v19, v19, v18, v20
	s_wait_dscnt 0x0
	v_cmp_ne_u32_e32 vcc_lo, s33, v19
	s_and_b32 s37, vcc_lo, exec_lo
	s_delay_alu instid0(SALU_CYCLE_1)
	s_or_b32 s35, s35, s37
.LBB35_21:                              ;   in Loop: Header=BB35_17 Depth=3
	s_or_b32 exec_lo, exec_lo, s36
	s_mov_b32 s36, -1
                                        ; implicit-def: $vgpr19
                                        ; implicit-def: $vgpr20
	s_and_saveexec_b32 s37, s35
	s_cbranch_execz .LBB35_16
; %bb.22:                               ;   in Loop: Header=BB35_17 Depth=3
	v_lshl_add_u32 v19, v7, 2, 0
	ds_load_b32 v20, v19
	s_wait_dscnt 0x0
	v_cmp_eq_u32_e32 vcc_lo, v20, v18
	s_or_not1_b32 s36, vcc_lo, exec_lo
	s_branch .LBB35_16
.LBB35_23:
	s_or_b32 exec_lo, exec_lo, s1
.LBB35_24:
	s_delay_alu instid0(SALU_CYCLE_1)
	s_and_not1_b32 vcc_lo, exec_lo, s34
	s_cbranch_vccnz .LBB35_39
; %bb.25:
	s_wait_kmcnt 0x0
	s_ashr_i32 s21, s20, 31
	v_subrev_nc_u32_e32 v4, s19, v0
	s_lshl_b64 s[0:1], s[20:21], 2
	s_delay_alu instid0(SALU_CYCLE_1)
	s_add_nc_u64 s[0:1], s[28:29], s[0:1]
	s_load_b64 s[2:3], s[0:1], 0x0
	s_wait_xcnt 0x0
	s_mov_b32 s1, exec_lo
	s_wait_kmcnt 0x0
	v_add_nc_u32_e32 v6, s2, v4
	s_sub_co_i32 s0, s3, s19
	s_delay_alu instid0(VALU_DEP_1) | instid1(SALU_CYCLE_1)
	v_cmpx_gt_i32_e64 s0, v6
	s_cbranch_execz .LBB35_38
; %bb.26:
	s_mov_b32 s2, 0
	s_branch .LBB35_29
.LBB35_27:                              ;   in Loop: Header=BB35_29 Depth=1
	s_or_b32 exec_lo, exec_lo, s8
.LBB35_28:                              ;   in Loop: Header=BB35_29 Depth=1
	s_delay_alu instid0(SALU_CYCLE_1) | instskip(SKIP_3) | instid1(VALU_DEP_2)
	s_or_b32 exec_lo, exec_lo, s3
	s_wait_loadcnt 0x0
	v_dual_mul_f64 v[4:5], v[2:3], v[4:5] :: v_dual_lshlrev_b32 v7, 3, v7
	v_add_nc_u32_e32 v6, 0x400, v6
	v_add3_u32 v7, 0, v7, 0x10000
	s_delay_alu instid0(VALU_DEP_2)
	v_cmp_le_i32_e32 vcc_lo, s0, v6
	s_or_b32 s2, vcc_lo, s2
	ds_add_f64 v7, v[4:5]
	s_and_not1_b32 exec_lo, exec_lo, s2
	s_cbranch_execz .LBB35_38
.LBB35_29:                              ; =>This Loop Header: Depth=1
                                        ;     Child Loop BB35_32 Depth 2
	s_clause 0x1
	global_load_b32 v7, v6, s[4:5] scale_offset
	global_load_b64 v[4:5], v6, s[6:7] scale_offset
	s_mov_b32 s3, exec_lo
	s_wait_loadcnt 0x1
	v_subrev_nc_u32_e32 v8, s19, v7
	s_delay_alu instid0(VALU_DEP_1) | instskip(NEXT) | instid1(VALU_DEP_1)
	v_mul_lo_u32 v7, 0x89, v8
	v_and_b32_e32 v7, 0x3fff, v7
	s_delay_alu instid0(VALU_DEP_1)
	v_lshl_add_u32 v9, v7, 2, 0
	ds_load_b32 v10, v9
	s_wait_dscnt 0x0
	s_wait_xcnt 0x0
	v_cmpx_ne_u32_e64 v10, v8
	s_cbranch_execz .LBB35_28
; %bb.30:                               ;   in Loop: Header=BB35_29 Depth=1
	s_mov_b32 s8, 0
	s_branch .LBB35_32
.LBB35_31:                              ;   in Loop: Header=BB35_32 Depth=2
	s_or_b32 exec_lo, exec_lo, s11
	s_delay_alu instid0(SALU_CYCLE_1) | instskip(NEXT) | instid1(SALU_CYCLE_1)
	s_and_b32 s9, exec_lo, s10
	s_or_b32 s8, s9, s8
	s_delay_alu instid0(SALU_CYCLE_1)
	s_and_not1_b32 exec_lo, exec_lo, s8
	s_cbranch_execz .LBB35_27
.LBB35_32:                              ;   Parent Loop BB35_29 Depth=1
                                        ; =>  This Inner Loop Header: Depth=2
	s_mov_b32 s9, 0
	s_mov_b32 s10, exec_lo
	v_cmpx_ne_u32_e64 s33, v10
	s_xor_b32 s10, exec_lo, s10
	s_cbranch_execz .LBB35_34
; %bb.33:                               ;   in Loop: Header=BB35_32 Depth=2
	v_add_nc_u32_e32 v7, 1, v7
	s_mov_b32 s9, exec_lo
                                        ; implicit-def: $vgpr9
	s_delay_alu instid0(VALU_DEP_1)
	v_and_b32_e32 v7, 0x3fff, v7
	s_and_not1_saveexec_b32 s10, s10
	s_cbranch_execz .LBB35_36
	s_branch .LBB35_35
.LBB35_34:                              ;   in Loop: Header=BB35_32 Depth=2
	s_and_not1_saveexec_b32 s10, s10
	s_cbranch_execz .LBB35_36
.LBB35_35:                              ;   in Loop: Header=BB35_32 Depth=2
	v_mov_b32_e32 v10, s33
	s_and_not1_b32 s9, s9, exec_lo
	ds_cmpstore_rtn_b32 v9, v9, v8, v10
	s_wait_dscnt 0x0
	v_cmp_ne_u32_e32 vcc_lo, s33, v9
	s_and_b32 s11, vcc_lo, exec_lo
	s_delay_alu instid0(SALU_CYCLE_1)
	s_or_b32 s9, s9, s11
.LBB35_36:                              ;   in Loop: Header=BB35_32 Depth=2
	s_or_b32 exec_lo, exec_lo, s10
	s_mov_b32 s10, -1
                                        ; implicit-def: $vgpr9
                                        ; implicit-def: $vgpr10
	s_and_saveexec_b32 s11, s9
	s_cbranch_execz .LBB35_31
; %bb.37:                               ;   in Loop: Header=BB35_32 Depth=2
	v_lshl_add_u32 v9, v7, 2, 0
	ds_load_b32 v10, v9
	s_wait_dscnt 0x0
	v_cmp_eq_u32_e32 vcc_lo, v10, v8
	s_or_not1_b32 s10, vcc_lo, exec_lo
	s_branch .LBB35_31
.LBB35_38:
	s_or_b32 exec_lo, exec_lo, s1
.LBB35_39:
	v_mbcnt_lo_u32_b32 v2, -1, 0
	v_dual_mov_b32 v3, 0 :: v_dual_lshlrev_b32 v4, 2, v14
	s_add_co_i32 s36, 0, 0x3003c
	s_wait_xcnt 0x0
	v_cmp_lt_u32_e64 s0, 63, v0
	v_dual_mov_b32 v7, s36 :: v_dual_bitop2_b32 v2, 31, v2 bitop3:0x14
	v_add3_u32 v6, 0x30000, 0, v4
	v_cmp_lt_u32_e64 s1, 0x7f, v0
	v_cmp_lt_u32_e64 s2, 0xbf, v0
	s_delay_alu instid0(VALU_DEP_4)
	v_lshrrev_b32_e64 v2, v2, -1
	v_cmp_lt_u32_e64 s3, 0xff, v0
	v_cmp_lt_u32_e64 s4, 0x13f, v0
	;; [unrolled: 1-line block ×12, first 2 shown]
	s_mov_b32 s16, 0
	s_add_co_i32 s17, 0, 0x30000
	s_add_co_i32 s19, 0, 0x30004
	;; [unrolled: 1-line block ×15, first 2 shown]
	s_wait_dscnt 0x0
	s_barrier_signal -1
	s_barrier_wait -1
	v_cmp_eq_u32_e32 vcc_lo, 0x3ff, v0
	s_branch .LBB35_41
.LBB35_40:                              ;   in Loop: Header=BB35_41 Depth=1
	s_or_b32 exec_lo, exec_lo, s15
	s_wait_dscnt 0x0
	s_barrier_signal -1
	s_barrier_wait -1
	ds_load_b32 v4, v7
	v_add_nc_u32_e32 v13, 0x400, v13
	v_add_nc_u32_e32 v12, 0x2000, v12
	v_add_nc_u32_e32 v1, 0x1000, v1
	s_delay_alu instid0(VALU_DEP_3)
	v_cmp_lt_u32_e64 s15, 0x3bff, v13
	s_or_b32 s16, s15, s16
	s_wait_dscnt 0x0
	v_add_nc_u32_e32 v3, v4, v3
	s_and_not1_b32 exec_lo, exec_lo, s16
	s_cbranch_execz .LBB35_75
.LBB35_41:                              ; =>This Inner Loop Header: Depth=1
	ds_load_b32 v8, v1
	ds_load_b64 v[4:5], v12
	s_wait_dscnt 0x0
	s_barrier_signal -1
	s_barrier_wait -1
	v_cmp_gt_i32_e64 s15, s33, v8
	s_bcnt1_i32_b32 s41, s15
	s_delay_alu instid0(SALU_CYCLE_1) | instskip(NEXT) | instid1(VALU_DEP_1)
	v_dual_mov_b32 v10, s41 :: v_dual_bitop2_b32 v9, s15, v2 bitop3:0x40
	v_bcnt_u32_b32 v9, v9, 0
	ds_store_b32 v6, v10
	s_wait_dscnt 0x0
	s_barrier_signal -1
	s_barrier_wait -1
	s_and_saveexec_b32 s41, s0
	s_cbranch_execz .LBB35_58
; %bb.42:                               ;   in Loop: Header=BB35_41 Depth=1
	v_mov_b32_e32 v10, s17
	ds_load_b32 v10, v10
	s_wait_dscnt 0x0
	v_add_nc_u32_e32 v9, v10, v9
	s_or_b32 exec_lo, exec_lo, s41
	s_and_saveexec_b32 s41, s1
	s_cbranch_execnz .LBB35_59
.LBB35_43:                              ;   in Loop: Header=BB35_41 Depth=1
	s_or_b32 exec_lo, exec_lo, s41
	s_and_saveexec_b32 s41, s2
	s_cbranch_execz .LBB35_60
.LBB35_44:                              ;   in Loop: Header=BB35_41 Depth=1
	v_mov_b32_e32 v10, s21
	ds_load_b32 v10, v10
	s_wait_dscnt 0x0
	v_add_nc_u32_e32 v9, v10, v9
	s_or_b32 exec_lo, exec_lo, s41
	s_and_saveexec_b32 s41, s3
	s_cbranch_execnz .LBB35_61
.LBB35_45:                              ;   in Loop: Header=BB35_41 Depth=1
	s_or_b32 exec_lo, exec_lo, s41
	s_and_saveexec_b32 s41, s4
	s_cbranch_execz .LBB35_62
.LBB35_46:                              ;   in Loop: Header=BB35_41 Depth=1
	v_mov_b32_e32 v10, s23
	ds_load_b32 v10, v10
	s_wait_dscnt 0x0
	v_add_nc_u32_e32 v9, v10, v9
	s_or_b32 exec_lo, exec_lo, s41
	s_and_saveexec_b32 s41, s5
	s_cbranch_execnz .LBB35_63
.LBB35_47:                              ;   in Loop: Header=BB35_41 Depth=1
	s_or_b32 exec_lo, exec_lo, s41
	s_and_saveexec_b32 s41, s6
	s_cbranch_execz .LBB35_64
.LBB35_48:                              ;   in Loop: Header=BB35_41 Depth=1
	v_mov_b32_e32 v10, s29
	ds_load_b32 v10, v10
	s_wait_dscnt 0x0
	v_add_nc_u32_e32 v9, v10, v9
	s_or_b32 exec_lo, exec_lo, s41
	s_and_saveexec_b32 s41, s7
	s_cbranch_execnz .LBB35_65
.LBB35_49:                              ;   in Loop: Header=BB35_41 Depth=1
	s_or_b32 exec_lo, exec_lo, s41
	s_and_saveexec_b32 s41, s8
	s_cbranch_execz .LBB35_66
.LBB35_50:                              ;   in Loop: Header=BB35_41 Depth=1
	v_mov_b32_e32 v10, s31
	ds_load_b32 v10, v10
	s_wait_dscnt 0x0
	v_add_nc_u32_e32 v9, v10, v9
	s_or_b32 exec_lo, exec_lo, s41
	s_and_saveexec_b32 s41, s9
	s_cbranch_execnz .LBB35_67
.LBB35_51:                              ;   in Loop: Header=BB35_41 Depth=1
	s_or_b32 exec_lo, exec_lo, s41
	s_and_saveexec_b32 s41, s10
	s_cbranch_execz .LBB35_68
.LBB35_52:                              ;   in Loop: Header=BB35_41 Depth=1
	v_mov_b32_e32 v10, s35
	ds_load_b32 v10, v10
	s_wait_dscnt 0x0
	v_add_nc_u32_e32 v9, v10, v9
	s_or_b32 exec_lo, exec_lo, s41
	s_and_saveexec_b32 s41, s11
	s_cbranch_execnz .LBB35_69
.LBB35_53:                              ;   in Loop: Header=BB35_41 Depth=1
	s_or_b32 exec_lo, exec_lo, s41
	s_and_saveexec_b32 s41, s12
	s_cbranch_execz .LBB35_70
.LBB35_54:                              ;   in Loop: Header=BB35_41 Depth=1
	v_mov_b32_e32 v10, s38
	ds_load_b32 v10, v10
	s_wait_dscnt 0x0
	v_add_nc_u32_e32 v9, v10, v9
	s_or_b32 exec_lo, exec_lo, s41
	s_and_saveexec_b32 s41, s13
	s_cbranch_execnz .LBB35_71
.LBB35_55:                              ;   in Loop: Header=BB35_41 Depth=1
	s_or_b32 exec_lo, exec_lo, s41
	s_and_saveexec_b32 s41, s14
	s_cbranch_execz .LBB35_72
.LBB35_56:                              ;   in Loop: Header=BB35_41 Depth=1
	v_mov_b32_e32 v10, s40
	ds_load_b32 v10, v10
	s_wait_dscnt 0x0
	v_add_nc_u32_e32 v9, v10, v9
	s_or_b32 exec_lo, exec_lo, s41
	s_and_saveexec_b32 s41, s15
	s_cbranch_execnz .LBB35_73
.LBB35_57:                              ;   in Loop: Header=BB35_41 Depth=1
	s_or_b32 exec_lo, exec_lo, s41
	s_and_saveexec_b32 s15, vcc_lo
	s_cbranch_execz .LBB35_40
	s_branch .LBB35_74
.LBB35_58:                              ;   in Loop: Header=BB35_41 Depth=1
	s_or_b32 exec_lo, exec_lo, s41
	s_and_saveexec_b32 s41, s1
	s_cbranch_execz .LBB35_43
.LBB35_59:                              ;   in Loop: Header=BB35_41 Depth=1
	v_mov_b32_e32 v10, s19
	ds_load_b32 v10, v10
	s_wait_dscnt 0x0
	v_add_nc_u32_e32 v9, v10, v9
	s_or_b32 exec_lo, exec_lo, s41
	s_and_saveexec_b32 s41, s2
	s_cbranch_execnz .LBB35_44
.LBB35_60:                              ;   in Loop: Header=BB35_41 Depth=1
	s_or_b32 exec_lo, exec_lo, s41
	s_and_saveexec_b32 s41, s3
	s_cbranch_execz .LBB35_45
.LBB35_61:                              ;   in Loop: Header=BB35_41 Depth=1
	v_mov_b32_e32 v10, s22
	ds_load_b32 v10, v10
	s_wait_dscnt 0x0
	v_add_nc_u32_e32 v9, v10, v9
	s_or_b32 exec_lo, exec_lo, s41
	s_and_saveexec_b32 s41, s4
	s_cbranch_execnz .LBB35_46
.LBB35_62:                              ;   in Loop: Header=BB35_41 Depth=1
	s_or_b32 exec_lo, exec_lo, s41
	s_and_saveexec_b32 s41, s5
	s_cbranch_execz .LBB35_47
.LBB35_63:                              ;   in Loop: Header=BB35_41 Depth=1
	v_mov_b32_e32 v10, s28
	ds_load_b32 v10, v10
	s_wait_dscnt 0x0
	v_add_nc_u32_e32 v9, v10, v9
	s_or_b32 exec_lo, exec_lo, s41
	s_and_saveexec_b32 s41, s6
	s_cbranch_execnz .LBB35_48
.LBB35_64:                              ;   in Loop: Header=BB35_41 Depth=1
	s_or_b32 exec_lo, exec_lo, s41
	s_and_saveexec_b32 s41, s7
	s_cbranch_execz .LBB35_49
.LBB35_65:                              ;   in Loop: Header=BB35_41 Depth=1
	v_mov_b32_e32 v10, s30
	ds_load_b32 v10, v10
	s_wait_dscnt 0x0
	v_add_nc_u32_e32 v9, v10, v9
	s_or_b32 exec_lo, exec_lo, s41
	s_and_saveexec_b32 s41, s8
	s_cbranch_execnz .LBB35_50
.LBB35_66:                              ;   in Loop: Header=BB35_41 Depth=1
	s_or_b32 exec_lo, exec_lo, s41
	s_and_saveexec_b32 s41, s9
	s_cbranch_execz .LBB35_51
.LBB35_67:                              ;   in Loop: Header=BB35_41 Depth=1
	v_mov_b32_e32 v10, s34
	ds_load_b32 v10, v10
	s_wait_dscnt 0x0
	v_add_nc_u32_e32 v9, v10, v9
	s_or_b32 exec_lo, exec_lo, s41
	s_and_saveexec_b32 s41, s10
	s_cbranch_execnz .LBB35_52
.LBB35_68:                              ;   in Loop: Header=BB35_41 Depth=1
	s_or_b32 exec_lo, exec_lo, s41
	s_and_saveexec_b32 s41, s11
	s_cbranch_execz .LBB35_53
.LBB35_69:                              ;   in Loop: Header=BB35_41 Depth=1
	v_mov_b32_e32 v10, s37
	ds_load_b32 v10, v10
	s_wait_dscnt 0x0
	v_add_nc_u32_e32 v9, v10, v9
	s_or_b32 exec_lo, exec_lo, s41
	s_and_saveexec_b32 s41, s12
	s_cbranch_execnz .LBB35_54
.LBB35_70:                              ;   in Loop: Header=BB35_41 Depth=1
	s_or_b32 exec_lo, exec_lo, s41
	s_and_saveexec_b32 s41, s13
	s_cbranch_execz .LBB35_55
.LBB35_71:                              ;   in Loop: Header=BB35_41 Depth=1
	v_mov_b32_e32 v10, s39
	ds_load_b32 v10, v10
	s_wait_dscnt 0x0
	v_add_nc_u32_e32 v9, v10, v9
	s_or_b32 exec_lo, exec_lo, s41
	s_and_saveexec_b32 s41, s14
	s_cbranch_execnz .LBB35_56
.LBB35_72:                              ;   in Loop: Header=BB35_41 Depth=1
	s_or_b32 exec_lo, exec_lo, s41
	s_and_saveexec_b32 s41, s15
	s_cbranch_execz .LBB35_57
.LBB35_73:                              ;   in Loop: Header=BB35_41 Depth=1
	s_delay_alu instid0(VALU_DEP_1) | instskip(SKIP_1) | instid1(VALU_DEP_2)
	v_add3_u32 v10, v3, -1, v9
	v_add_nc_u32_e32 v11, v3, v9
	v_lshl_add_u32 v10, v10, 2, 0
	s_delay_alu instid0(VALU_DEP_2)
	v_lshl_add_u32 v11, v11, 3, 0
	ds_store_b32 v10, v8
	ds_store_b64 v11, v[4:5] offset:65528
	s_or_b32 exec_lo, exec_lo, s41
	s_and_saveexec_b32 s15, vcc_lo
	s_cbranch_execz .LBB35_40
.LBB35_74:                              ;   in Loop: Header=BB35_41 Depth=1
	v_mov_b32_e32 v4, s36
	ds_store_b32 v4, v9
	s_branch .LBB35_40
.LBB35_75:
	s_or_b32 exec_lo, exec_lo, s16
	s_wait_kmcnt 0x0
	s_ashr_i32 s21, s20, 31
	s_delay_alu instid0(SALU_CYCLE_1) | instskip(NEXT) | instid1(SALU_CYCLE_1)
	s_lshl_b64 s[0:1], s[20:21], 2
	s_add_nc_u64 s[2:3], s[26:27], s[0:1]
	s_load_b64 s[0:1], s[2:3], 0x0
	s_wait_kmcnt 0x0
	s_sub_co_i32 s4, s1, s0
	s_mov_b32 s1, exec_lo
	v_cmpx_gt_i32_e64 s4, v0
	s_cbranch_execz .LBB35_89
; %bb.76:
	v_sub_co_u32 v1, s1, s4, 2
	s_sub_co_i32 s2, s0, s18
	s_xor_b32 s6, s1, -1
	s_and_b32 s5, s4, -2
	v_readfirstlane_b32 s3, v1
	s_lshr_b32 s0, s3, 1
	s_mov_b32 s3, 0
	s_add_co_i32 s0, s0, 1
	s_mov_b32 s11, s3
	s_and_b32 s1, s0, 7
	s_and_b32 s7, s0, -8
	s_cmp_lg_u32 s1, 0
	v_cmp_lt_u32_e64 s0, 13, v1
	s_cselect_b32 s8, -1, 0
	s_cmp_lg_u32 s4, s5
	s_cselect_b32 s9, -1, 0
	s_lshl_b32 s10, s1, 3
	s_branch .LBB35_78
.LBB35_77:                              ;   in Loop: Header=BB35_78 Depth=1
	v_add_nc_u32_e32 v0, 0x400, v0
	s_wait_dscnt 0x0
	global_store_b64 v4, v[2:3], s[24:25] scale_offset
	v_cmp_le_i32_e32 vcc_lo, s4, v0
	s_or_b32 s11, vcc_lo, s11
	s_wait_xcnt 0x0
	s_and_not1_b32 exec_lo, exec_lo, s11
	s_cbranch_execz .LBB35_89
.LBB35_78:                              ; =>This Loop Header: Depth=1
                                        ;     Child Loop BB35_81 Depth 2
                                        ;     Child Loop BB35_84 Depth 2
	;; [unrolled: 1-line block ×3, first 2 shown]
	v_dual_mov_b32 v4, s2 :: v_dual_lshlrev_b32 v1, 3, v0
	v_lshl_add_u32 v2, v0, 2, 0
	s_and_not1_b32 vcc_lo, exec_lo, s6
	s_mov_b32 s1, 0
	s_delay_alu instid0(VALU_DEP_2)
	v_add3_u32 v3, 0, v1, 0x10000
	s_mov_b32 s12, -1
	ds_load_b32 v1, v2
	ds_load_b64 v[2:3], v3
	s_cbranch_vccnz .LBB35_86
; %bb.79:                               ;   in Loop: Header=BB35_78 Depth=1
	v_mov_b64_e32 v[4:5], s[2:3]
	s_and_not1_b32 vcc_lo, exec_lo, s0
	s_mov_b32 s12, 0
	s_cbranch_vccnz .LBB35_82
; %bb.80:                               ;   in Loop: Header=BB35_78 Depth=1
	v_dual_mov_b32 v4, s2 :: v_dual_mov_b32 v5, 0
	s_mov_b32 s13, 0
	s_mov_b32 s14, s7
.LBB35_81:                              ;   Parent Loop BB35_78 Depth=1
                                        ; =>  This Inner Loop Header: Depth=2
	v_mov_b32_e32 v20, s13
	s_add_co_i32 s14, s14, -8
	s_add_co_i32 s12, s12, 16
	s_add_co_i32 s13, s13, 64
	s_cmp_lg_u32 s14, 0
	ds_load_2addr_b32 v[6:7], v20 offset1:1
	ds_load_2addr_b32 v[8:9], v20 offset0:2 offset1:3
	ds_load_2addr_b32 v[10:11], v20 offset0:4 offset1:5
	;; [unrolled: 1-line block ×7, first 2 shown]
	s_wait_dscnt 0x7
	v_cmp_gt_i32_e32 vcc_lo, v1, v7
	s_wait_dscnt 0x5
	v_cmp_gt_i32_e64 s1, v1, v10
	v_cndmask_b32_e64 v7, 0, 1, vcc_lo
	v_cmp_gt_i32_e32 vcc_lo, v1, v6
	v_cndmask_b32_e64 v6, 0, 1, vcc_lo
	v_cmp_gt_i32_e32 vcc_lo, v1, v8
	v_cndmask_b32_e64 v8, 0, 1, s1
	v_cmp_gt_i32_e64 s1, v1, v11
	s_delay_alu instid0(VALU_DEP_4) | instskip(NEXT) | instid1(VALU_DEP_2)
	v_add_co_ci_u32_e64 v4, null, v4, v6, vcc_lo
	v_cndmask_b32_e64 v10, 0, 1, s1
	s_wait_dscnt 0x4
	v_cmp_gt_i32_e64 s1, v1, v13
	s_wait_dscnt 0x2
	v_cmp_gt_i32_e32 vcc_lo, v1, v16
	s_delay_alu instid0(VALU_DEP_2) | instskip(SKIP_4) | instid1(VALU_DEP_3)
	v_cndmask_b32_e64 v11, 0, 1, s1
	v_cmp_gt_i32_e64 s1, v1, v12
	v_add_co_ci_u32_e64 v4, null, v4, v8, vcc_lo
	s_wait_dscnt 0x1
	v_cmp_gt_i32_e32 vcc_lo, v1, v18
	v_cndmask_b32_e64 v12, 0, 1, s1
	v_cmp_gt_i32_e64 s1, v1, v14
	s_delay_alu instid0(VALU_DEP_2) | instskip(NEXT) | instid1(VALU_DEP_2)
	v_add_co_ci_u32_e64 v4, null, v4, v12, vcc_lo
	v_cndmask_b32_e64 v13, 0, 1, s1
	v_cmp_gt_i32_e64 s1, v1, v15
	s_wait_dscnt 0x0
	v_cmp_gt_i32_e32 vcc_lo, v1, v20
	s_delay_alu instid0(VALU_DEP_2) | instskip(SKIP_2) | instid1(VALU_DEP_2)
	v_cndmask_b32_e64 v14, 0, 1, s1
	v_cmp_gt_i32_e64 s1, v1, v9
	v_add_co_ci_u32_e64 v4, null, v4, v13, vcc_lo
	v_add_co_ci_u32_e64 v5, null, v5, v7, s1
	v_cmp_gt_i32_e64 s1, v1, v17
	s_delay_alu instid0(VALU_DEP_1) | instskip(SKIP_1) | instid1(VALU_DEP_1)
	v_add_co_ci_u32_e64 v5, null, v5, v10, s1
	v_cmp_gt_i32_e64 s1, v1, v19
	v_add_co_ci_u32_e64 v5, null, v5, v11, s1
	v_cmp_gt_i32_e64 s1, v1, v21
	s_delay_alu instid0(VALU_DEP_1)
	v_add_co_ci_u32_e64 v5, null, v5, v14, s1
	s_cbranch_scc1 .LBB35_81
.LBB35_82:                              ;   in Loop: Header=BB35_78 Depth=1
	s_and_not1_b32 vcc_lo, exec_lo, s8
	s_cbranch_vccnz .LBB35_85
; %bb.83:                               ;   in Loop: Header=BB35_78 Depth=1
	s_lshl_b32 s1, s12, 2
	s_mov_b32 s12, s10
	s_add_co_i32 s1, s1, 0
.LBB35_84:                              ;   Parent Loop BB35_78 Depth=1
                                        ; =>  This Inner Loop Header: Depth=2
	s_delay_alu instid0(SALU_CYCLE_1)
	v_mov_b32_e32 v6, s1
	s_add_co_i32 s12, s12, -8
	s_add_co_i32 s1, s1, 8
	s_cmp_lg_u32 s12, 0
	ds_load_2addr_b32 v[6:7], v6 offset1:1
	s_wait_dscnt 0x0
	v_cmp_gt_i32_e32 vcc_lo, v1, v7
	v_add_co_ci_u32_e64 v5, null, 0, v5, vcc_lo
	v_cmp_gt_i32_e32 vcc_lo, v1, v6
	v_add_co_ci_u32_e64 v4, null, 0, v4, vcc_lo
	s_cbranch_scc1 .LBB35_84
.LBB35_85:                              ;   in Loop: Header=BB35_78 Depth=1
	s_delay_alu instid0(VALU_DEP_1)
	v_add_nc_u32_e32 v4, v4, v5
	s_mov_b32 s1, s5
	s_mov_b32 s12, s9
.LBB35_86:                              ;   in Loop: Header=BB35_78 Depth=1
	s_delay_alu instid0(SALU_CYCLE_1)
	s_and_b32 vcc_lo, exec_lo, s12
	s_cbranch_vccz .LBB35_77
; %bb.87:                               ;   in Loop: Header=BB35_78 Depth=1
	s_lshl_b32 s12, s1, 2
	s_delay_alu instid0(SALU_CYCLE_1)
	s_add_co_i32 s12, s12, 0
.LBB35_88:                              ;   Parent Loop BB35_78 Depth=1
                                        ; =>  This Inner Loop Header: Depth=2
	s_delay_alu instid0(SALU_CYCLE_1)
	v_mov_b32_e32 v5, s12
	s_add_co_i32 s1, s1, 1
	s_add_co_i32 s12, s12, 4
	s_cmp_ge_i32 s1, s4
	ds_load_b32 v5, v5
	s_wait_dscnt 0x0
	v_cmp_gt_i32_e32 vcc_lo, v1, v5
	v_add_co_ci_u32_e64 v4, null, 0, v4, vcc_lo
	s_cbranch_scc0 .LBB35_88
	s_branch .LBB35_77
.LBB35_89:
	s_endpgm
	.section	.rodata,"a",@progbits
	.p2align	6, 0x0
	.amdhsa_kernel _ZN9rocsparseL41csrgemm_numeric_fill_block_per_row_kernelILj1024ELj64ELj16384ELj137ELj64EiidEEvT5_PKS1_S3_NS_24const_host_device_scalarIT6_EEPKT4_S3_PKS5_S9_S3_SB_S6_S9_S3_SB_S9_S3_PS5_21rocsparse_index_base_SD_SD_SD_bbb
		.amdhsa_group_segment_fixed_size 0
		.amdhsa_private_segment_fixed_size 0
		.amdhsa_kernarg_size 156
		.amdhsa_user_sgpr_count 2
		.amdhsa_user_sgpr_dispatch_ptr 0
		.amdhsa_user_sgpr_queue_ptr 0
		.amdhsa_user_sgpr_kernarg_segment_ptr 1
		.amdhsa_user_sgpr_dispatch_id 0
		.amdhsa_user_sgpr_kernarg_preload_length 0
		.amdhsa_user_sgpr_kernarg_preload_offset 0
		.amdhsa_user_sgpr_private_segment_size 0
		.amdhsa_wavefront_size32 1
		.amdhsa_uses_dynamic_stack 0
		.amdhsa_enable_private_segment 0
		.amdhsa_system_sgpr_workgroup_id_x 1
		.amdhsa_system_sgpr_workgroup_id_y 0
		.amdhsa_system_sgpr_workgroup_id_z 0
		.amdhsa_system_sgpr_workgroup_info 0
		.amdhsa_system_vgpr_workitem_id 0
		.amdhsa_next_free_vgpr 22
		.amdhsa_next_free_sgpr 42
		.amdhsa_named_barrier_count 0
		.amdhsa_reserve_vcc 1
		.amdhsa_float_round_mode_32 0
		.amdhsa_float_round_mode_16_64 0
		.amdhsa_float_denorm_mode_32 3
		.amdhsa_float_denorm_mode_16_64 3
		.amdhsa_fp16_overflow 0
		.amdhsa_memory_ordered 1
		.amdhsa_forward_progress 1
		.amdhsa_inst_pref_size 29
		.amdhsa_round_robin_scheduling 0
		.amdhsa_exception_fp_ieee_invalid_op 0
		.amdhsa_exception_fp_denorm_src 0
		.amdhsa_exception_fp_ieee_div_zero 0
		.amdhsa_exception_fp_ieee_overflow 0
		.amdhsa_exception_fp_ieee_underflow 0
		.amdhsa_exception_fp_ieee_inexact 0
		.amdhsa_exception_int_div_zero 0
	.end_amdhsa_kernel
	.section	.text._ZN9rocsparseL41csrgemm_numeric_fill_block_per_row_kernelILj1024ELj64ELj16384ELj137ELj64EiidEEvT5_PKS1_S3_NS_24const_host_device_scalarIT6_EEPKT4_S3_PKS5_S9_S3_SB_S6_S9_S3_SB_S9_S3_PS5_21rocsparse_index_base_SD_SD_SD_bbb,"axG",@progbits,_ZN9rocsparseL41csrgemm_numeric_fill_block_per_row_kernelILj1024ELj64ELj16384ELj137ELj64EiidEEvT5_PKS1_S3_NS_24const_host_device_scalarIT6_EEPKT4_S3_PKS5_S9_S3_SB_S6_S9_S3_SB_S9_S3_PS5_21rocsparse_index_base_SD_SD_SD_bbb,comdat
.Lfunc_end35:
	.size	_ZN9rocsparseL41csrgemm_numeric_fill_block_per_row_kernelILj1024ELj64ELj16384ELj137ELj64EiidEEvT5_PKS1_S3_NS_24const_host_device_scalarIT6_EEPKT4_S3_PKS5_S9_S3_SB_S6_S9_S3_SB_S9_S3_PS5_21rocsparse_index_base_SD_SD_SD_bbb, .Lfunc_end35-_ZN9rocsparseL41csrgemm_numeric_fill_block_per_row_kernelILj1024ELj64ELj16384ELj137ELj64EiidEEvT5_PKS1_S3_NS_24const_host_device_scalarIT6_EEPKT4_S3_PKS5_S9_S3_SB_S6_S9_S3_SB_S9_S3_PS5_21rocsparse_index_base_SD_SD_SD_bbb
                                        ; -- End function
	.set _ZN9rocsparseL41csrgemm_numeric_fill_block_per_row_kernelILj1024ELj64ELj16384ELj137ELj64EiidEEvT5_PKS1_S3_NS_24const_host_device_scalarIT6_EEPKT4_S3_PKS5_S9_S3_SB_S6_S9_S3_SB_S9_S3_PS5_21rocsparse_index_base_SD_SD_SD_bbb.num_vgpr, 22
	.set _ZN9rocsparseL41csrgemm_numeric_fill_block_per_row_kernelILj1024ELj64ELj16384ELj137ELj64EiidEEvT5_PKS1_S3_NS_24const_host_device_scalarIT6_EEPKT4_S3_PKS5_S9_S3_SB_S6_S9_S3_SB_S9_S3_PS5_21rocsparse_index_base_SD_SD_SD_bbb.num_agpr, 0
	.set _ZN9rocsparseL41csrgemm_numeric_fill_block_per_row_kernelILj1024ELj64ELj16384ELj137ELj64EiidEEvT5_PKS1_S3_NS_24const_host_device_scalarIT6_EEPKT4_S3_PKS5_S9_S3_SB_S6_S9_S3_SB_S9_S3_PS5_21rocsparse_index_base_SD_SD_SD_bbb.numbered_sgpr, 42
	.set _ZN9rocsparseL41csrgemm_numeric_fill_block_per_row_kernelILj1024ELj64ELj16384ELj137ELj64EiidEEvT5_PKS1_S3_NS_24const_host_device_scalarIT6_EEPKT4_S3_PKS5_S9_S3_SB_S6_S9_S3_SB_S9_S3_PS5_21rocsparse_index_base_SD_SD_SD_bbb.num_named_barrier, 0
	.set _ZN9rocsparseL41csrgemm_numeric_fill_block_per_row_kernelILj1024ELj64ELj16384ELj137ELj64EiidEEvT5_PKS1_S3_NS_24const_host_device_scalarIT6_EEPKT4_S3_PKS5_S9_S3_SB_S6_S9_S3_SB_S9_S3_PS5_21rocsparse_index_base_SD_SD_SD_bbb.private_seg_size, 0
	.set _ZN9rocsparseL41csrgemm_numeric_fill_block_per_row_kernelILj1024ELj64ELj16384ELj137ELj64EiidEEvT5_PKS1_S3_NS_24const_host_device_scalarIT6_EEPKT4_S3_PKS5_S9_S3_SB_S6_S9_S3_SB_S9_S3_PS5_21rocsparse_index_base_SD_SD_SD_bbb.uses_vcc, 1
	.set _ZN9rocsparseL41csrgemm_numeric_fill_block_per_row_kernelILj1024ELj64ELj16384ELj137ELj64EiidEEvT5_PKS1_S3_NS_24const_host_device_scalarIT6_EEPKT4_S3_PKS5_S9_S3_SB_S6_S9_S3_SB_S9_S3_PS5_21rocsparse_index_base_SD_SD_SD_bbb.uses_flat_scratch, 0
	.set _ZN9rocsparseL41csrgemm_numeric_fill_block_per_row_kernelILj1024ELj64ELj16384ELj137ELj64EiidEEvT5_PKS1_S3_NS_24const_host_device_scalarIT6_EEPKT4_S3_PKS5_S9_S3_SB_S6_S9_S3_SB_S9_S3_PS5_21rocsparse_index_base_SD_SD_SD_bbb.has_dyn_sized_stack, 0
	.set _ZN9rocsparseL41csrgemm_numeric_fill_block_per_row_kernelILj1024ELj64ELj16384ELj137ELj64EiidEEvT5_PKS1_S3_NS_24const_host_device_scalarIT6_EEPKT4_S3_PKS5_S9_S3_SB_S6_S9_S3_SB_S9_S3_PS5_21rocsparse_index_base_SD_SD_SD_bbb.has_recursion, 0
	.set _ZN9rocsparseL41csrgemm_numeric_fill_block_per_row_kernelILj1024ELj64ELj16384ELj137ELj64EiidEEvT5_PKS1_S3_NS_24const_host_device_scalarIT6_EEPKT4_S3_PKS5_S9_S3_SB_S6_S9_S3_SB_S9_S3_PS5_21rocsparse_index_base_SD_SD_SD_bbb.has_indirect_call, 0
	.section	.AMDGPU.csdata,"",@progbits
; Kernel info:
; codeLenInByte = 3696
; TotalNumSgprs: 44
; NumVgprs: 22
; ScratchSize: 0
; MemoryBound: 0
; FloatMode: 240
; IeeeMode: 1
; LDSByteSize: 0 bytes/workgroup (compile time only)
; SGPRBlocks: 0
; VGPRBlocks: 1
; NumSGPRsForWavesPerEU: 44
; NumVGPRsForWavesPerEU: 22
; NamedBarCnt: 0
; Occupancy: 16
; WaveLimiterHint : 1
; COMPUTE_PGM_RSRC2:SCRATCH_EN: 0
; COMPUTE_PGM_RSRC2:USER_SGPR: 2
; COMPUTE_PGM_RSRC2:TRAP_HANDLER: 0
; COMPUTE_PGM_RSRC2:TGID_X_EN: 1
; COMPUTE_PGM_RSRC2:TGID_Y_EN: 0
; COMPUTE_PGM_RSRC2:TGID_Z_EN: 0
; COMPUTE_PGM_RSRC2:TIDIG_COMP_CNT: 0
	.section	.text._ZN9rocsparseL41csrgemm_numeric_fill_block_per_row_kernelILj1024ELj64ELj32768ELj137ELj32EiidEEvT5_PKS1_S3_NS_24const_host_device_scalarIT6_EEPKT4_S3_PKS5_S9_S3_SB_S6_S9_S3_SB_S9_S3_PS5_21rocsparse_index_base_SD_SD_SD_bbb,"axG",@progbits,_ZN9rocsparseL41csrgemm_numeric_fill_block_per_row_kernelILj1024ELj64ELj32768ELj137ELj32EiidEEvT5_PKS1_S3_NS_24const_host_device_scalarIT6_EEPKT4_S3_PKS5_S9_S3_SB_S6_S9_S3_SB_S9_S3_PS5_21rocsparse_index_base_SD_SD_SD_bbb,comdat
	.globl	_ZN9rocsparseL41csrgemm_numeric_fill_block_per_row_kernelILj1024ELj64ELj32768ELj137ELj32EiidEEvT5_PKS1_S3_NS_24const_host_device_scalarIT6_EEPKT4_S3_PKS5_S9_S3_SB_S6_S9_S3_SB_S9_S3_PS5_21rocsparse_index_base_SD_SD_SD_bbb ; -- Begin function _ZN9rocsparseL41csrgemm_numeric_fill_block_per_row_kernelILj1024ELj64ELj32768ELj137ELj32EiidEEvT5_PKS1_S3_NS_24const_host_device_scalarIT6_EEPKT4_S3_PKS5_S9_S3_SB_S6_S9_S3_SB_S9_S3_PS5_21rocsparse_index_base_SD_SD_SD_bbb
	.p2align	8
	.type	_ZN9rocsparseL41csrgemm_numeric_fill_block_per_row_kernelILj1024ELj64ELj32768ELj137ELj32EiidEEvT5_PKS1_S3_NS_24const_host_device_scalarIT6_EEPKT4_S3_PKS5_S9_S3_SB_S6_S9_S3_SB_S9_S3_PS5_21rocsparse_index_base_SD_SD_SD_bbb,@function
_ZN9rocsparseL41csrgemm_numeric_fill_block_per_row_kernelILj1024ELj64ELj32768ELj137ELj32EiidEEvT5_PKS1_S3_NS_24const_host_device_scalarIT6_EEPKT4_S3_PKS5_S9_S3_SB_S6_S9_S3_SB_S9_S3_PS5_21rocsparse_index_base_SD_SD_SD_bbb: ; @_ZN9rocsparseL41csrgemm_numeric_fill_block_per_row_kernelILj1024ELj64ELj32768ELj137ELj32EiidEEvT5_PKS1_S3_NS_24const_host_device_scalarIT6_EEPKT4_S3_PKS5_S9_S3_SB_S6_S9_S3_SB_S9_S3_PS5_21rocsparse_index_base_SD_SD_SD_bbb
; %bb.0:
	s_clause 0x3
	s_load_b32 s14, s[0:1], 0x98
	s_load_b64 s[2:3], s[0:1], 0x18
	s_load_b128 s[36:39], s[0:1], 0x88
	s_load_b64 s[12:13], s[0:1], 0x50
	s_wait_kmcnt 0x0
	s_bitcmp1_b32 s14, 0
	s_cselect_b32 s25, -1, 0
	s_bitcmp1_b32 s14, 16
	s_cselect_b32 s15, -1, 0
	s_xor_b32 s4, s25, -1
	s_delay_alu instid0(SALU_CYCLE_1)
	s_or_b32 s6, s15, s4
	s_and_b32 s4, s25, exec_lo
	s_cselect_b32 s5, s3, 0
	s_cselect_b32 s4, s2, 0
	s_and_b32 vcc_lo, exec_lo, s6
	v_mov_b64_e32 v[4:5], s[4:5]
	s_cbranch_vccnz .LBB36_2
; %bb.1:
	v_mov_b32_e32 v1, 0
	flat_load_b64 v[4:5], v1, s[2:3]
.LBB36_2:
	s_clause 0x4
	s_load_b64 s[34:35], s[0:1], 0x80
	s_load_b128 s[4:7], s[0:1], 0x60
	s_load_b128 s[8:11], s[0:1], 0x40
	;; [unrolled: 1-line block ×3, first 2 shown]
	s_load_b64 s[2:3], s[0:1], 0x28
	s_bitcmp1_b32 s14, 8
	s_cselect_b32 s24, -1, 0
	s_delay_alu instid0(SALU_CYCLE_1) | instskip(NEXT) | instid1(SALU_CYCLE_1)
	s_xor_b32 s14, s24, -1
	s_or_b32 s20, s15, s14
	s_and_b32 s14, s24, exec_lo
	s_cselect_b32 s15, s13, 0
	s_cselect_b32 s14, s12, 0
	s_and_b32 vcc_lo, exec_lo, s20
	v_mov_b64_e32 v[2:3], s[14:15]
	s_cbranch_vccnz .LBB36_4
; %bb.3:
	v_mov_b32_e32 v1, 0
	flat_load_b64 v[2:3], v1, s[12:13]
.LBB36_4:
	s_clause 0x4
	s_load_b32 s33, s[0:1], 0x0
	s_load_b64 s[22:23], s[0:1], 0x20
	s_load_b64 s[40:41], s[0:1], 0x70
	s_load_b64 s[20:21], s[0:1], 0x58
	s_load_b128 s[12:15], s[0:1], 0x30
	v_lshl_add_u32 v1, v0, 2, 0
	v_lshlrev_b32_e32 v6, 3, v0
	v_or_b32_e32 v13, 0xfffffc00, v0
	s_wait_xcnt 0x0
	s_mov_b32 s0, 0
	v_mov_b32_e32 v8, v1
	v_add3_u32 v12, v6, 0, 0x20000
	v_mov_b64_e32 v[6:7], 0
	s_delay_alu instid0(VALU_DEP_2)
	v_dual_mov_b32 v11, v13 :: v_dual_mov_b32 v9, v12
	s_wait_kmcnt 0x0
	v_mov_b32_e32 v10, s33
.LBB36_5:                               ; =>This Inner Loop Header: Depth=1
	s_delay_alu instid0(VALU_DEP_2)
	v_add_nc_u32_e32 v11, 0x400, v11
	ds_store_b32 v8, v10
	ds_store_b64 v9, v[6:7]
	v_add_nc_u32_e32 v9, 0x2000, v9
	v_add_nc_u32_e32 v8, 0x1000, v8
	v_cmp_lt_u32_e32 vcc_lo, 0x7bff, v11
	s_or_b32 s0, vcc_lo, s0
	s_delay_alu instid0(SALU_CYCLE_1)
	s_and_not1_b32 exec_lo, exec_lo, s0
	s_cbranch_execnz .LBB36_5
; %bb.6:
	s_or_b32 exec_lo, exec_lo, s0
	s_wait_loadcnt_dscnt 0x0
	s_barrier_signal -1
	s_barrier_wait -1
	s_load_b32 s0, s[16:17], 0x0
	s_bfe_u32 s1, ttmp6, 0x4000c
	s_wait_xcnt 0x0
	s_and_b32 s16, ttmp6, 15
	s_add_co_i32 s1, s1, 1
	s_getreg_b32 s17, hwreg(HW_REG_IB_STS2, 6, 4)
	s_mul_i32 s1, ttmp9, s1
	s_delay_alu instid0(SALU_CYCLE_1)
	s_add_co_i32 s16, s16, s1
	s_cmp_eq_u32 s17, 0
	s_cselect_b32 s1, ttmp9, s16
	s_and_b32 vcc_lo, exec_lo, s25
	s_wait_kmcnt 0x0
	s_add_co_i32 s0, s0, s1
	s_load_b32 s42, s[18:19], s0 offset:0x0 scale_offset
	s_cbranch_vccz .LBB36_24
; %bb.7:
	s_wait_kmcnt 0x0
	s_ashr_i32 s43, s42, 31
	v_lshrrev_b32_e32 v6, 6, v0
	s_lshl_b64 s[0:1], s[42:43], 2
	s_delay_alu instid0(SALU_CYCLE_1) | instskip(NEXT) | instid1(VALU_DEP_1)
	s_add_nc_u64 s[0:1], s[22:23], s[0:1]
	v_subrev_nc_u32_e32 v6, s36, v6
	s_load_b64 s[16:17], s[0:1], 0x0
	s_wait_xcnt 0x0
	s_mov_b32 s1, exec_lo
	s_wait_kmcnt 0x0
	v_add_nc_u32_e32 v6, s16, v6
	s_sub_co_i32 s0, s17, s36
	s_delay_alu instid0(VALU_DEP_1) | instid1(SALU_CYCLE_1)
	v_cmpx_gt_i32_e64 s0, v6
	s_cbranch_execz .LBB36_23
; %bb.8:
	v_and_b32_e32 v7, 63, v0
	s_mov_b32 s16, 0
	s_delay_alu instid0(VALU_DEP_1)
	v_subrev_nc_u32_e32 v14, s37, v7
	s_branch .LBB36_10
.LBB36_9:                               ;   in Loop: Header=BB36_10 Depth=1
	s_or_b32 exec_lo, exec_lo, s17
	v_add_nc_u32_e32 v6, 16, v6
	s_delay_alu instid0(VALU_DEP_1) | instskip(SKIP_1) | instid1(SALU_CYCLE_1)
	v_cmp_le_i32_e32 vcc_lo, s0, v6
	s_or_b32 s16, vcc_lo, s16
	s_and_not1_b32 exec_lo, exec_lo, s16
	s_cbranch_execz .LBB36_23
.LBB36_10:                              ; =>This Loop Header: Depth=1
                                        ;     Child Loop BB36_14 Depth 2
                                        ;       Child Loop BB36_17 Depth 3
	global_load_b32 v7, v6, s[2:3] scale_offset
	s_mov_b32 s17, exec_lo
	s_wait_loadcnt 0x0
	v_subrev_nc_u32_e32 v8, s36, v7
	s_delay_alu instid0(VALU_DEP_1) | instskip(NEXT) | instid1(VALU_DEP_1)
	v_ashrrev_i32_e32 v9, 31, v8
	v_lshl_add_u64 v[8:9], v[8:9], 2, s[14:15]
	global_load_b64 v[8:9], v[8:9], off
	s_wait_loadcnt 0x0
	v_subrev_nc_u32_e32 v15, s37, v9
	v_add_nc_u32_e32 v16, v8, v14
	s_wait_xcnt 0x0
	s_delay_alu instid0(VALU_DEP_1)
	v_cmpx_lt_i32_e64 v16, v15
	s_cbranch_execz .LBB36_9
; %bb.11:                               ;   in Loop: Header=BB36_10 Depth=1
	v_ashrrev_i32_e32 v7, 31, v6
	s_mov_b32 s18, 0
	s_delay_alu instid0(VALU_DEP_1)
	v_lshl_add_u64 v[8:9], v[6:7], 3, s[12:13]
	global_load_b64 v[8:9], v[8:9], off
	s_wait_loadcnt 0x0
	s_wait_xcnt 0x0
	v_mul_f64_e32 v[8:9], v[4:5], v[8:9]
	s_branch .LBB36_14
.LBB36_12:                              ;   in Loop: Header=BB36_14 Depth=2
	s_or_b32 exec_lo, exec_lo, s22
.LBB36_13:                              ;   in Loop: Header=BB36_14 Depth=2
	s_delay_alu instid0(SALU_CYCLE_1) | instskip(SKIP_3) | instid1(VALU_DEP_2)
	s_or_b32 exec_lo, exec_lo, s19
	s_wait_loadcnt 0x0
	v_dual_mul_f64 v[10:11], v[8:9], v[10:11] :: v_dual_add_nc_u32 v16, 64, v16
	v_lshlrev_b32_e32 v7, 3, v7
	v_cmp_ge_i32_e32 vcc_lo, v16, v15
	s_delay_alu instid0(VALU_DEP_2)
	v_add3_u32 v7, 0, v7, 0x20000
	s_or_b32 s18, vcc_lo, s18
	ds_add_f64 v7, v[10:11]
	s_and_not1_b32 exec_lo, exec_lo, s18
	s_cbranch_execz .LBB36_9
.LBB36_14:                              ;   Parent Loop BB36_10 Depth=1
                                        ; =>  This Loop Header: Depth=2
                                        ;       Child Loop BB36_17 Depth 3
	s_clause 0x1
	global_load_b32 v7, v16, s[8:9] scale_offset
	global_load_b64 v[10:11], v16, s[10:11] scale_offset
	s_mov_b32 s19, exec_lo
	s_wait_loadcnt 0x1
	v_subrev_nc_u32_e32 v17, s37, v7
	s_delay_alu instid0(VALU_DEP_1) | instskip(NEXT) | instid1(VALU_DEP_1)
	v_mul_lo_u32 v7, 0x89, v17
	v_and_b32_e32 v7, 0x7fff, v7
	s_delay_alu instid0(VALU_DEP_1)
	v_lshl_add_u32 v18, v7, 2, 0
	ds_load_b32 v19, v18
	s_wait_dscnt 0x0
	s_wait_xcnt 0x0
	v_cmpx_ne_u32_e64 v19, v17
	s_cbranch_execz .LBB36_13
; %bb.15:                               ;   in Loop: Header=BB36_14 Depth=2
	s_mov_b32 s22, 0
	s_branch .LBB36_17
.LBB36_16:                              ;   in Loop: Header=BB36_17 Depth=3
	s_or_b32 exec_lo, exec_lo, s26
	s_delay_alu instid0(SALU_CYCLE_1) | instskip(NEXT) | instid1(SALU_CYCLE_1)
	s_and_b32 s23, exec_lo, s25
	s_or_b32 s22, s23, s22
	s_delay_alu instid0(SALU_CYCLE_1)
	s_and_not1_b32 exec_lo, exec_lo, s22
	s_cbranch_execz .LBB36_12
.LBB36_17:                              ;   Parent Loop BB36_10 Depth=1
                                        ;     Parent Loop BB36_14 Depth=2
                                        ; =>    This Inner Loop Header: Depth=3
	s_mov_b32 s23, 0
	s_mov_b32 s25, exec_lo
	v_cmpx_ne_u32_e64 s33, v19
	s_xor_b32 s25, exec_lo, s25
	s_cbranch_execz .LBB36_19
; %bb.18:                               ;   in Loop: Header=BB36_17 Depth=3
	v_add_nc_u32_e32 v7, 1, v7
	s_mov_b32 s23, exec_lo
                                        ; implicit-def: $vgpr18
	s_delay_alu instid0(VALU_DEP_1)
	v_and_b32_e32 v7, 0x7fff, v7
	s_and_not1_saveexec_b32 s25, s25
	s_cbranch_execz .LBB36_21
	s_branch .LBB36_20
.LBB36_19:                              ;   in Loop: Header=BB36_17 Depth=3
	s_and_not1_saveexec_b32 s25, s25
	s_cbranch_execz .LBB36_21
.LBB36_20:                              ;   in Loop: Header=BB36_17 Depth=3
	v_mov_b32_e32 v19, s33
	s_and_not1_b32 s23, s23, exec_lo
	ds_cmpstore_rtn_b32 v18, v18, v17, v19
	s_wait_dscnt 0x0
	v_cmp_ne_u32_e32 vcc_lo, s33, v18
	s_and_b32 s26, vcc_lo, exec_lo
	s_delay_alu instid0(SALU_CYCLE_1)
	s_or_b32 s23, s23, s26
.LBB36_21:                              ;   in Loop: Header=BB36_17 Depth=3
	s_or_b32 exec_lo, exec_lo, s25
	s_mov_b32 s25, -1
                                        ; implicit-def: $vgpr18
                                        ; implicit-def: $vgpr19
	s_and_saveexec_b32 s26, s23
	s_cbranch_execz .LBB36_16
; %bb.22:                               ;   in Loop: Header=BB36_17 Depth=3
	v_lshl_add_u32 v18, v7, 2, 0
	ds_load_b32 v19, v18
	s_wait_dscnt 0x0
	v_cmp_eq_u32_e32 vcc_lo, v19, v17
	s_or_not1_b32 s25, vcc_lo, exec_lo
	s_branch .LBB36_16
.LBB36_23:
	s_or_b32 exec_lo, exec_lo, s1
.LBB36_24:
	s_delay_alu instid0(SALU_CYCLE_1)
	s_and_not1_b32 vcc_lo, exec_lo, s24
	s_cbranch_vccnz .LBB36_39
; %bb.25:
	s_wait_kmcnt 0x0
	s_ashr_i32 s43, s42, 31
	v_subrev_nc_u32_e32 v4, s39, v0
	s_lshl_b64 s[0:1], s[42:43], 2
	s_delay_alu instid0(SALU_CYCLE_1)
	s_add_nc_u64 s[0:1], s[20:21], s[0:1]
	s_load_b64 s[2:3], s[0:1], 0x0
	s_wait_xcnt 0x0
	s_mov_b32 s1, exec_lo
	s_wait_kmcnt 0x0
	v_add_nc_u32_e32 v6, s2, v4
	s_sub_co_i32 s0, s3, s39
	s_delay_alu instid0(VALU_DEP_1) | instid1(SALU_CYCLE_1)
	v_cmpx_gt_i32_e64 s0, v6
	s_cbranch_execz .LBB36_38
; %bb.26:
	s_mov_b32 s2, 0
	s_branch .LBB36_29
.LBB36_27:                              ;   in Loop: Header=BB36_29 Depth=1
	s_or_b32 exec_lo, exec_lo, s8
.LBB36_28:                              ;   in Loop: Header=BB36_29 Depth=1
	s_delay_alu instid0(SALU_CYCLE_1) | instskip(SKIP_3) | instid1(VALU_DEP_2)
	s_or_b32 exec_lo, exec_lo, s3
	s_wait_loadcnt 0x0
	v_dual_mul_f64 v[4:5], v[2:3], v[4:5] :: v_dual_lshlrev_b32 v7, 3, v7
	v_add_nc_u32_e32 v6, 0x400, v6
	v_add3_u32 v7, 0, v7, 0x20000
	s_delay_alu instid0(VALU_DEP_2)
	v_cmp_le_i32_e32 vcc_lo, s0, v6
	s_or_b32 s2, vcc_lo, s2
	ds_add_f64 v7, v[4:5]
	s_and_not1_b32 exec_lo, exec_lo, s2
	s_cbranch_execz .LBB36_38
.LBB36_29:                              ; =>This Loop Header: Depth=1
                                        ;     Child Loop BB36_32 Depth 2
	s_clause 0x1
	global_load_b32 v7, v6, s[4:5] scale_offset
	global_load_b64 v[4:5], v6, s[6:7] scale_offset
	s_mov_b32 s3, exec_lo
	s_wait_loadcnt 0x1
	v_subrev_nc_u32_e32 v8, s39, v7
	s_delay_alu instid0(VALU_DEP_1) | instskip(NEXT) | instid1(VALU_DEP_1)
	v_mul_lo_u32 v7, 0x89, v8
	v_and_b32_e32 v7, 0x7fff, v7
	s_delay_alu instid0(VALU_DEP_1)
	v_lshl_add_u32 v9, v7, 2, 0
	ds_load_b32 v10, v9
	s_wait_dscnt 0x0
	s_wait_xcnt 0x0
	v_cmpx_ne_u32_e64 v10, v8
	s_cbranch_execz .LBB36_28
; %bb.30:                               ;   in Loop: Header=BB36_29 Depth=1
	s_mov_b32 s8, 0
	s_branch .LBB36_32
.LBB36_31:                              ;   in Loop: Header=BB36_32 Depth=2
	s_or_b32 exec_lo, exec_lo, s11
	s_delay_alu instid0(SALU_CYCLE_1) | instskip(NEXT) | instid1(SALU_CYCLE_1)
	s_and_b32 s9, exec_lo, s10
	s_or_b32 s8, s9, s8
	s_delay_alu instid0(SALU_CYCLE_1)
	s_and_not1_b32 exec_lo, exec_lo, s8
	s_cbranch_execz .LBB36_27
.LBB36_32:                              ;   Parent Loop BB36_29 Depth=1
                                        ; =>  This Inner Loop Header: Depth=2
	s_mov_b32 s9, 0
	s_mov_b32 s10, exec_lo
	v_cmpx_ne_u32_e64 s33, v10
	s_xor_b32 s10, exec_lo, s10
	s_cbranch_execz .LBB36_34
; %bb.33:                               ;   in Loop: Header=BB36_32 Depth=2
	v_add_nc_u32_e32 v7, 1, v7
	s_mov_b32 s9, exec_lo
                                        ; implicit-def: $vgpr9
	s_delay_alu instid0(VALU_DEP_1)
	v_and_b32_e32 v7, 0x7fff, v7
	s_and_not1_saveexec_b32 s10, s10
	s_cbranch_execz .LBB36_36
	s_branch .LBB36_35
.LBB36_34:                              ;   in Loop: Header=BB36_32 Depth=2
	s_and_not1_saveexec_b32 s10, s10
	s_cbranch_execz .LBB36_36
.LBB36_35:                              ;   in Loop: Header=BB36_32 Depth=2
	v_mov_b32_e32 v10, s33
	s_and_not1_b32 s9, s9, exec_lo
	ds_cmpstore_rtn_b32 v9, v9, v8, v10
	s_wait_dscnt 0x0
	v_cmp_ne_u32_e32 vcc_lo, s33, v9
	s_and_b32 s11, vcc_lo, exec_lo
	s_delay_alu instid0(SALU_CYCLE_1)
	s_or_b32 s9, s9, s11
.LBB36_36:                              ;   in Loop: Header=BB36_32 Depth=2
	s_or_b32 exec_lo, exec_lo, s10
	s_mov_b32 s10, -1
                                        ; implicit-def: $vgpr9
                                        ; implicit-def: $vgpr10
	s_and_saveexec_b32 s11, s9
	s_cbranch_execz .LBB36_31
; %bb.37:                               ;   in Loop: Header=BB36_32 Depth=2
	v_lshl_add_u32 v9, v7, 2, 0
	ds_load_b32 v10, v9
	s_wait_dscnt 0x0
	v_cmp_eq_u32_e32 vcc_lo, v10, v8
	s_or_not1_b32 s10, vcc_lo, exec_lo
	s_branch .LBB36_31
.LBB36_38:
	s_or_b32 exec_lo, exec_lo, s1
.LBB36_39:
	v_mbcnt_lo_u32_b32 v2, -1, 0
	v_lshrrev_b32_e32 v3, 3, v0
	s_wait_xcnt 0x0
	v_cmp_lt_u32_e64 s0, 31, v0
	v_cmp_lt_u32_e64 s1, 63, v0
	;; [unrolled: 1-line block ×3, first 2 shown]
	v_xor_b32_e32 v2, 31, v2
	v_and_b32_e32 v4, 0x7c, v3
	v_mov_b32_e32 v3, 0
	v_cmp_lt_u32_e64 s3, 0x7f, v0
	v_cmp_lt_u32_e64 s4, 0x9f, v0
	v_lshrrev_b32_e64 v2, v2, -1
	v_add3_u32 v6, 0x60000, 0, v4
	v_cmp_lt_u32_e64 s5, 0xbf, v0
	v_cmp_lt_u32_e64 s6, 0xdf, v0
	;; [unrolled: 1-line block ×26, first 2 shown]
	s_mov_b32 s36, 0
	s_add_co_i32 s37, 0, 0x60000
	s_add_co_i32 s39, 0, 0x60004
	s_add_co_i32 s43, 0, 0x60008
	s_add_co_i32 s44, 0, 0x6000c
	s_add_co_i32 s45, 0, 0x60010
	s_add_co_i32 s46, 0, 0x60014
	s_add_co_i32 s47, 0, 0x60018
	s_add_co_i32 s48, 0, 0x6001c
	s_add_co_i32 s49, 0, 0x60020
	s_add_co_i32 s50, 0, 0x60024
	s_add_co_i32 s51, 0, 0x60028
	s_add_co_i32 s52, 0, 0x6002c
	s_add_co_i32 s53, 0, 0x60030
	s_add_co_i32 s54, 0, 0x60034
	s_add_co_i32 s55, 0, 0x60038
	s_add_co_i32 s56, 0, 0x6003c
	s_add_co_i32 s57, 0, 0x60040
	s_add_co_i32 s58, 0, 0x60044
	s_add_co_i32 s59, 0, 0x60048
	s_add_co_i32 s60, 0, 0x6004c
	s_add_co_i32 s61, 0, 0x60050
	s_add_co_i32 s62, 0, 0x60054
	s_add_co_i32 s63, 0, 0x60058
	s_add_co_i32 s64, 0, 0x6005c
	s_add_co_i32 s65, 0, 0x60060
	s_add_co_i32 s66, 0, 0x60064
	s_add_co_i32 s67, 0, 0x60068
	s_add_co_i32 s68, 0, 0x6006c
	s_add_co_i32 s69, 0, 0x60070
	s_add_co_i32 s70, 0, 0x60074
	s_add_co_i32 s71, 0, 0x60078
	s_add_co_i32 s72, 0, 0x6007c
	s_wait_dscnt 0x0
	s_barrier_signal -1
	s_barrier_wait -1
	v_cmp_eq_u32_e32 vcc_lo, 0x3ff, v0
	s_branch .LBB36_41
.LBB36_40:                              ;   in Loop: Header=BB36_41 Depth=1
	s_or_b32 exec_lo, exec_lo, s31
	v_dual_mov_b32 v4, s72 :: v_dual_add_nc_u32 v13, 0x400, v13
	s_wait_dscnt 0x0
	s_barrier_signal -1
	s_barrier_wait -1
	ds_load_b32 v4, v4
	v_cmp_lt_u32_e64 s31, 0x7bff, v13
	v_add_nc_u32_e32 v12, 0x2000, v12
	v_add_nc_u32_e32 v1, 0x1000, v1
	s_or_b32 s36, s31, s36
	s_wait_dscnt 0x0
	v_add_nc_u32_e32 v3, v4, v3
	s_and_not1_b32 exec_lo, exec_lo, s36
	s_cbranch_execz .LBB36_107
.LBB36_41:                              ; =>This Inner Loop Header: Depth=1
	ds_load_b32 v7, v1
	ds_load_b64 v[4:5], v12
	s_wait_dscnt 0x0
	s_barrier_signal -1
	s_barrier_wait -1
	v_cmp_gt_i32_e64 s31, s33, v7
	s_bcnt1_i32_b32 s73, s31
	s_delay_alu instid0(SALU_CYCLE_1) | instskip(NEXT) | instid1(VALU_DEP_1)
	v_dual_mov_b32 v9, s73 :: v_dual_bitop2_b32 v8, s31, v2 bitop3:0x40
	v_bcnt_u32_b32 v8, v8, 0
	ds_store_b32 v6, v9
	s_wait_dscnt 0x0
	s_barrier_signal -1
	s_barrier_wait -1
	s_and_saveexec_b32 s73, s0
	s_cbranch_execz .LBB36_74
; %bb.42:                               ;   in Loop: Header=BB36_41 Depth=1
	v_mov_b32_e32 v9, s37
	ds_load_b32 v9, v9
	s_wait_dscnt 0x0
	v_add_nc_u32_e32 v8, v9, v8
	s_or_b32 exec_lo, exec_lo, s73
	s_and_saveexec_b32 s73, s1
	s_cbranch_execnz .LBB36_75
.LBB36_43:                              ;   in Loop: Header=BB36_41 Depth=1
	s_or_b32 exec_lo, exec_lo, s73
	s_and_saveexec_b32 s73, s2
	s_cbranch_execz .LBB36_76
.LBB36_44:                              ;   in Loop: Header=BB36_41 Depth=1
	v_mov_b32_e32 v9, s43
	ds_load_b32 v9, v9
	s_wait_dscnt 0x0
	v_add_nc_u32_e32 v8, v9, v8
	s_or_b32 exec_lo, exec_lo, s73
	s_and_saveexec_b32 s73, s3
	s_cbranch_execnz .LBB36_77
.LBB36_45:                              ;   in Loop: Header=BB36_41 Depth=1
	s_or_b32 exec_lo, exec_lo, s73
	s_and_saveexec_b32 s73, s4
	s_cbranch_execz .LBB36_78
.LBB36_46:                              ;   in Loop: Header=BB36_41 Depth=1
	v_mov_b32_e32 v9, s45
	ds_load_b32 v9, v9
	s_wait_dscnt 0x0
	v_add_nc_u32_e32 v8, v9, v8
	s_or_b32 exec_lo, exec_lo, s73
	s_and_saveexec_b32 s73, s5
	s_cbranch_execnz .LBB36_79
.LBB36_47:                              ;   in Loop: Header=BB36_41 Depth=1
	s_or_b32 exec_lo, exec_lo, s73
	s_and_saveexec_b32 s73, s6
	s_cbranch_execz .LBB36_80
.LBB36_48:                              ;   in Loop: Header=BB36_41 Depth=1
	v_mov_b32_e32 v9, s47
	ds_load_b32 v9, v9
	s_wait_dscnt 0x0
	v_add_nc_u32_e32 v8, v9, v8
	s_or_b32 exec_lo, exec_lo, s73
	s_and_saveexec_b32 s73, s7
	s_cbranch_execnz .LBB36_81
.LBB36_49:                              ;   in Loop: Header=BB36_41 Depth=1
	s_or_b32 exec_lo, exec_lo, s73
	s_and_saveexec_b32 s73, s8
	s_cbranch_execz .LBB36_82
.LBB36_50:                              ;   in Loop: Header=BB36_41 Depth=1
	v_mov_b32_e32 v9, s49
	ds_load_b32 v9, v9
	s_wait_dscnt 0x0
	v_add_nc_u32_e32 v8, v9, v8
	s_or_b32 exec_lo, exec_lo, s73
	s_and_saveexec_b32 s73, s9
	s_cbranch_execnz .LBB36_83
.LBB36_51:                              ;   in Loop: Header=BB36_41 Depth=1
	s_or_b32 exec_lo, exec_lo, s73
	s_and_saveexec_b32 s73, s10
	s_cbranch_execz .LBB36_84
.LBB36_52:                              ;   in Loop: Header=BB36_41 Depth=1
	v_mov_b32_e32 v9, s51
	ds_load_b32 v9, v9
	s_wait_dscnt 0x0
	v_add_nc_u32_e32 v8, v9, v8
	s_or_b32 exec_lo, exec_lo, s73
	s_and_saveexec_b32 s73, s11
	s_cbranch_execnz .LBB36_85
.LBB36_53:                              ;   in Loop: Header=BB36_41 Depth=1
	s_or_b32 exec_lo, exec_lo, s73
	s_and_saveexec_b32 s73, s12
	s_cbranch_execz .LBB36_86
.LBB36_54:                              ;   in Loop: Header=BB36_41 Depth=1
	v_mov_b32_e32 v9, s53
	ds_load_b32 v9, v9
	s_wait_dscnt 0x0
	v_add_nc_u32_e32 v8, v9, v8
	s_or_b32 exec_lo, exec_lo, s73
	s_and_saveexec_b32 s73, s13
	s_cbranch_execnz .LBB36_87
.LBB36_55:                              ;   in Loop: Header=BB36_41 Depth=1
	s_or_b32 exec_lo, exec_lo, s73
	s_and_saveexec_b32 s73, s14
	s_cbranch_execz .LBB36_88
.LBB36_56:                              ;   in Loop: Header=BB36_41 Depth=1
	v_mov_b32_e32 v9, s55
	ds_load_b32 v9, v9
	s_wait_dscnt 0x0
	v_add_nc_u32_e32 v8, v9, v8
	s_or_b32 exec_lo, exec_lo, s73
	s_and_saveexec_b32 s73, s15
	s_cbranch_execnz .LBB36_89
.LBB36_57:                              ;   in Loop: Header=BB36_41 Depth=1
	s_or_b32 exec_lo, exec_lo, s73
	s_and_saveexec_b32 s73, s16
	s_cbranch_execz .LBB36_90
.LBB36_58:                              ;   in Loop: Header=BB36_41 Depth=1
	v_mov_b32_e32 v9, s57
	ds_load_b32 v9, v9
	s_wait_dscnt 0x0
	v_add_nc_u32_e32 v8, v9, v8
	s_or_b32 exec_lo, exec_lo, s73
	s_and_saveexec_b32 s73, s17
	s_cbranch_execnz .LBB36_91
.LBB36_59:                              ;   in Loop: Header=BB36_41 Depth=1
	s_or_b32 exec_lo, exec_lo, s73
	s_and_saveexec_b32 s73, s18
	s_cbranch_execz .LBB36_92
.LBB36_60:                              ;   in Loop: Header=BB36_41 Depth=1
	v_mov_b32_e32 v9, s59
	ds_load_b32 v9, v9
	s_wait_dscnt 0x0
	v_add_nc_u32_e32 v8, v9, v8
	s_or_b32 exec_lo, exec_lo, s73
	s_and_saveexec_b32 s73, s19
	s_cbranch_execnz .LBB36_93
.LBB36_61:                              ;   in Loop: Header=BB36_41 Depth=1
	s_or_b32 exec_lo, exec_lo, s73
	s_and_saveexec_b32 s73, s20
	s_cbranch_execz .LBB36_94
.LBB36_62:                              ;   in Loop: Header=BB36_41 Depth=1
	v_mov_b32_e32 v9, s61
	ds_load_b32 v9, v9
	s_wait_dscnt 0x0
	v_add_nc_u32_e32 v8, v9, v8
	s_or_b32 exec_lo, exec_lo, s73
	s_and_saveexec_b32 s73, s21
	s_cbranch_execnz .LBB36_95
.LBB36_63:                              ;   in Loop: Header=BB36_41 Depth=1
	s_or_b32 exec_lo, exec_lo, s73
	s_and_saveexec_b32 s73, s22
	s_cbranch_execz .LBB36_96
.LBB36_64:                              ;   in Loop: Header=BB36_41 Depth=1
	v_mov_b32_e32 v9, s63
	ds_load_b32 v9, v9
	s_wait_dscnt 0x0
	v_add_nc_u32_e32 v8, v9, v8
	s_or_b32 exec_lo, exec_lo, s73
	s_and_saveexec_b32 s73, s23
	s_cbranch_execnz .LBB36_97
.LBB36_65:                              ;   in Loop: Header=BB36_41 Depth=1
	s_or_b32 exec_lo, exec_lo, s73
	s_and_saveexec_b32 s73, s24
	s_cbranch_execz .LBB36_98
.LBB36_66:                              ;   in Loop: Header=BB36_41 Depth=1
	v_mov_b32_e32 v9, s65
	ds_load_b32 v9, v9
	s_wait_dscnt 0x0
	v_add_nc_u32_e32 v8, v9, v8
	s_or_b32 exec_lo, exec_lo, s73
	s_and_saveexec_b32 s73, s25
	s_cbranch_execnz .LBB36_99
.LBB36_67:                              ;   in Loop: Header=BB36_41 Depth=1
	s_or_b32 exec_lo, exec_lo, s73
	s_and_saveexec_b32 s73, s26
	s_cbranch_execz .LBB36_100
.LBB36_68:                              ;   in Loop: Header=BB36_41 Depth=1
	v_mov_b32_e32 v9, s67
	ds_load_b32 v9, v9
	s_wait_dscnt 0x0
	v_add_nc_u32_e32 v8, v9, v8
	s_or_b32 exec_lo, exec_lo, s73
	s_and_saveexec_b32 s73, s27
	s_cbranch_execnz .LBB36_101
.LBB36_69:                              ;   in Loop: Header=BB36_41 Depth=1
	s_or_b32 exec_lo, exec_lo, s73
	s_and_saveexec_b32 s73, s28
	s_cbranch_execz .LBB36_102
.LBB36_70:                              ;   in Loop: Header=BB36_41 Depth=1
	v_mov_b32_e32 v9, s69
	ds_load_b32 v9, v9
	s_wait_dscnt 0x0
	v_add_nc_u32_e32 v8, v9, v8
	s_or_b32 exec_lo, exec_lo, s73
	s_and_saveexec_b32 s73, s29
	s_cbranch_execnz .LBB36_103
.LBB36_71:                              ;   in Loop: Header=BB36_41 Depth=1
	s_or_b32 exec_lo, exec_lo, s73
	s_and_saveexec_b32 s73, s30
	s_cbranch_execz .LBB36_104
.LBB36_72:                              ;   in Loop: Header=BB36_41 Depth=1
	v_mov_b32_e32 v9, s71
	ds_load_b32 v9, v9
	s_wait_dscnt 0x0
	v_add_nc_u32_e32 v8, v9, v8
	s_or_b32 exec_lo, exec_lo, s73
	s_and_saveexec_b32 s73, s31
	s_cbranch_execnz .LBB36_105
.LBB36_73:                              ;   in Loop: Header=BB36_41 Depth=1
	s_or_b32 exec_lo, exec_lo, s73
	s_and_saveexec_b32 s31, vcc_lo
	s_cbranch_execz .LBB36_40
	s_branch .LBB36_106
.LBB36_74:                              ;   in Loop: Header=BB36_41 Depth=1
	s_or_b32 exec_lo, exec_lo, s73
	s_and_saveexec_b32 s73, s1
	s_cbranch_execz .LBB36_43
.LBB36_75:                              ;   in Loop: Header=BB36_41 Depth=1
	v_mov_b32_e32 v9, s39
	ds_load_b32 v9, v9
	s_wait_dscnt 0x0
	v_add_nc_u32_e32 v8, v9, v8
	s_or_b32 exec_lo, exec_lo, s73
	s_and_saveexec_b32 s73, s2
	s_cbranch_execnz .LBB36_44
.LBB36_76:                              ;   in Loop: Header=BB36_41 Depth=1
	s_or_b32 exec_lo, exec_lo, s73
	s_and_saveexec_b32 s73, s3
	s_cbranch_execz .LBB36_45
.LBB36_77:                              ;   in Loop: Header=BB36_41 Depth=1
	v_mov_b32_e32 v9, s44
	ds_load_b32 v9, v9
	s_wait_dscnt 0x0
	v_add_nc_u32_e32 v8, v9, v8
	s_or_b32 exec_lo, exec_lo, s73
	s_and_saveexec_b32 s73, s4
	s_cbranch_execnz .LBB36_46
.LBB36_78:                              ;   in Loop: Header=BB36_41 Depth=1
	s_or_b32 exec_lo, exec_lo, s73
	s_and_saveexec_b32 s73, s5
	s_cbranch_execz .LBB36_47
.LBB36_79:                              ;   in Loop: Header=BB36_41 Depth=1
	v_mov_b32_e32 v9, s46
	ds_load_b32 v9, v9
	s_wait_dscnt 0x0
	v_add_nc_u32_e32 v8, v9, v8
	s_or_b32 exec_lo, exec_lo, s73
	s_and_saveexec_b32 s73, s6
	s_cbranch_execnz .LBB36_48
.LBB36_80:                              ;   in Loop: Header=BB36_41 Depth=1
	s_or_b32 exec_lo, exec_lo, s73
	s_and_saveexec_b32 s73, s7
	s_cbranch_execz .LBB36_49
.LBB36_81:                              ;   in Loop: Header=BB36_41 Depth=1
	v_mov_b32_e32 v9, s48
	ds_load_b32 v9, v9
	s_wait_dscnt 0x0
	v_add_nc_u32_e32 v8, v9, v8
	s_or_b32 exec_lo, exec_lo, s73
	s_and_saveexec_b32 s73, s8
	s_cbranch_execnz .LBB36_50
.LBB36_82:                              ;   in Loop: Header=BB36_41 Depth=1
	s_or_b32 exec_lo, exec_lo, s73
	s_and_saveexec_b32 s73, s9
	s_cbranch_execz .LBB36_51
.LBB36_83:                              ;   in Loop: Header=BB36_41 Depth=1
	v_mov_b32_e32 v9, s50
	ds_load_b32 v9, v9
	s_wait_dscnt 0x0
	v_add_nc_u32_e32 v8, v9, v8
	s_or_b32 exec_lo, exec_lo, s73
	s_and_saveexec_b32 s73, s10
	s_cbranch_execnz .LBB36_52
.LBB36_84:                              ;   in Loop: Header=BB36_41 Depth=1
	s_or_b32 exec_lo, exec_lo, s73
	s_and_saveexec_b32 s73, s11
	s_cbranch_execz .LBB36_53
.LBB36_85:                              ;   in Loop: Header=BB36_41 Depth=1
	v_mov_b32_e32 v9, s52
	ds_load_b32 v9, v9
	s_wait_dscnt 0x0
	v_add_nc_u32_e32 v8, v9, v8
	s_or_b32 exec_lo, exec_lo, s73
	s_and_saveexec_b32 s73, s12
	s_cbranch_execnz .LBB36_54
.LBB36_86:                              ;   in Loop: Header=BB36_41 Depth=1
	s_or_b32 exec_lo, exec_lo, s73
	s_and_saveexec_b32 s73, s13
	s_cbranch_execz .LBB36_55
.LBB36_87:                              ;   in Loop: Header=BB36_41 Depth=1
	v_mov_b32_e32 v9, s54
	ds_load_b32 v9, v9
	s_wait_dscnt 0x0
	v_add_nc_u32_e32 v8, v9, v8
	s_or_b32 exec_lo, exec_lo, s73
	s_and_saveexec_b32 s73, s14
	s_cbranch_execnz .LBB36_56
.LBB36_88:                              ;   in Loop: Header=BB36_41 Depth=1
	s_or_b32 exec_lo, exec_lo, s73
	s_and_saveexec_b32 s73, s15
	s_cbranch_execz .LBB36_57
.LBB36_89:                              ;   in Loop: Header=BB36_41 Depth=1
	v_mov_b32_e32 v9, s56
	ds_load_b32 v9, v9
	s_wait_dscnt 0x0
	v_add_nc_u32_e32 v8, v9, v8
	s_or_b32 exec_lo, exec_lo, s73
	s_and_saveexec_b32 s73, s16
	s_cbranch_execnz .LBB36_58
.LBB36_90:                              ;   in Loop: Header=BB36_41 Depth=1
	s_or_b32 exec_lo, exec_lo, s73
	s_and_saveexec_b32 s73, s17
	s_cbranch_execz .LBB36_59
.LBB36_91:                              ;   in Loop: Header=BB36_41 Depth=1
	v_mov_b32_e32 v9, s58
	ds_load_b32 v9, v9
	s_wait_dscnt 0x0
	v_add_nc_u32_e32 v8, v9, v8
	s_or_b32 exec_lo, exec_lo, s73
	s_and_saveexec_b32 s73, s18
	s_cbranch_execnz .LBB36_60
.LBB36_92:                              ;   in Loop: Header=BB36_41 Depth=1
	s_or_b32 exec_lo, exec_lo, s73
	s_and_saveexec_b32 s73, s19
	s_cbranch_execz .LBB36_61
.LBB36_93:                              ;   in Loop: Header=BB36_41 Depth=1
	v_mov_b32_e32 v9, s60
	ds_load_b32 v9, v9
	s_wait_dscnt 0x0
	v_add_nc_u32_e32 v8, v9, v8
	s_or_b32 exec_lo, exec_lo, s73
	s_and_saveexec_b32 s73, s20
	s_cbranch_execnz .LBB36_62
.LBB36_94:                              ;   in Loop: Header=BB36_41 Depth=1
	s_or_b32 exec_lo, exec_lo, s73
	s_and_saveexec_b32 s73, s21
	s_cbranch_execz .LBB36_63
.LBB36_95:                              ;   in Loop: Header=BB36_41 Depth=1
	v_mov_b32_e32 v9, s62
	ds_load_b32 v9, v9
	s_wait_dscnt 0x0
	v_add_nc_u32_e32 v8, v9, v8
	s_or_b32 exec_lo, exec_lo, s73
	s_and_saveexec_b32 s73, s22
	s_cbranch_execnz .LBB36_64
.LBB36_96:                              ;   in Loop: Header=BB36_41 Depth=1
	s_or_b32 exec_lo, exec_lo, s73
	s_and_saveexec_b32 s73, s23
	s_cbranch_execz .LBB36_65
.LBB36_97:                              ;   in Loop: Header=BB36_41 Depth=1
	v_mov_b32_e32 v9, s64
	ds_load_b32 v9, v9
	s_wait_dscnt 0x0
	v_add_nc_u32_e32 v8, v9, v8
	s_or_b32 exec_lo, exec_lo, s73
	s_and_saveexec_b32 s73, s24
	s_cbranch_execnz .LBB36_66
.LBB36_98:                              ;   in Loop: Header=BB36_41 Depth=1
	s_or_b32 exec_lo, exec_lo, s73
	s_and_saveexec_b32 s73, s25
	s_cbranch_execz .LBB36_67
.LBB36_99:                              ;   in Loop: Header=BB36_41 Depth=1
	v_mov_b32_e32 v9, s66
	ds_load_b32 v9, v9
	s_wait_dscnt 0x0
	v_add_nc_u32_e32 v8, v9, v8
	s_or_b32 exec_lo, exec_lo, s73
	s_and_saveexec_b32 s73, s26
	s_cbranch_execnz .LBB36_68
.LBB36_100:                             ;   in Loop: Header=BB36_41 Depth=1
	s_or_b32 exec_lo, exec_lo, s73
	s_and_saveexec_b32 s73, s27
	s_cbranch_execz .LBB36_69
.LBB36_101:                             ;   in Loop: Header=BB36_41 Depth=1
	v_mov_b32_e32 v9, s68
	ds_load_b32 v9, v9
	s_wait_dscnt 0x0
	v_add_nc_u32_e32 v8, v9, v8
	s_or_b32 exec_lo, exec_lo, s73
	s_and_saveexec_b32 s73, s28
	s_cbranch_execnz .LBB36_70
.LBB36_102:                             ;   in Loop: Header=BB36_41 Depth=1
	s_or_b32 exec_lo, exec_lo, s73
	s_and_saveexec_b32 s73, s29
	s_cbranch_execz .LBB36_71
.LBB36_103:                             ;   in Loop: Header=BB36_41 Depth=1
	v_mov_b32_e32 v9, s70
	ds_load_b32 v9, v9
	s_wait_dscnt 0x0
	v_add_nc_u32_e32 v8, v9, v8
	s_or_b32 exec_lo, exec_lo, s73
	s_and_saveexec_b32 s73, s30
	s_cbranch_execnz .LBB36_72
.LBB36_104:                             ;   in Loop: Header=BB36_41 Depth=1
	s_or_b32 exec_lo, exec_lo, s73
	s_and_saveexec_b32 s73, s31
	s_cbranch_execz .LBB36_73
.LBB36_105:                             ;   in Loop: Header=BB36_41 Depth=1
	s_delay_alu instid0(VALU_DEP_1) | instskip(NEXT) | instid1(VALU_DEP_1)
	v_add3_u32 v9, v3, -1, v8
	v_lshlrev_b32_e32 v10, 3, v9
	v_lshl_add_u32 v9, v9, 2, 0
	s_delay_alu instid0(VALU_DEP_2)
	v_add3_u32 v10, 0, v10, 0x20000
	ds_store_b32 v9, v7
	ds_store_b64 v10, v[4:5]
	s_or_b32 exec_lo, exec_lo, s73
	s_and_saveexec_b32 s31, vcc_lo
	s_cbranch_execz .LBB36_40
.LBB36_106:                             ;   in Loop: Header=BB36_41 Depth=1
	v_mov_b32_e32 v4, s72
	ds_store_b32 v4, v8
	s_branch .LBB36_40
.LBB36_107:
	s_or_b32 exec_lo, exec_lo, s36
	s_wait_kmcnt 0x0
	s_ashr_i32 s43, s42, 31
	s_delay_alu instid0(SALU_CYCLE_1) | instskip(NEXT) | instid1(SALU_CYCLE_1)
	s_lshl_b64 s[0:1], s[42:43], 2
	s_add_nc_u64 s[2:3], s[40:41], s[0:1]
	s_load_b64 s[0:1], s[2:3], 0x0
	s_wait_kmcnt 0x0
	s_sub_co_i32 s4, s1, s0
	s_mov_b32 s1, exec_lo
	v_cmpx_gt_i32_e64 s4, v0
	s_cbranch_execz .LBB36_121
; %bb.108:
	v_sub_co_u32 v1, s1, s4, 2
	s_sub_co_i32 s2, s0, s38
	s_xor_b32 s6, s1, -1
	s_and_b32 s5, s4, -2
	v_readfirstlane_b32 s3, v1
	s_lshr_b32 s0, s3, 1
	s_mov_b32 s3, 0
	s_add_co_i32 s0, s0, 1
	s_mov_b32 s11, s3
	s_and_b32 s1, s0, 7
	s_and_b32 s7, s0, -8
	s_cmp_lg_u32 s1, 0
	v_cmp_lt_u32_e64 s0, 13, v1
	s_cselect_b32 s8, -1, 0
	s_cmp_lg_u32 s4, s5
	s_cselect_b32 s9, -1, 0
	s_lshl_b32 s10, s1, 3
	s_branch .LBB36_110
.LBB36_109:                             ;   in Loop: Header=BB36_110 Depth=1
	v_add_nc_u32_e32 v0, 0x400, v0
	s_wait_dscnt 0x0
	global_store_b64 v4, v[2:3], s[34:35] scale_offset
	v_cmp_le_i32_e32 vcc_lo, s4, v0
	s_or_b32 s11, vcc_lo, s11
	s_wait_xcnt 0x0
	s_and_not1_b32 exec_lo, exec_lo, s11
	s_cbranch_execz .LBB36_121
.LBB36_110:                             ; =>This Loop Header: Depth=1
                                        ;     Child Loop BB36_113 Depth 2
                                        ;     Child Loop BB36_116 Depth 2
                                        ;     Child Loop BB36_120 Depth 2
	v_dual_mov_b32 v4, s2 :: v_dual_lshlrev_b32 v1, 3, v0
	v_lshl_add_u32 v2, v0, 2, 0
	s_and_not1_b32 vcc_lo, exec_lo, s6
	s_mov_b32 s1, 0
	s_delay_alu instid0(VALU_DEP_2)
	v_add3_u32 v3, 0, v1, 0x20000
	s_mov_b32 s12, -1
	ds_load_b32 v1, v2
	ds_load_b64 v[2:3], v3
	s_cbranch_vccnz .LBB36_118
; %bb.111:                              ;   in Loop: Header=BB36_110 Depth=1
	v_mov_b64_e32 v[4:5], s[2:3]
	s_and_not1_b32 vcc_lo, exec_lo, s0
	s_mov_b32 s12, 0
	s_cbranch_vccnz .LBB36_114
; %bb.112:                              ;   in Loop: Header=BB36_110 Depth=1
	v_dual_mov_b32 v4, s2 :: v_dual_mov_b32 v5, 0
	s_mov_b32 s13, 0
	s_mov_b32 s14, s7
.LBB36_113:                             ;   Parent Loop BB36_110 Depth=1
                                        ; =>  This Inner Loop Header: Depth=2
	v_mov_b32_e32 v20, s13
	s_add_co_i32 s14, s14, -8
	s_add_co_i32 s12, s12, 16
	s_add_co_i32 s13, s13, 64
	s_cmp_lg_u32 s14, 0
	ds_load_2addr_b32 v[6:7], v20 offset1:1
	ds_load_2addr_b32 v[8:9], v20 offset0:2 offset1:3
	ds_load_2addr_b32 v[10:11], v20 offset0:4 offset1:5
	;; [unrolled: 1-line block ×7, first 2 shown]
	s_wait_dscnt 0x7
	v_cmp_gt_i32_e32 vcc_lo, v1, v7
	s_wait_dscnt 0x5
	v_cmp_gt_i32_e64 s1, v1, v10
	v_cndmask_b32_e64 v7, 0, 1, vcc_lo
	v_cmp_gt_i32_e32 vcc_lo, v1, v6
	v_cndmask_b32_e64 v6, 0, 1, vcc_lo
	v_cmp_gt_i32_e32 vcc_lo, v1, v8
	v_cndmask_b32_e64 v8, 0, 1, s1
	v_cmp_gt_i32_e64 s1, v1, v11
	s_delay_alu instid0(VALU_DEP_4) | instskip(NEXT) | instid1(VALU_DEP_2)
	v_add_co_ci_u32_e64 v4, null, v4, v6, vcc_lo
	v_cndmask_b32_e64 v10, 0, 1, s1
	s_wait_dscnt 0x4
	v_cmp_gt_i32_e64 s1, v1, v13
	s_wait_dscnt 0x2
	v_cmp_gt_i32_e32 vcc_lo, v1, v16
	s_delay_alu instid0(VALU_DEP_2) | instskip(SKIP_4) | instid1(VALU_DEP_3)
	v_cndmask_b32_e64 v11, 0, 1, s1
	v_cmp_gt_i32_e64 s1, v1, v12
	v_add_co_ci_u32_e64 v4, null, v4, v8, vcc_lo
	s_wait_dscnt 0x1
	v_cmp_gt_i32_e32 vcc_lo, v1, v18
	v_cndmask_b32_e64 v12, 0, 1, s1
	v_cmp_gt_i32_e64 s1, v1, v14
	s_delay_alu instid0(VALU_DEP_2) | instskip(NEXT) | instid1(VALU_DEP_2)
	v_add_co_ci_u32_e64 v4, null, v4, v12, vcc_lo
	v_cndmask_b32_e64 v13, 0, 1, s1
	v_cmp_gt_i32_e64 s1, v1, v15
	s_wait_dscnt 0x0
	v_cmp_gt_i32_e32 vcc_lo, v1, v20
	s_delay_alu instid0(VALU_DEP_2) | instskip(SKIP_2) | instid1(VALU_DEP_2)
	v_cndmask_b32_e64 v14, 0, 1, s1
	v_cmp_gt_i32_e64 s1, v1, v9
	v_add_co_ci_u32_e64 v4, null, v4, v13, vcc_lo
	v_add_co_ci_u32_e64 v5, null, v5, v7, s1
	v_cmp_gt_i32_e64 s1, v1, v17
	s_delay_alu instid0(VALU_DEP_1) | instskip(SKIP_1) | instid1(VALU_DEP_1)
	v_add_co_ci_u32_e64 v5, null, v5, v10, s1
	v_cmp_gt_i32_e64 s1, v1, v19
	v_add_co_ci_u32_e64 v5, null, v5, v11, s1
	v_cmp_gt_i32_e64 s1, v1, v21
	s_delay_alu instid0(VALU_DEP_1)
	v_add_co_ci_u32_e64 v5, null, v5, v14, s1
	s_cbranch_scc1 .LBB36_113
.LBB36_114:                             ;   in Loop: Header=BB36_110 Depth=1
	s_and_not1_b32 vcc_lo, exec_lo, s8
	s_cbranch_vccnz .LBB36_117
; %bb.115:                              ;   in Loop: Header=BB36_110 Depth=1
	s_lshl_b32 s1, s12, 2
	s_mov_b32 s12, s10
	s_add_co_i32 s1, s1, 0
.LBB36_116:                             ;   Parent Loop BB36_110 Depth=1
                                        ; =>  This Inner Loop Header: Depth=2
	s_delay_alu instid0(SALU_CYCLE_1)
	v_mov_b32_e32 v6, s1
	s_add_co_i32 s12, s12, -8
	s_add_co_i32 s1, s1, 8
	s_cmp_lg_u32 s12, 0
	ds_load_2addr_b32 v[6:7], v6 offset1:1
	s_wait_dscnt 0x0
	v_cmp_gt_i32_e32 vcc_lo, v1, v7
	v_add_co_ci_u32_e64 v5, null, 0, v5, vcc_lo
	v_cmp_gt_i32_e32 vcc_lo, v1, v6
	v_add_co_ci_u32_e64 v4, null, 0, v4, vcc_lo
	s_cbranch_scc1 .LBB36_116
.LBB36_117:                             ;   in Loop: Header=BB36_110 Depth=1
	s_delay_alu instid0(VALU_DEP_1)
	v_add_nc_u32_e32 v4, v4, v5
	s_mov_b32 s1, s5
	s_mov_b32 s12, s9
.LBB36_118:                             ;   in Loop: Header=BB36_110 Depth=1
	s_delay_alu instid0(SALU_CYCLE_1)
	s_and_b32 vcc_lo, exec_lo, s12
	s_cbranch_vccz .LBB36_109
; %bb.119:                              ;   in Loop: Header=BB36_110 Depth=1
	s_lshl_b32 s12, s1, 2
	s_delay_alu instid0(SALU_CYCLE_1)
	s_add_co_i32 s12, s12, 0
.LBB36_120:                             ;   Parent Loop BB36_110 Depth=1
                                        ; =>  This Inner Loop Header: Depth=2
	s_delay_alu instid0(SALU_CYCLE_1)
	v_mov_b32_e32 v5, s12
	s_add_co_i32 s1, s1, 1
	s_add_co_i32 s12, s12, 4
	s_cmp_ge_i32 s1, s4
	ds_load_b32 v5, v5
	s_wait_dscnt 0x0
	v_cmp_gt_i32_e32 vcc_lo, v1, v5
	v_add_co_ci_u32_e64 v4, null, 0, v4, vcc_lo
	s_cbranch_scc0 .LBB36_120
	s_branch .LBB36_109
.LBB36_121:
	s_endpgm
	.section	.rodata,"a",@progbits
	.p2align	6, 0x0
	.amdhsa_kernel _ZN9rocsparseL41csrgemm_numeric_fill_block_per_row_kernelILj1024ELj64ELj32768ELj137ELj32EiidEEvT5_PKS1_S3_NS_24const_host_device_scalarIT6_EEPKT4_S3_PKS5_S9_S3_SB_S6_S9_S3_SB_S9_S3_PS5_21rocsparse_index_base_SD_SD_SD_bbb
		.amdhsa_group_segment_fixed_size 0
		.amdhsa_private_segment_fixed_size 0
		.amdhsa_kernarg_size 156
		.amdhsa_user_sgpr_count 2
		.amdhsa_user_sgpr_dispatch_ptr 0
		.amdhsa_user_sgpr_queue_ptr 0
		.amdhsa_user_sgpr_kernarg_segment_ptr 1
		.amdhsa_user_sgpr_dispatch_id 0
		.amdhsa_user_sgpr_kernarg_preload_length 0
		.amdhsa_user_sgpr_kernarg_preload_offset 0
		.amdhsa_user_sgpr_private_segment_size 0
		.amdhsa_wavefront_size32 1
		.amdhsa_uses_dynamic_stack 0
		.amdhsa_enable_private_segment 0
		.amdhsa_system_sgpr_workgroup_id_x 1
		.amdhsa_system_sgpr_workgroup_id_y 0
		.amdhsa_system_sgpr_workgroup_id_z 0
		.amdhsa_system_sgpr_workgroup_info 0
		.amdhsa_system_vgpr_workitem_id 0
		.amdhsa_next_free_vgpr 22
		.amdhsa_next_free_sgpr 74
		.amdhsa_named_barrier_count 0
		.amdhsa_reserve_vcc 1
		.amdhsa_float_round_mode_32 0
		.amdhsa_float_round_mode_16_64 0
		.amdhsa_float_denorm_mode_32 3
		.amdhsa_float_denorm_mode_16_64 3
		.amdhsa_fp16_overflow 0
		.amdhsa_memory_ordered 1
		.amdhsa_forward_progress 1
		.amdhsa_inst_pref_size 37
		.amdhsa_round_robin_scheduling 0
		.amdhsa_exception_fp_ieee_invalid_op 0
		.amdhsa_exception_fp_denorm_src 0
		.amdhsa_exception_fp_ieee_div_zero 0
		.amdhsa_exception_fp_ieee_overflow 0
		.amdhsa_exception_fp_ieee_underflow 0
		.amdhsa_exception_fp_ieee_inexact 0
		.amdhsa_exception_int_div_zero 0
	.end_amdhsa_kernel
	.section	.text._ZN9rocsparseL41csrgemm_numeric_fill_block_per_row_kernelILj1024ELj64ELj32768ELj137ELj32EiidEEvT5_PKS1_S3_NS_24const_host_device_scalarIT6_EEPKT4_S3_PKS5_S9_S3_SB_S6_S9_S3_SB_S9_S3_PS5_21rocsparse_index_base_SD_SD_SD_bbb,"axG",@progbits,_ZN9rocsparseL41csrgemm_numeric_fill_block_per_row_kernelILj1024ELj64ELj32768ELj137ELj32EiidEEvT5_PKS1_S3_NS_24const_host_device_scalarIT6_EEPKT4_S3_PKS5_S9_S3_SB_S6_S9_S3_SB_S9_S3_PS5_21rocsparse_index_base_SD_SD_SD_bbb,comdat
.Lfunc_end36:
	.size	_ZN9rocsparseL41csrgemm_numeric_fill_block_per_row_kernelILj1024ELj64ELj32768ELj137ELj32EiidEEvT5_PKS1_S3_NS_24const_host_device_scalarIT6_EEPKT4_S3_PKS5_S9_S3_SB_S6_S9_S3_SB_S9_S3_PS5_21rocsparse_index_base_SD_SD_SD_bbb, .Lfunc_end36-_ZN9rocsparseL41csrgemm_numeric_fill_block_per_row_kernelILj1024ELj64ELj32768ELj137ELj32EiidEEvT5_PKS1_S3_NS_24const_host_device_scalarIT6_EEPKT4_S3_PKS5_S9_S3_SB_S6_S9_S3_SB_S9_S3_PS5_21rocsparse_index_base_SD_SD_SD_bbb
                                        ; -- End function
	.set _ZN9rocsparseL41csrgemm_numeric_fill_block_per_row_kernelILj1024ELj64ELj32768ELj137ELj32EiidEEvT5_PKS1_S3_NS_24const_host_device_scalarIT6_EEPKT4_S3_PKS5_S9_S3_SB_S6_S9_S3_SB_S9_S3_PS5_21rocsparse_index_base_SD_SD_SD_bbb.num_vgpr, 22
	.set _ZN9rocsparseL41csrgemm_numeric_fill_block_per_row_kernelILj1024ELj64ELj32768ELj137ELj32EiidEEvT5_PKS1_S3_NS_24const_host_device_scalarIT6_EEPKT4_S3_PKS5_S9_S3_SB_S6_S9_S3_SB_S9_S3_PS5_21rocsparse_index_base_SD_SD_SD_bbb.num_agpr, 0
	.set _ZN9rocsparseL41csrgemm_numeric_fill_block_per_row_kernelILj1024ELj64ELj32768ELj137ELj32EiidEEvT5_PKS1_S3_NS_24const_host_device_scalarIT6_EEPKT4_S3_PKS5_S9_S3_SB_S6_S9_S3_SB_S9_S3_PS5_21rocsparse_index_base_SD_SD_SD_bbb.numbered_sgpr, 74
	.set _ZN9rocsparseL41csrgemm_numeric_fill_block_per_row_kernelILj1024ELj64ELj32768ELj137ELj32EiidEEvT5_PKS1_S3_NS_24const_host_device_scalarIT6_EEPKT4_S3_PKS5_S9_S3_SB_S6_S9_S3_SB_S9_S3_PS5_21rocsparse_index_base_SD_SD_SD_bbb.num_named_barrier, 0
	.set _ZN9rocsparseL41csrgemm_numeric_fill_block_per_row_kernelILj1024ELj64ELj32768ELj137ELj32EiidEEvT5_PKS1_S3_NS_24const_host_device_scalarIT6_EEPKT4_S3_PKS5_S9_S3_SB_S6_S9_S3_SB_S9_S3_PS5_21rocsparse_index_base_SD_SD_SD_bbb.private_seg_size, 0
	.set _ZN9rocsparseL41csrgemm_numeric_fill_block_per_row_kernelILj1024ELj64ELj32768ELj137ELj32EiidEEvT5_PKS1_S3_NS_24const_host_device_scalarIT6_EEPKT4_S3_PKS5_S9_S3_SB_S6_S9_S3_SB_S9_S3_PS5_21rocsparse_index_base_SD_SD_SD_bbb.uses_vcc, 1
	.set _ZN9rocsparseL41csrgemm_numeric_fill_block_per_row_kernelILj1024ELj64ELj32768ELj137ELj32EiidEEvT5_PKS1_S3_NS_24const_host_device_scalarIT6_EEPKT4_S3_PKS5_S9_S3_SB_S6_S9_S3_SB_S9_S3_PS5_21rocsparse_index_base_SD_SD_SD_bbb.uses_flat_scratch, 0
	.set _ZN9rocsparseL41csrgemm_numeric_fill_block_per_row_kernelILj1024ELj64ELj32768ELj137ELj32EiidEEvT5_PKS1_S3_NS_24const_host_device_scalarIT6_EEPKT4_S3_PKS5_S9_S3_SB_S6_S9_S3_SB_S9_S3_PS5_21rocsparse_index_base_SD_SD_SD_bbb.has_dyn_sized_stack, 0
	.set _ZN9rocsparseL41csrgemm_numeric_fill_block_per_row_kernelILj1024ELj64ELj32768ELj137ELj32EiidEEvT5_PKS1_S3_NS_24const_host_device_scalarIT6_EEPKT4_S3_PKS5_S9_S3_SB_S6_S9_S3_SB_S9_S3_PS5_21rocsparse_index_base_SD_SD_SD_bbb.has_recursion, 0
	.set _ZN9rocsparseL41csrgemm_numeric_fill_block_per_row_kernelILj1024ELj64ELj32768ELj137ELj32EiidEEvT5_PKS1_S3_NS_24const_host_device_scalarIT6_EEPKT4_S3_PKS5_S9_S3_SB_S6_S9_S3_SB_S9_S3_PS5_21rocsparse_index_base_SD_SD_SD_bbb.has_indirect_call, 0
	.section	.AMDGPU.csdata,"",@progbits
; Kernel info:
; codeLenInByte = 4720
; TotalNumSgprs: 76
; NumVgprs: 22
; ScratchSize: 0
; MemoryBound: 0
; FloatMode: 240
; IeeeMode: 1
; LDSByteSize: 0 bytes/workgroup (compile time only)
; SGPRBlocks: 0
; VGPRBlocks: 1
; NumSGPRsForWavesPerEU: 76
; NumVGPRsForWavesPerEU: 22
; NamedBarCnt: 0
; Occupancy: 16
; WaveLimiterHint : 1
; COMPUTE_PGM_RSRC2:SCRATCH_EN: 0
; COMPUTE_PGM_RSRC2:USER_SGPR: 2
; COMPUTE_PGM_RSRC2:TRAP_HANDLER: 0
; COMPUTE_PGM_RSRC2:TGID_X_EN: 1
; COMPUTE_PGM_RSRC2:TGID_Y_EN: 0
; COMPUTE_PGM_RSRC2:TGID_Z_EN: 0
; COMPUTE_PGM_RSRC2:TIDIG_COMP_CNT: 0
	.section	.text._ZN9rocsparseL41csrgemm_numeric_fill_block_per_row_kernelILj1024ELj64ELj32768ELj137ELj64EiidEEvT5_PKS1_S3_NS_24const_host_device_scalarIT6_EEPKT4_S3_PKS5_S9_S3_SB_S6_S9_S3_SB_S9_S3_PS5_21rocsparse_index_base_SD_SD_SD_bbb,"axG",@progbits,_ZN9rocsparseL41csrgemm_numeric_fill_block_per_row_kernelILj1024ELj64ELj32768ELj137ELj64EiidEEvT5_PKS1_S3_NS_24const_host_device_scalarIT6_EEPKT4_S3_PKS5_S9_S3_SB_S6_S9_S3_SB_S9_S3_PS5_21rocsparse_index_base_SD_SD_SD_bbb,comdat
	.globl	_ZN9rocsparseL41csrgemm_numeric_fill_block_per_row_kernelILj1024ELj64ELj32768ELj137ELj64EiidEEvT5_PKS1_S3_NS_24const_host_device_scalarIT6_EEPKT4_S3_PKS5_S9_S3_SB_S6_S9_S3_SB_S9_S3_PS5_21rocsparse_index_base_SD_SD_SD_bbb ; -- Begin function _ZN9rocsparseL41csrgemm_numeric_fill_block_per_row_kernelILj1024ELj64ELj32768ELj137ELj64EiidEEvT5_PKS1_S3_NS_24const_host_device_scalarIT6_EEPKT4_S3_PKS5_S9_S3_SB_S6_S9_S3_SB_S9_S3_PS5_21rocsparse_index_base_SD_SD_SD_bbb
	.p2align	8
	.type	_ZN9rocsparseL41csrgemm_numeric_fill_block_per_row_kernelILj1024ELj64ELj32768ELj137ELj64EiidEEvT5_PKS1_S3_NS_24const_host_device_scalarIT6_EEPKT4_S3_PKS5_S9_S3_SB_S6_S9_S3_SB_S9_S3_PS5_21rocsparse_index_base_SD_SD_SD_bbb,@function
_ZN9rocsparseL41csrgemm_numeric_fill_block_per_row_kernelILj1024ELj64ELj32768ELj137ELj64EiidEEvT5_PKS1_S3_NS_24const_host_device_scalarIT6_EEPKT4_S3_PKS5_S9_S3_SB_S6_S9_S3_SB_S9_S3_PS5_21rocsparse_index_base_SD_SD_SD_bbb: ; @_ZN9rocsparseL41csrgemm_numeric_fill_block_per_row_kernelILj1024ELj64ELj32768ELj137ELj64EiidEEvT5_PKS1_S3_NS_24const_host_device_scalarIT6_EEPKT4_S3_PKS5_S9_S3_SB_S6_S9_S3_SB_S9_S3_PS5_21rocsparse_index_base_SD_SD_SD_bbb
; %bb.0:
	s_clause 0x3
	s_load_b32 s14, s[0:1], 0x98
	s_load_b64 s[2:3], s[0:1], 0x18
	s_load_b128 s[16:19], s[0:1], 0x88
	s_load_b64 s[12:13], s[0:1], 0x50
	s_wait_kmcnt 0x0
	s_bitcmp1_b32 s14, 0
	s_cselect_b32 s35, -1, 0
	s_bitcmp1_b32 s14, 16
	s_cselect_b32 s15, -1, 0
	s_xor_b32 s4, s35, -1
	s_delay_alu instid0(SALU_CYCLE_1)
	s_or_b32 s6, s15, s4
	s_and_b32 s4, s35, exec_lo
	s_cselect_b32 s5, s3, 0
	s_cselect_b32 s4, s2, 0
	s_and_b32 vcc_lo, exec_lo, s6
	v_mov_b64_e32 v[4:5], s[4:5]
	s_cbranch_vccnz .LBB37_2
; %bb.1:
	v_mov_b32_e32 v1, 0
	flat_load_b64 v[4:5], v1, s[2:3]
.LBB37_2:
	s_clause 0x4
	s_load_b64 s[24:25], s[0:1], 0x80
	s_load_b128 s[4:7], s[0:1], 0x60
	s_load_b128 s[8:11], s[0:1], 0x40
	;; [unrolled: 1-line block ×3, first 2 shown]
	s_load_b64 s[2:3], s[0:1], 0x28
	s_bitcmp1_b32 s14, 8
	s_cselect_b32 s34, -1, 0
	s_delay_alu instid0(SALU_CYCLE_1) | instskip(NEXT) | instid1(SALU_CYCLE_1)
	s_xor_b32 s14, s34, -1
	s_or_b32 s26, s15, s14
	s_and_b32 s14, s34, exec_lo
	s_cselect_b32 s15, s13, 0
	s_cselect_b32 s14, s12, 0
	s_and_b32 vcc_lo, exec_lo, s26
	v_mov_b64_e32 v[2:3], s[14:15]
	s_cbranch_vccnz .LBB37_4
; %bb.3:
	v_mov_b32_e32 v1, 0
	flat_load_b64 v[2:3], v1, s[12:13]
.LBB37_4:
	s_clause 0x4
	s_load_b32 s33, s[0:1], 0x0
	s_load_b64 s[30:31], s[0:1], 0x20
	s_load_b64 s[26:27], s[0:1], 0x70
	;; [unrolled: 1-line block ×3, first 2 shown]
	s_load_b128 s[12:15], s[0:1], 0x30
	v_lshl_add_u32 v1, v0, 2, 0
	v_lshlrev_b32_e32 v6, 3, v0
	v_or_b32_e32 v13, 0xfffffc00, v0
	s_wait_xcnt 0x0
	s_mov_b32 s0, 0
	v_mov_b32_e32 v8, v1
	v_add3_u32 v12, v6, 0, 0x20000
	v_mov_b64_e32 v[6:7], 0
	s_delay_alu instid0(VALU_DEP_2)
	v_dual_mov_b32 v11, v13 :: v_dual_mov_b32 v9, v12
	s_wait_kmcnt 0x0
	v_mov_b32_e32 v10, s33
.LBB37_5:                               ; =>This Inner Loop Header: Depth=1
	s_delay_alu instid0(VALU_DEP_2)
	v_add_nc_u32_e32 v11, 0x400, v11
	ds_store_b32 v8, v10
	ds_store_b64 v9, v[6:7]
	v_add_nc_u32_e32 v9, 0x2000, v9
	v_add_nc_u32_e32 v8, 0x1000, v8
	v_cmp_lt_u32_e32 vcc_lo, 0x7bff, v11
	s_or_b32 s0, vcc_lo, s0
	s_delay_alu instid0(SALU_CYCLE_1)
	s_and_not1_b32 exec_lo, exec_lo, s0
	s_cbranch_execnz .LBB37_5
; %bb.6:
	s_or_b32 exec_lo, exec_lo, s0
	s_wait_loadcnt_dscnt 0x0
	s_barrier_signal -1
	s_barrier_wait -1
	s_load_b32 s0, s[20:21], 0x0
	s_bfe_u32 s1, ttmp6, 0x4000c
	s_wait_xcnt 0x0
	s_and_b32 s20, ttmp6, 15
	s_add_co_i32 s1, s1, 1
	s_getreg_b32 s21, hwreg(HW_REG_IB_STS2, 6, 4)
	s_mul_i32 s1, ttmp9, s1
	v_lshrrev_b32_e32 v14, 6, v0
	s_add_co_i32 s20, s20, s1
	s_cmp_eq_u32 s21, 0
	s_cselect_b32 s1, ttmp9, s20
	s_and_b32 vcc_lo, exec_lo, s35
	s_wait_kmcnt 0x0
	s_add_co_i32 s0, s0, s1
	s_load_b32 s20, s[22:23], s0 offset:0x0 scale_offset
	s_cbranch_vccz .LBB37_24
; %bb.7:
	s_wait_kmcnt 0x0
	s_ashr_i32 s21, s20, 31
	v_subrev_nc_u32_e32 v6, s16, v14
	s_lshl_b64 s[0:1], s[20:21], 2
	s_delay_alu instid0(SALU_CYCLE_1)
	s_add_nc_u64 s[0:1], s[30:31], s[0:1]
	s_load_b64 s[22:23], s[0:1], 0x0
	s_wait_xcnt 0x0
	s_mov_b32 s1, exec_lo
	s_wait_kmcnt 0x0
	v_add_nc_u32_e32 v6, s22, v6
	s_sub_co_i32 s0, s23, s16
	s_delay_alu instid0(VALU_DEP_1) | instid1(SALU_CYCLE_1)
	v_cmpx_gt_i32_e64 s0, v6
	s_cbranch_execz .LBB37_23
; %bb.8:
	v_and_b32_e32 v7, 63, v0
	s_mov_b32 s21, 0
	s_delay_alu instid0(VALU_DEP_1)
	v_subrev_nc_u32_e32 v15, s17, v7
	s_branch .LBB37_10
.LBB37_9:                               ;   in Loop: Header=BB37_10 Depth=1
	s_or_b32 exec_lo, exec_lo, s22
	v_add_nc_u32_e32 v6, 16, v6
	s_delay_alu instid0(VALU_DEP_1) | instskip(SKIP_1) | instid1(SALU_CYCLE_1)
	v_cmp_le_i32_e32 vcc_lo, s0, v6
	s_or_b32 s21, vcc_lo, s21
	s_and_not1_b32 exec_lo, exec_lo, s21
	s_cbranch_execz .LBB37_23
.LBB37_10:                              ; =>This Loop Header: Depth=1
                                        ;     Child Loop BB37_14 Depth 2
                                        ;       Child Loop BB37_17 Depth 3
	global_load_b32 v7, v6, s[2:3] scale_offset
	s_mov_b32 s22, exec_lo
	s_wait_loadcnt 0x0
	v_subrev_nc_u32_e32 v8, s16, v7
	s_delay_alu instid0(VALU_DEP_1) | instskip(NEXT) | instid1(VALU_DEP_1)
	v_ashrrev_i32_e32 v9, 31, v8
	v_lshl_add_u64 v[8:9], v[8:9], 2, s[14:15]
	global_load_b64 v[8:9], v[8:9], off
	s_wait_loadcnt 0x0
	v_subrev_nc_u32_e32 v16, s17, v9
	v_add_nc_u32_e32 v17, v8, v15
	s_wait_xcnt 0x0
	s_delay_alu instid0(VALU_DEP_1)
	v_cmpx_lt_i32_e64 v17, v16
	s_cbranch_execz .LBB37_9
; %bb.11:                               ;   in Loop: Header=BB37_10 Depth=1
	v_ashrrev_i32_e32 v7, 31, v6
	s_mov_b32 s23, 0
	s_delay_alu instid0(VALU_DEP_1)
	v_lshl_add_u64 v[8:9], v[6:7], 3, s[12:13]
	global_load_b64 v[8:9], v[8:9], off
	s_wait_loadcnt 0x0
	s_wait_xcnt 0x0
	v_mul_f64_e32 v[8:9], v[4:5], v[8:9]
	s_branch .LBB37_14
.LBB37_12:                              ;   in Loop: Header=BB37_14 Depth=2
	s_or_b32 exec_lo, exec_lo, s31
.LBB37_13:                              ;   in Loop: Header=BB37_14 Depth=2
	s_delay_alu instid0(SALU_CYCLE_1) | instskip(SKIP_3) | instid1(VALU_DEP_2)
	s_or_b32 exec_lo, exec_lo, s30
	s_wait_loadcnt 0x0
	v_dual_mul_f64 v[10:11], v[8:9], v[10:11] :: v_dual_add_nc_u32 v17, 64, v17
	v_lshlrev_b32_e32 v7, 3, v7
	v_cmp_ge_i32_e32 vcc_lo, v17, v16
	s_delay_alu instid0(VALU_DEP_2)
	v_add3_u32 v7, 0, v7, 0x20000
	s_or_b32 s23, vcc_lo, s23
	ds_add_f64 v7, v[10:11]
	s_and_not1_b32 exec_lo, exec_lo, s23
	s_cbranch_execz .LBB37_9
.LBB37_14:                              ;   Parent Loop BB37_10 Depth=1
                                        ; =>  This Loop Header: Depth=2
                                        ;       Child Loop BB37_17 Depth 3
	s_clause 0x1
	global_load_b32 v7, v17, s[8:9] scale_offset
	global_load_b64 v[10:11], v17, s[10:11] scale_offset
	s_mov_b32 s30, exec_lo
	s_wait_loadcnt 0x1
	v_subrev_nc_u32_e32 v18, s17, v7
	s_delay_alu instid0(VALU_DEP_1) | instskip(NEXT) | instid1(VALU_DEP_1)
	v_mul_lo_u32 v7, 0x89, v18
	v_and_b32_e32 v7, 0x7fff, v7
	s_delay_alu instid0(VALU_DEP_1)
	v_lshl_add_u32 v19, v7, 2, 0
	ds_load_b32 v20, v19
	s_wait_dscnt 0x0
	s_wait_xcnt 0x0
	v_cmpx_ne_u32_e64 v20, v18
	s_cbranch_execz .LBB37_13
; %bb.15:                               ;   in Loop: Header=BB37_14 Depth=2
	s_mov_b32 s31, 0
	s_branch .LBB37_17
.LBB37_16:                              ;   in Loop: Header=BB37_17 Depth=3
	s_or_b32 exec_lo, exec_lo, s37
	s_delay_alu instid0(SALU_CYCLE_1) | instskip(NEXT) | instid1(SALU_CYCLE_1)
	s_and_b32 s35, exec_lo, s36
	s_or_b32 s31, s35, s31
	s_delay_alu instid0(SALU_CYCLE_1)
	s_and_not1_b32 exec_lo, exec_lo, s31
	s_cbranch_execz .LBB37_12
.LBB37_17:                              ;   Parent Loop BB37_10 Depth=1
                                        ;     Parent Loop BB37_14 Depth=2
                                        ; =>    This Inner Loop Header: Depth=3
	s_mov_b32 s35, 0
	s_mov_b32 s36, exec_lo
	v_cmpx_ne_u32_e64 s33, v20
	s_xor_b32 s36, exec_lo, s36
	s_cbranch_execz .LBB37_19
; %bb.18:                               ;   in Loop: Header=BB37_17 Depth=3
	v_add_nc_u32_e32 v7, 1, v7
	s_mov_b32 s35, exec_lo
                                        ; implicit-def: $vgpr19
	s_delay_alu instid0(VALU_DEP_1)
	v_and_b32_e32 v7, 0x7fff, v7
	s_and_not1_saveexec_b32 s36, s36
	s_cbranch_execz .LBB37_21
	s_branch .LBB37_20
.LBB37_19:                              ;   in Loop: Header=BB37_17 Depth=3
	s_and_not1_saveexec_b32 s36, s36
	s_cbranch_execz .LBB37_21
.LBB37_20:                              ;   in Loop: Header=BB37_17 Depth=3
	v_mov_b32_e32 v20, s33
	s_and_not1_b32 s35, s35, exec_lo
	ds_cmpstore_rtn_b32 v19, v19, v18, v20
	s_wait_dscnt 0x0
	v_cmp_ne_u32_e32 vcc_lo, s33, v19
	s_and_b32 s37, vcc_lo, exec_lo
	s_delay_alu instid0(SALU_CYCLE_1)
	s_or_b32 s35, s35, s37
.LBB37_21:                              ;   in Loop: Header=BB37_17 Depth=3
	s_or_b32 exec_lo, exec_lo, s36
	s_mov_b32 s36, -1
                                        ; implicit-def: $vgpr19
                                        ; implicit-def: $vgpr20
	s_and_saveexec_b32 s37, s35
	s_cbranch_execz .LBB37_16
; %bb.22:                               ;   in Loop: Header=BB37_17 Depth=3
	v_lshl_add_u32 v19, v7, 2, 0
	ds_load_b32 v20, v19
	s_wait_dscnt 0x0
	v_cmp_eq_u32_e32 vcc_lo, v20, v18
	s_or_not1_b32 s36, vcc_lo, exec_lo
	s_branch .LBB37_16
.LBB37_23:
	s_or_b32 exec_lo, exec_lo, s1
.LBB37_24:
	s_delay_alu instid0(SALU_CYCLE_1)
	s_and_not1_b32 vcc_lo, exec_lo, s34
	s_cbranch_vccnz .LBB37_39
; %bb.25:
	s_wait_kmcnt 0x0
	s_ashr_i32 s21, s20, 31
	v_subrev_nc_u32_e32 v4, s19, v0
	s_lshl_b64 s[0:1], s[20:21], 2
	s_delay_alu instid0(SALU_CYCLE_1)
	s_add_nc_u64 s[0:1], s[28:29], s[0:1]
	s_load_b64 s[2:3], s[0:1], 0x0
	s_wait_xcnt 0x0
	s_mov_b32 s1, exec_lo
	s_wait_kmcnt 0x0
	v_add_nc_u32_e32 v6, s2, v4
	s_sub_co_i32 s0, s3, s19
	s_delay_alu instid0(VALU_DEP_1) | instid1(SALU_CYCLE_1)
	v_cmpx_gt_i32_e64 s0, v6
	s_cbranch_execz .LBB37_38
; %bb.26:
	s_mov_b32 s2, 0
	s_branch .LBB37_29
.LBB37_27:                              ;   in Loop: Header=BB37_29 Depth=1
	s_or_b32 exec_lo, exec_lo, s8
.LBB37_28:                              ;   in Loop: Header=BB37_29 Depth=1
	s_delay_alu instid0(SALU_CYCLE_1) | instskip(SKIP_3) | instid1(VALU_DEP_2)
	s_or_b32 exec_lo, exec_lo, s3
	s_wait_loadcnt 0x0
	v_dual_mul_f64 v[4:5], v[2:3], v[4:5] :: v_dual_lshlrev_b32 v7, 3, v7
	v_add_nc_u32_e32 v6, 0x400, v6
	v_add3_u32 v7, 0, v7, 0x20000
	s_delay_alu instid0(VALU_DEP_2)
	v_cmp_le_i32_e32 vcc_lo, s0, v6
	s_or_b32 s2, vcc_lo, s2
	ds_add_f64 v7, v[4:5]
	s_and_not1_b32 exec_lo, exec_lo, s2
	s_cbranch_execz .LBB37_38
.LBB37_29:                              ; =>This Loop Header: Depth=1
                                        ;     Child Loop BB37_32 Depth 2
	s_clause 0x1
	global_load_b32 v7, v6, s[4:5] scale_offset
	global_load_b64 v[4:5], v6, s[6:7] scale_offset
	s_mov_b32 s3, exec_lo
	s_wait_loadcnt 0x1
	v_subrev_nc_u32_e32 v8, s19, v7
	s_delay_alu instid0(VALU_DEP_1) | instskip(NEXT) | instid1(VALU_DEP_1)
	v_mul_lo_u32 v7, 0x89, v8
	v_and_b32_e32 v7, 0x7fff, v7
	s_delay_alu instid0(VALU_DEP_1)
	v_lshl_add_u32 v9, v7, 2, 0
	ds_load_b32 v10, v9
	s_wait_dscnt 0x0
	s_wait_xcnt 0x0
	v_cmpx_ne_u32_e64 v10, v8
	s_cbranch_execz .LBB37_28
; %bb.30:                               ;   in Loop: Header=BB37_29 Depth=1
	s_mov_b32 s8, 0
	s_branch .LBB37_32
.LBB37_31:                              ;   in Loop: Header=BB37_32 Depth=2
	s_or_b32 exec_lo, exec_lo, s11
	s_delay_alu instid0(SALU_CYCLE_1) | instskip(NEXT) | instid1(SALU_CYCLE_1)
	s_and_b32 s9, exec_lo, s10
	s_or_b32 s8, s9, s8
	s_delay_alu instid0(SALU_CYCLE_1)
	s_and_not1_b32 exec_lo, exec_lo, s8
	s_cbranch_execz .LBB37_27
.LBB37_32:                              ;   Parent Loop BB37_29 Depth=1
                                        ; =>  This Inner Loop Header: Depth=2
	s_mov_b32 s9, 0
	s_mov_b32 s10, exec_lo
	v_cmpx_ne_u32_e64 s33, v10
	s_xor_b32 s10, exec_lo, s10
	s_cbranch_execz .LBB37_34
; %bb.33:                               ;   in Loop: Header=BB37_32 Depth=2
	v_add_nc_u32_e32 v7, 1, v7
	s_mov_b32 s9, exec_lo
                                        ; implicit-def: $vgpr9
	s_delay_alu instid0(VALU_DEP_1)
	v_and_b32_e32 v7, 0x7fff, v7
	s_and_not1_saveexec_b32 s10, s10
	s_cbranch_execz .LBB37_36
	s_branch .LBB37_35
.LBB37_34:                              ;   in Loop: Header=BB37_32 Depth=2
	s_and_not1_saveexec_b32 s10, s10
	s_cbranch_execz .LBB37_36
.LBB37_35:                              ;   in Loop: Header=BB37_32 Depth=2
	v_mov_b32_e32 v10, s33
	s_and_not1_b32 s9, s9, exec_lo
	ds_cmpstore_rtn_b32 v9, v9, v8, v10
	s_wait_dscnt 0x0
	v_cmp_ne_u32_e32 vcc_lo, s33, v9
	s_and_b32 s11, vcc_lo, exec_lo
	s_delay_alu instid0(SALU_CYCLE_1)
	s_or_b32 s9, s9, s11
.LBB37_36:                              ;   in Loop: Header=BB37_32 Depth=2
	s_or_b32 exec_lo, exec_lo, s10
	s_mov_b32 s10, -1
                                        ; implicit-def: $vgpr9
                                        ; implicit-def: $vgpr10
	s_and_saveexec_b32 s11, s9
	s_cbranch_execz .LBB37_31
; %bb.37:                               ;   in Loop: Header=BB37_32 Depth=2
	v_lshl_add_u32 v9, v7, 2, 0
	ds_load_b32 v10, v9
	s_wait_dscnt 0x0
	v_cmp_eq_u32_e32 vcc_lo, v10, v8
	s_or_not1_b32 s10, vcc_lo, exec_lo
	s_branch .LBB37_31
.LBB37_38:
	s_or_b32 exec_lo, exec_lo, s1
.LBB37_39:
	v_mbcnt_lo_u32_b32 v2, -1, 0
	v_dual_mov_b32 v3, 0 :: v_dual_lshlrev_b32 v4, 2, v14
	s_add_co_i32 s36, 0, 0x6003c
	s_wait_xcnt 0x0
	v_cmp_lt_u32_e64 s0, 63, v0
	v_dual_mov_b32 v7, s36 :: v_dual_bitop2_b32 v2, 31, v2 bitop3:0x14
	v_add3_u32 v6, 0x60000, 0, v4
	v_cmp_lt_u32_e64 s1, 0x7f, v0
	v_cmp_lt_u32_e64 s2, 0xbf, v0
	s_delay_alu instid0(VALU_DEP_4)
	v_lshrrev_b32_e64 v2, v2, -1
	v_cmp_lt_u32_e64 s3, 0xff, v0
	v_cmp_lt_u32_e64 s4, 0x13f, v0
	;; [unrolled: 1-line block ×12, first 2 shown]
	s_mov_b32 s16, 0
	s_add_co_i32 s17, 0, 0x60000
	s_add_co_i32 s19, 0, 0x60004
	;; [unrolled: 1-line block ×15, first 2 shown]
	s_wait_dscnt 0x0
	s_barrier_signal -1
	s_barrier_wait -1
	v_cmp_eq_u32_e32 vcc_lo, 0x3ff, v0
	s_branch .LBB37_41
.LBB37_40:                              ;   in Loop: Header=BB37_41 Depth=1
	s_or_b32 exec_lo, exec_lo, s15
	s_wait_dscnt 0x0
	s_barrier_signal -1
	s_barrier_wait -1
	ds_load_b32 v4, v7
	v_add_nc_u32_e32 v13, 0x400, v13
	v_add_nc_u32_e32 v12, 0x2000, v12
	;; [unrolled: 1-line block ×3, first 2 shown]
	s_delay_alu instid0(VALU_DEP_3)
	v_cmp_lt_u32_e64 s15, 0x7bff, v13
	s_or_b32 s16, s15, s16
	s_wait_dscnt 0x0
	v_add_nc_u32_e32 v3, v4, v3
	s_and_not1_b32 exec_lo, exec_lo, s16
	s_cbranch_execz .LBB37_75
.LBB37_41:                              ; =>This Inner Loop Header: Depth=1
	ds_load_b32 v8, v1
	ds_load_b64 v[4:5], v12
	s_wait_dscnt 0x0
	s_barrier_signal -1
	s_barrier_wait -1
	v_cmp_gt_i32_e64 s15, s33, v8
	s_bcnt1_i32_b32 s41, s15
	s_delay_alu instid0(SALU_CYCLE_1) | instskip(NEXT) | instid1(VALU_DEP_1)
	v_dual_mov_b32 v10, s41 :: v_dual_bitop2_b32 v9, s15, v2 bitop3:0x40
	v_bcnt_u32_b32 v9, v9, 0
	ds_store_b32 v6, v10
	s_wait_dscnt 0x0
	s_barrier_signal -1
	s_barrier_wait -1
	s_and_saveexec_b32 s41, s0
	s_cbranch_execz .LBB37_58
; %bb.42:                               ;   in Loop: Header=BB37_41 Depth=1
	v_mov_b32_e32 v10, s17
	ds_load_b32 v10, v10
	s_wait_dscnt 0x0
	v_add_nc_u32_e32 v9, v10, v9
	s_or_b32 exec_lo, exec_lo, s41
	s_and_saveexec_b32 s41, s1
	s_cbranch_execnz .LBB37_59
.LBB37_43:                              ;   in Loop: Header=BB37_41 Depth=1
	s_or_b32 exec_lo, exec_lo, s41
	s_and_saveexec_b32 s41, s2
	s_cbranch_execz .LBB37_60
.LBB37_44:                              ;   in Loop: Header=BB37_41 Depth=1
	v_mov_b32_e32 v10, s21
	ds_load_b32 v10, v10
	s_wait_dscnt 0x0
	v_add_nc_u32_e32 v9, v10, v9
	s_or_b32 exec_lo, exec_lo, s41
	s_and_saveexec_b32 s41, s3
	s_cbranch_execnz .LBB37_61
.LBB37_45:                              ;   in Loop: Header=BB37_41 Depth=1
	s_or_b32 exec_lo, exec_lo, s41
	s_and_saveexec_b32 s41, s4
	s_cbranch_execz .LBB37_62
.LBB37_46:                              ;   in Loop: Header=BB37_41 Depth=1
	v_mov_b32_e32 v10, s23
	ds_load_b32 v10, v10
	s_wait_dscnt 0x0
	v_add_nc_u32_e32 v9, v10, v9
	s_or_b32 exec_lo, exec_lo, s41
	s_and_saveexec_b32 s41, s5
	s_cbranch_execnz .LBB37_63
.LBB37_47:                              ;   in Loop: Header=BB37_41 Depth=1
	s_or_b32 exec_lo, exec_lo, s41
	s_and_saveexec_b32 s41, s6
	s_cbranch_execz .LBB37_64
.LBB37_48:                              ;   in Loop: Header=BB37_41 Depth=1
	v_mov_b32_e32 v10, s29
	ds_load_b32 v10, v10
	s_wait_dscnt 0x0
	v_add_nc_u32_e32 v9, v10, v9
	s_or_b32 exec_lo, exec_lo, s41
	s_and_saveexec_b32 s41, s7
	s_cbranch_execnz .LBB37_65
.LBB37_49:                              ;   in Loop: Header=BB37_41 Depth=1
	s_or_b32 exec_lo, exec_lo, s41
	s_and_saveexec_b32 s41, s8
	s_cbranch_execz .LBB37_66
.LBB37_50:                              ;   in Loop: Header=BB37_41 Depth=1
	v_mov_b32_e32 v10, s31
	ds_load_b32 v10, v10
	s_wait_dscnt 0x0
	v_add_nc_u32_e32 v9, v10, v9
	s_or_b32 exec_lo, exec_lo, s41
	s_and_saveexec_b32 s41, s9
	s_cbranch_execnz .LBB37_67
.LBB37_51:                              ;   in Loop: Header=BB37_41 Depth=1
	s_or_b32 exec_lo, exec_lo, s41
	s_and_saveexec_b32 s41, s10
	s_cbranch_execz .LBB37_68
.LBB37_52:                              ;   in Loop: Header=BB37_41 Depth=1
	v_mov_b32_e32 v10, s35
	ds_load_b32 v10, v10
	s_wait_dscnt 0x0
	v_add_nc_u32_e32 v9, v10, v9
	s_or_b32 exec_lo, exec_lo, s41
	s_and_saveexec_b32 s41, s11
	s_cbranch_execnz .LBB37_69
.LBB37_53:                              ;   in Loop: Header=BB37_41 Depth=1
	s_or_b32 exec_lo, exec_lo, s41
	s_and_saveexec_b32 s41, s12
	s_cbranch_execz .LBB37_70
.LBB37_54:                              ;   in Loop: Header=BB37_41 Depth=1
	v_mov_b32_e32 v10, s38
	ds_load_b32 v10, v10
	s_wait_dscnt 0x0
	v_add_nc_u32_e32 v9, v10, v9
	s_or_b32 exec_lo, exec_lo, s41
	s_and_saveexec_b32 s41, s13
	s_cbranch_execnz .LBB37_71
.LBB37_55:                              ;   in Loop: Header=BB37_41 Depth=1
	s_or_b32 exec_lo, exec_lo, s41
	s_and_saveexec_b32 s41, s14
	s_cbranch_execz .LBB37_72
.LBB37_56:                              ;   in Loop: Header=BB37_41 Depth=1
	v_mov_b32_e32 v10, s40
	ds_load_b32 v10, v10
	s_wait_dscnt 0x0
	v_add_nc_u32_e32 v9, v10, v9
	s_or_b32 exec_lo, exec_lo, s41
	s_and_saveexec_b32 s41, s15
	s_cbranch_execnz .LBB37_73
.LBB37_57:                              ;   in Loop: Header=BB37_41 Depth=1
	s_or_b32 exec_lo, exec_lo, s41
	s_and_saveexec_b32 s15, vcc_lo
	s_cbranch_execz .LBB37_40
	s_branch .LBB37_74
.LBB37_58:                              ;   in Loop: Header=BB37_41 Depth=1
	s_or_b32 exec_lo, exec_lo, s41
	s_and_saveexec_b32 s41, s1
	s_cbranch_execz .LBB37_43
.LBB37_59:                              ;   in Loop: Header=BB37_41 Depth=1
	v_mov_b32_e32 v10, s19
	ds_load_b32 v10, v10
	s_wait_dscnt 0x0
	v_add_nc_u32_e32 v9, v10, v9
	s_or_b32 exec_lo, exec_lo, s41
	s_and_saveexec_b32 s41, s2
	s_cbranch_execnz .LBB37_44
.LBB37_60:                              ;   in Loop: Header=BB37_41 Depth=1
	s_or_b32 exec_lo, exec_lo, s41
	s_and_saveexec_b32 s41, s3
	s_cbranch_execz .LBB37_45
.LBB37_61:                              ;   in Loop: Header=BB37_41 Depth=1
	v_mov_b32_e32 v10, s22
	ds_load_b32 v10, v10
	s_wait_dscnt 0x0
	v_add_nc_u32_e32 v9, v10, v9
	s_or_b32 exec_lo, exec_lo, s41
	s_and_saveexec_b32 s41, s4
	s_cbranch_execnz .LBB37_46
.LBB37_62:                              ;   in Loop: Header=BB37_41 Depth=1
	s_or_b32 exec_lo, exec_lo, s41
	s_and_saveexec_b32 s41, s5
	s_cbranch_execz .LBB37_47
.LBB37_63:                              ;   in Loop: Header=BB37_41 Depth=1
	v_mov_b32_e32 v10, s28
	ds_load_b32 v10, v10
	s_wait_dscnt 0x0
	v_add_nc_u32_e32 v9, v10, v9
	s_or_b32 exec_lo, exec_lo, s41
	s_and_saveexec_b32 s41, s6
	s_cbranch_execnz .LBB37_48
.LBB37_64:                              ;   in Loop: Header=BB37_41 Depth=1
	s_or_b32 exec_lo, exec_lo, s41
	s_and_saveexec_b32 s41, s7
	s_cbranch_execz .LBB37_49
.LBB37_65:                              ;   in Loop: Header=BB37_41 Depth=1
	v_mov_b32_e32 v10, s30
	ds_load_b32 v10, v10
	s_wait_dscnt 0x0
	v_add_nc_u32_e32 v9, v10, v9
	s_or_b32 exec_lo, exec_lo, s41
	s_and_saveexec_b32 s41, s8
	s_cbranch_execnz .LBB37_50
.LBB37_66:                              ;   in Loop: Header=BB37_41 Depth=1
	s_or_b32 exec_lo, exec_lo, s41
	s_and_saveexec_b32 s41, s9
	s_cbranch_execz .LBB37_51
.LBB37_67:                              ;   in Loop: Header=BB37_41 Depth=1
	v_mov_b32_e32 v10, s34
	ds_load_b32 v10, v10
	s_wait_dscnt 0x0
	v_add_nc_u32_e32 v9, v10, v9
	s_or_b32 exec_lo, exec_lo, s41
	s_and_saveexec_b32 s41, s10
	s_cbranch_execnz .LBB37_52
.LBB37_68:                              ;   in Loop: Header=BB37_41 Depth=1
	s_or_b32 exec_lo, exec_lo, s41
	s_and_saveexec_b32 s41, s11
	s_cbranch_execz .LBB37_53
.LBB37_69:                              ;   in Loop: Header=BB37_41 Depth=1
	v_mov_b32_e32 v10, s37
	ds_load_b32 v10, v10
	s_wait_dscnt 0x0
	v_add_nc_u32_e32 v9, v10, v9
	s_or_b32 exec_lo, exec_lo, s41
	s_and_saveexec_b32 s41, s12
	s_cbranch_execnz .LBB37_54
.LBB37_70:                              ;   in Loop: Header=BB37_41 Depth=1
	s_or_b32 exec_lo, exec_lo, s41
	s_and_saveexec_b32 s41, s13
	s_cbranch_execz .LBB37_55
.LBB37_71:                              ;   in Loop: Header=BB37_41 Depth=1
	v_mov_b32_e32 v10, s39
	ds_load_b32 v10, v10
	s_wait_dscnt 0x0
	v_add_nc_u32_e32 v9, v10, v9
	s_or_b32 exec_lo, exec_lo, s41
	s_and_saveexec_b32 s41, s14
	s_cbranch_execnz .LBB37_56
.LBB37_72:                              ;   in Loop: Header=BB37_41 Depth=1
	s_or_b32 exec_lo, exec_lo, s41
	s_and_saveexec_b32 s41, s15
	s_cbranch_execz .LBB37_57
.LBB37_73:                              ;   in Loop: Header=BB37_41 Depth=1
	s_delay_alu instid0(VALU_DEP_1) | instskip(NEXT) | instid1(VALU_DEP_1)
	v_add3_u32 v10, v3, -1, v9
	v_lshlrev_b32_e32 v11, 3, v10
	v_lshl_add_u32 v10, v10, 2, 0
	s_delay_alu instid0(VALU_DEP_2)
	v_add3_u32 v11, 0, v11, 0x20000
	ds_store_b32 v10, v8
	ds_store_b64 v11, v[4:5]
	s_or_b32 exec_lo, exec_lo, s41
	s_and_saveexec_b32 s15, vcc_lo
	s_cbranch_execz .LBB37_40
.LBB37_74:                              ;   in Loop: Header=BB37_41 Depth=1
	v_mov_b32_e32 v4, s36
	ds_store_b32 v4, v9
	s_branch .LBB37_40
.LBB37_75:
	s_or_b32 exec_lo, exec_lo, s16
	s_wait_kmcnt 0x0
	s_ashr_i32 s21, s20, 31
	s_delay_alu instid0(SALU_CYCLE_1) | instskip(NEXT) | instid1(SALU_CYCLE_1)
	s_lshl_b64 s[0:1], s[20:21], 2
	s_add_nc_u64 s[2:3], s[26:27], s[0:1]
	s_load_b64 s[0:1], s[2:3], 0x0
	s_wait_kmcnt 0x0
	s_sub_co_i32 s4, s1, s0
	s_mov_b32 s1, exec_lo
	v_cmpx_gt_i32_e64 s4, v0
	s_cbranch_execz .LBB37_89
; %bb.76:
	v_sub_co_u32 v1, s1, s4, 2
	s_sub_co_i32 s2, s0, s18
	s_xor_b32 s6, s1, -1
	s_and_b32 s5, s4, -2
	v_readfirstlane_b32 s3, v1
	s_lshr_b32 s0, s3, 1
	s_mov_b32 s3, 0
	s_add_co_i32 s0, s0, 1
	s_mov_b32 s11, s3
	s_and_b32 s1, s0, 7
	s_and_b32 s7, s0, -8
	s_cmp_lg_u32 s1, 0
	v_cmp_lt_u32_e64 s0, 13, v1
	s_cselect_b32 s8, -1, 0
	s_cmp_lg_u32 s4, s5
	s_cselect_b32 s9, -1, 0
	s_lshl_b32 s10, s1, 3
	s_branch .LBB37_78
.LBB37_77:                              ;   in Loop: Header=BB37_78 Depth=1
	v_add_nc_u32_e32 v0, 0x400, v0
	s_wait_dscnt 0x0
	global_store_b64 v4, v[2:3], s[24:25] scale_offset
	v_cmp_le_i32_e32 vcc_lo, s4, v0
	s_or_b32 s11, vcc_lo, s11
	s_wait_xcnt 0x0
	s_and_not1_b32 exec_lo, exec_lo, s11
	s_cbranch_execz .LBB37_89
.LBB37_78:                              ; =>This Loop Header: Depth=1
                                        ;     Child Loop BB37_81 Depth 2
                                        ;     Child Loop BB37_84 Depth 2
	;; [unrolled: 1-line block ×3, first 2 shown]
	v_dual_mov_b32 v4, s2 :: v_dual_lshlrev_b32 v1, 3, v0
	v_lshl_add_u32 v2, v0, 2, 0
	s_and_not1_b32 vcc_lo, exec_lo, s6
	s_mov_b32 s1, 0
	s_delay_alu instid0(VALU_DEP_2)
	v_add3_u32 v3, 0, v1, 0x20000
	s_mov_b32 s12, -1
	ds_load_b32 v1, v2
	ds_load_b64 v[2:3], v3
	s_cbranch_vccnz .LBB37_86
; %bb.79:                               ;   in Loop: Header=BB37_78 Depth=1
	v_mov_b64_e32 v[4:5], s[2:3]
	s_and_not1_b32 vcc_lo, exec_lo, s0
	s_mov_b32 s12, 0
	s_cbranch_vccnz .LBB37_82
; %bb.80:                               ;   in Loop: Header=BB37_78 Depth=1
	v_dual_mov_b32 v4, s2 :: v_dual_mov_b32 v5, 0
	s_mov_b32 s13, 0
	s_mov_b32 s14, s7
.LBB37_81:                              ;   Parent Loop BB37_78 Depth=1
                                        ; =>  This Inner Loop Header: Depth=2
	v_mov_b32_e32 v20, s13
	s_add_co_i32 s14, s14, -8
	s_add_co_i32 s12, s12, 16
	s_add_co_i32 s13, s13, 64
	s_cmp_lg_u32 s14, 0
	ds_load_2addr_b32 v[6:7], v20 offset1:1
	ds_load_2addr_b32 v[8:9], v20 offset0:2 offset1:3
	ds_load_2addr_b32 v[10:11], v20 offset0:4 offset1:5
	;; [unrolled: 1-line block ×7, first 2 shown]
	s_wait_dscnt 0x7
	v_cmp_gt_i32_e32 vcc_lo, v1, v7
	s_wait_dscnt 0x5
	v_cmp_gt_i32_e64 s1, v1, v10
	v_cndmask_b32_e64 v7, 0, 1, vcc_lo
	v_cmp_gt_i32_e32 vcc_lo, v1, v6
	v_cndmask_b32_e64 v6, 0, 1, vcc_lo
	v_cmp_gt_i32_e32 vcc_lo, v1, v8
	v_cndmask_b32_e64 v8, 0, 1, s1
	v_cmp_gt_i32_e64 s1, v1, v11
	s_delay_alu instid0(VALU_DEP_4) | instskip(NEXT) | instid1(VALU_DEP_2)
	v_add_co_ci_u32_e64 v4, null, v4, v6, vcc_lo
	v_cndmask_b32_e64 v10, 0, 1, s1
	s_wait_dscnt 0x4
	v_cmp_gt_i32_e64 s1, v1, v13
	s_wait_dscnt 0x2
	v_cmp_gt_i32_e32 vcc_lo, v1, v16
	s_delay_alu instid0(VALU_DEP_2) | instskip(SKIP_4) | instid1(VALU_DEP_3)
	v_cndmask_b32_e64 v11, 0, 1, s1
	v_cmp_gt_i32_e64 s1, v1, v12
	v_add_co_ci_u32_e64 v4, null, v4, v8, vcc_lo
	s_wait_dscnt 0x1
	v_cmp_gt_i32_e32 vcc_lo, v1, v18
	v_cndmask_b32_e64 v12, 0, 1, s1
	v_cmp_gt_i32_e64 s1, v1, v14
	s_delay_alu instid0(VALU_DEP_2) | instskip(NEXT) | instid1(VALU_DEP_2)
	v_add_co_ci_u32_e64 v4, null, v4, v12, vcc_lo
	v_cndmask_b32_e64 v13, 0, 1, s1
	v_cmp_gt_i32_e64 s1, v1, v15
	s_wait_dscnt 0x0
	v_cmp_gt_i32_e32 vcc_lo, v1, v20
	s_delay_alu instid0(VALU_DEP_2) | instskip(SKIP_2) | instid1(VALU_DEP_2)
	v_cndmask_b32_e64 v14, 0, 1, s1
	v_cmp_gt_i32_e64 s1, v1, v9
	v_add_co_ci_u32_e64 v4, null, v4, v13, vcc_lo
	v_add_co_ci_u32_e64 v5, null, v5, v7, s1
	v_cmp_gt_i32_e64 s1, v1, v17
	s_delay_alu instid0(VALU_DEP_1) | instskip(SKIP_1) | instid1(VALU_DEP_1)
	v_add_co_ci_u32_e64 v5, null, v5, v10, s1
	v_cmp_gt_i32_e64 s1, v1, v19
	v_add_co_ci_u32_e64 v5, null, v5, v11, s1
	v_cmp_gt_i32_e64 s1, v1, v21
	s_delay_alu instid0(VALU_DEP_1)
	v_add_co_ci_u32_e64 v5, null, v5, v14, s1
	s_cbranch_scc1 .LBB37_81
.LBB37_82:                              ;   in Loop: Header=BB37_78 Depth=1
	s_and_not1_b32 vcc_lo, exec_lo, s8
	s_cbranch_vccnz .LBB37_85
; %bb.83:                               ;   in Loop: Header=BB37_78 Depth=1
	s_lshl_b32 s1, s12, 2
	s_mov_b32 s12, s10
	s_add_co_i32 s1, s1, 0
.LBB37_84:                              ;   Parent Loop BB37_78 Depth=1
                                        ; =>  This Inner Loop Header: Depth=2
	s_delay_alu instid0(SALU_CYCLE_1)
	v_mov_b32_e32 v6, s1
	s_add_co_i32 s12, s12, -8
	s_add_co_i32 s1, s1, 8
	s_cmp_lg_u32 s12, 0
	ds_load_2addr_b32 v[6:7], v6 offset1:1
	s_wait_dscnt 0x0
	v_cmp_gt_i32_e32 vcc_lo, v1, v7
	v_add_co_ci_u32_e64 v5, null, 0, v5, vcc_lo
	v_cmp_gt_i32_e32 vcc_lo, v1, v6
	v_add_co_ci_u32_e64 v4, null, 0, v4, vcc_lo
	s_cbranch_scc1 .LBB37_84
.LBB37_85:                              ;   in Loop: Header=BB37_78 Depth=1
	s_delay_alu instid0(VALU_DEP_1)
	v_add_nc_u32_e32 v4, v4, v5
	s_mov_b32 s1, s5
	s_mov_b32 s12, s9
.LBB37_86:                              ;   in Loop: Header=BB37_78 Depth=1
	s_delay_alu instid0(SALU_CYCLE_1)
	s_and_b32 vcc_lo, exec_lo, s12
	s_cbranch_vccz .LBB37_77
; %bb.87:                               ;   in Loop: Header=BB37_78 Depth=1
	s_lshl_b32 s12, s1, 2
	s_delay_alu instid0(SALU_CYCLE_1)
	s_add_co_i32 s12, s12, 0
.LBB37_88:                              ;   Parent Loop BB37_78 Depth=1
                                        ; =>  This Inner Loop Header: Depth=2
	s_delay_alu instid0(SALU_CYCLE_1)
	v_mov_b32_e32 v5, s12
	s_add_co_i32 s1, s1, 1
	s_add_co_i32 s12, s12, 4
	s_cmp_ge_i32 s1, s4
	ds_load_b32 v5, v5
	s_wait_dscnt 0x0
	v_cmp_gt_i32_e32 vcc_lo, v1, v5
	v_add_co_ci_u32_e64 v4, null, 0, v4, vcc_lo
	s_cbranch_scc0 .LBB37_88
	s_branch .LBB37_77
.LBB37_89:
	s_endpgm
	.section	.rodata,"a",@progbits
	.p2align	6, 0x0
	.amdhsa_kernel _ZN9rocsparseL41csrgemm_numeric_fill_block_per_row_kernelILj1024ELj64ELj32768ELj137ELj64EiidEEvT5_PKS1_S3_NS_24const_host_device_scalarIT6_EEPKT4_S3_PKS5_S9_S3_SB_S6_S9_S3_SB_S9_S3_PS5_21rocsparse_index_base_SD_SD_SD_bbb
		.amdhsa_group_segment_fixed_size 0
		.amdhsa_private_segment_fixed_size 0
		.amdhsa_kernarg_size 156
		.amdhsa_user_sgpr_count 2
		.amdhsa_user_sgpr_dispatch_ptr 0
		.amdhsa_user_sgpr_queue_ptr 0
		.amdhsa_user_sgpr_kernarg_segment_ptr 1
		.amdhsa_user_sgpr_dispatch_id 0
		.amdhsa_user_sgpr_kernarg_preload_length 0
		.amdhsa_user_sgpr_kernarg_preload_offset 0
		.amdhsa_user_sgpr_private_segment_size 0
		.amdhsa_wavefront_size32 1
		.amdhsa_uses_dynamic_stack 0
		.amdhsa_enable_private_segment 0
		.amdhsa_system_sgpr_workgroup_id_x 1
		.amdhsa_system_sgpr_workgroup_id_y 0
		.amdhsa_system_sgpr_workgroup_id_z 0
		.amdhsa_system_sgpr_workgroup_info 0
		.amdhsa_system_vgpr_workitem_id 0
		.amdhsa_next_free_vgpr 22
		.amdhsa_next_free_sgpr 42
		.amdhsa_named_barrier_count 0
		.amdhsa_reserve_vcc 1
		.amdhsa_float_round_mode_32 0
		.amdhsa_float_round_mode_16_64 0
		.amdhsa_float_denorm_mode_32 3
		.amdhsa_float_denorm_mode_16_64 3
		.amdhsa_fp16_overflow 0
		.amdhsa_memory_ordered 1
		.amdhsa_forward_progress 1
		.amdhsa_inst_pref_size 29
		.amdhsa_round_robin_scheduling 0
		.amdhsa_exception_fp_ieee_invalid_op 0
		.amdhsa_exception_fp_denorm_src 0
		.amdhsa_exception_fp_ieee_div_zero 0
		.amdhsa_exception_fp_ieee_overflow 0
		.amdhsa_exception_fp_ieee_underflow 0
		.amdhsa_exception_fp_ieee_inexact 0
		.amdhsa_exception_int_div_zero 0
	.end_amdhsa_kernel
	.section	.text._ZN9rocsparseL41csrgemm_numeric_fill_block_per_row_kernelILj1024ELj64ELj32768ELj137ELj64EiidEEvT5_PKS1_S3_NS_24const_host_device_scalarIT6_EEPKT4_S3_PKS5_S9_S3_SB_S6_S9_S3_SB_S9_S3_PS5_21rocsparse_index_base_SD_SD_SD_bbb,"axG",@progbits,_ZN9rocsparseL41csrgemm_numeric_fill_block_per_row_kernelILj1024ELj64ELj32768ELj137ELj64EiidEEvT5_PKS1_S3_NS_24const_host_device_scalarIT6_EEPKT4_S3_PKS5_S9_S3_SB_S6_S9_S3_SB_S9_S3_PS5_21rocsparse_index_base_SD_SD_SD_bbb,comdat
.Lfunc_end37:
	.size	_ZN9rocsparseL41csrgemm_numeric_fill_block_per_row_kernelILj1024ELj64ELj32768ELj137ELj64EiidEEvT5_PKS1_S3_NS_24const_host_device_scalarIT6_EEPKT4_S3_PKS5_S9_S3_SB_S6_S9_S3_SB_S9_S3_PS5_21rocsparse_index_base_SD_SD_SD_bbb, .Lfunc_end37-_ZN9rocsparseL41csrgemm_numeric_fill_block_per_row_kernelILj1024ELj64ELj32768ELj137ELj64EiidEEvT5_PKS1_S3_NS_24const_host_device_scalarIT6_EEPKT4_S3_PKS5_S9_S3_SB_S6_S9_S3_SB_S9_S3_PS5_21rocsparse_index_base_SD_SD_SD_bbb
                                        ; -- End function
	.set _ZN9rocsparseL41csrgemm_numeric_fill_block_per_row_kernelILj1024ELj64ELj32768ELj137ELj64EiidEEvT5_PKS1_S3_NS_24const_host_device_scalarIT6_EEPKT4_S3_PKS5_S9_S3_SB_S6_S9_S3_SB_S9_S3_PS5_21rocsparse_index_base_SD_SD_SD_bbb.num_vgpr, 22
	.set _ZN9rocsparseL41csrgemm_numeric_fill_block_per_row_kernelILj1024ELj64ELj32768ELj137ELj64EiidEEvT5_PKS1_S3_NS_24const_host_device_scalarIT6_EEPKT4_S3_PKS5_S9_S3_SB_S6_S9_S3_SB_S9_S3_PS5_21rocsparse_index_base_SD_SD_SD_bbb.num_agpr, 0
	.set _ZN9rocsparseL41csrgemm_numeric_fill_block_per_row_kernelILj1024ELj64ELj32768ELj137ELj64EiidEEvT5_PKS1_S3_NS_24const_host_device_scalarIT6_EEPKT4_S3_PKS5_S9_S3_SB_S6_S9_S3_SB_S9_S3_PS5_21rocsparse_index_base_SD_SD_SD_bbb.numbered_sgpr, 42
	.set _ZN9rocsparseL41csrgemm_numeric_fill_block_per_row_kernelILj1024ELj64ELj32768ELj137ELj64EiidEEvT5_PKS1_S3_NS_24const_host_device_scalarIT6_EEPKT4_S3_PKS5_S9_S3_SB_S6_S9_S3_SB_S9_S3_PS5_21rocsparse_index_base_SD_SD_SD_bbb.num_named_barrier, 0
	.set _ZN9rocsparseL41csrgemm_numeric_fill_block_per_row_kernelILj1024ELj64ELj32768ELj137ELj64EiidEEvT5_PKS1_S3_NS_24const_host_device_scalarIT6_EEPKT4_S3_PKS5_S9_S3_SB_S6_S9_S3_SB_S9_S3_PS5_21rocsparse_index_base_SD_SD_SD_bbb.private_seg_size, 0
	.set _ZN9rocsparseL41csrgemm_numeric_fill_block_per_row_kernelILj1024ELj64ELj32768ELj137ELj64EiidEEvT5_PKS1_S3_NS_24const_host_device_scalarIT6_EEPKT4_S3_PKS5_S9_S3_SB_S6_S9_S3_SB_S9_S3_PS5_21rocsparse_index_base_SD_SD_SD_bbb.uses_vcc, 1
	.set _ZN9rocsparseL41csrgemm_numeric_fill_block_per_row_kernelILj1024ELj64ELj32768ELj137ELj64EiidEEvT5_PKS1_S3_NS_24const_host_device_scalarIT6_EEPKT4_S3_PKS5_S9_S3_SB_S6_S9_S3_SB_S9_S3_PS5_21rocsparse_index_base_SD_SD_SD_bbb.uses_flat_scratch, 0
	.set _ZN9rocsparseL41csrgemm_numeric_fill_block_per_row_kernelILj1024ELj64ELj32768ELj137ELj64EiidEEvT5_PKS1_S3_NS_24const_host_device_scalarIT6_EEPKT4_S3_PKS5_S9_S3_SB_S6_S9_S3_SB_S9_S3_PS5_21rocsparse_index_base_SD_SD_SD_bbb.has_dyn_sized_stack, 0
	.set _ZN9rocsparseL41csrgemm_numeric_fill_block_per_row_kernelILj1024ELj64ELj32768ELj137ELj64EiidEEvT5_PKS1_S3_NS_24const_host_device_scalarIT6_EEPKT4_S3_PKS5_S9_S3_SB_S6_S9_S3_SB_S9_S3_PS5_21rocsparse_index_base_SD_SD_SD_bbb.has_recursion, 0
	.set _ZN9rocsparseL41csrgemm_numeric_fill_block_per_row_kernelILj1024ELj64ELj32768ELj137ELj64EiidEEvT5_PKS1_S3_NS_24const_host_device_scalarIT6_EEPKT4_S3_PKS5_S9_S3_SB_S6_S9_S3_SB_S9_S3_PS5_21rocsparse_index_base_SD_SD_SD_bbb.has_indirect_call, 0
	.section	.AMDGPU.csdata,"",@progbits
; Kernel info:
; codeLenInByte = 3700
; TotalNumSgprs: 44
; NumVgprs: 22
; ScratchSize: 0
; MemoryBound: 0
; FloatMode: 240
; IeeeMode: 1
; LDSByteSize: 0 bytes/workgroup (compile time only)
; SGPRBlocks: 0
; VGPRBlocks: 1
; NumSGPRsForWavesPerEU: 44
; NumVGPRsForWavesPerEU: 22
; NamedBarCnt: 0
; Occupancy: 16
; WaveLimiterHint : 1
; COMPUTE_PGM_RSRC2:SCRATCH_EN: 0
; COMPUTE_PGM_RSRC2:USER_SGPR: 2
; COMPUTE_PGM_RSRC2:TRAP_HANDLER: 0
; COMPUTE_PGM_RSRC2:TGID_X_EN: 1
; COMPUTE_PGM_RSRC2:TGID_Y_EN: 0
; COMPUTE_PGM_RSRC2:TGID_Z_EN: 0
; COMPUTE_PGM_RSRC2:TIDIG_COMP_CNT: 0
	.section	.text._ZN9rocsparseL51csrgemm_numeric_fill_block_per_row_multipass_kernelILj512ELj16ELj2048ELj32EiidEEvT4_PKS1_S3_NS_24const_host_device_scalarIT5_EEPKT3_S3_PKS5_S9_S3_SB_S6_S9_S3_SB_S9_S3_PS5_PS7_21rocsparse_index_base_SE_SE_SE_bbb,"axG",@progbits,_ZN9rocsparseL51csrgemm_numeric_fill_block_per_row_multipass_kernelILj512ELj16ELj2048ELj32EiidEEvT4_PKS1_S3_NS_24const_host_device_scalarIT5_EEPKT3_S3_PKS5_S9_S3_SB_S6_S9_S3_SB_S9_S3_PS5_PS7_21rocsparse_index_base_SE_SE_SE_bbb,comdat
	.globl	_ZN9rocsparseL51csrgemm_numeric_fill_block_per_row_multipass_kernelILj512ELj16ELj2048ELj32EiidEEvT4_PKS1_S3_NS_24const_host_device_scalarIT5_EEPKT3_S3_PKS5_S9_S3_SB_S6_S9_S3_SB_S9_S3_PS5_PS7_21rocsparse_index_base_SE_SE_SE_bbb ; -- Begin function _ZN9rocsparseL51csrgemm_numeric_fill_block_per_row_multipass_kernelILj512ELj16ELj2048ELj32EiidEEvT4_PKS1_S3_NS_24const_host_device_scalarIT5_EEPKT3_S3_PKS5_S9_S3_SB_S6_S9_S3_SB_S9_S3_PS5_PS7_21rocsparse_index_base_SE_SE_SE_bbb
	.p2align	8
	.type	_ZN9rocsparseL51csrgemm_numeric_fill_block_per_row_multipass_kernelILj512ELj16ELj2048ELj32EiidEEvT4_PKS1_S3_NS_24const_host_device_scalarIT5_EEPKT3_S3_PKS5_S9_S3_SB_S6_S9_S3_SB_S9_S3_PS5_PS7_21rocsparse_index_base_SE_SE_SE_bbb,@function
_ZN9rocsparseL51csrgemm_numeric_fill_block_per_row_multipass_kernelILj512ELj16ELj2048ELj32EiidEEvT4_PKS1_S3_NS_24const_host_device_scalarIT5_EEPKT3_S3_PKS5_S9_S3_SB_S6_S9_S3_SB_S9_S3_PS5_PS7_21rocsparse_index_base_SE_SE_SE_bbb: ; @_ZN9rocsparseL51csrgemm_numeric_fill_block_per_row_multipass_kernelILj512ELj16ELj2048ELj32EiidEEvT4_PKS1_S3_NS_24const_host_device_scalarIT5_EEPKT3_S3_PKS5_S9_S3_SB_S6_S9_S3_SB_S9_S3_PS5_PS7_21rocsparse_index_base_SE_SE_SE_bbb
; %bb.0:
	s_clause 0x4
	s_load_b32 s10, s[0:1], 0xa0
	s_load_b64 s[8:9], s[0:1], 0x18
	s_load_b128 s[4:7], s[0:1], 0x8
	s_load_b128 s[28:31], s[0:1], 0x90
	s_load_b64 s[2:3], s[0:1], 0x50
	s_wait_kmcnt 0x0
	s_bitcmp1_b32 s10, 0
	s_cselect_b32 s18, -1, 0
	s_bitcmp1_b32 s10, 16
	s_cselect_b32 s11, -1, 0
	s_xor_b32 s12, s18, -1
	s_delay_alu instid0(SALU_CYCLE_1)
	s_or_b32 s14, s11, s12
	s_and_b32 s12, s18, exec_lo
	s_cselect_b32 s13, s9, 0
	s_cselect_b32 s12, s8, 0
	s_and_b32 vcc_lo, exec_lo, s14
	v_mov_b64_e32 v[2:3], s[12:13]
	s_cbranch_vccnz .LBB38_2
; %bb.1:
	v_mov_b32_e32 v1, 0
	flat_load_b64 v[2:3], v1, s[8:9]
.LBB38_2:
	s_bitcmp1_b32 s10, 8
	s_cselect_b32 s33, -1, 0
	s_wait_xcnt 0x0
	s_xor_b32 s8, s33, -1
	s_delay_alu instid0(SALU_CYCLE_1)
	s_or_b32 s10, s11, s8
	s_and_b32 s8, s33, exec_lo
	s_cselect_b32 s9, s3, 0
	s_cselect_b32 s8, s2, 0
	s_and_b32 vcc_lo, exec_lo, s10
	v_mov_b64_e32 v[4:5], s[8:9]
	s_cbranch_vccnz .LBB38_4
; %bb.3:
	v_mov_b32_e32 v1, 0
	flat_load_b64 v[4:5], v1, s[2:3]
.LBB38_4:
	s_wait_xcnt 0x0
	s_load_b32 s2, s[4:5], 0x0
	s_bfe_u32 s3, ttmp6, 0x4000c
	s_wait_xcnt 0x0
	s_and_b32 s4, ttmp6, 15
	s_add_co_i32 s3, s3, 1
	s_getreg_b32 s5, hwreg(HW_REG_IB_STS2, 6, 4)
	s_mul_i32 s3, ttmp9, s3
	s_mov_b32 s48, 0
	s_add_co_i32 s4, s4, s3
	s_cmp_eq_u32 s5, 0
	s_cselect_b32 s3, ttmp9, s4
	s_and_not1_b32 vcc_lo, exec_lo, s18
	s_wait_kmcnt 0x0
	s_add_co_i32 s4, s2, s3
	s_load_b64 s[2:3], s[0:1], 0x20
	s_load_b32 s8, s[6:7], s4 offset:0x0 scale_offset
	s_wait_xcnt 0x0
	s_mov_b32 s6, 0
	s_cbranch_vccz .LBB38_7
; %bb.5:
	s_and_not1_b32 vcc_lo, exec_lo, s18
	s_cbranch_vccz .LBB38_8
.LBB38_6:
	s_load_b32 s49, s[0:1], 0x0
	s_wait_kmcnt 0x0
	s_cmp_lt_i32 s49, 1
	s_cbranch_scc0 .LBB38_9
	s_branch .LBB38_62
.LBB38_7:
	s_wait_kmcnt 0x0
	s_ashr_i32 s9, s8, 31
	s_delay_alu instid0(SALU_CYCLE_1) | instskip(NEXT) | instid1(SALU_CYCLE_1)
	s_lshl_b64 s[4:5], s[8:9], 2
	s_add_nc_u64 s[4:5], s[2:3], s[4:5]
	s_load_b32 s4, s[4:5], 0x0
	s_wait_kmcnt 0x0
	s_sub_co_i32 s6, s4, s28
	s_and_not1_b32 vcc_lo, exec_lo, s18
	s_cbranch_vccnz .LBB38_6
.LBB38_8:
	s_wait_kmcnt 0x0
	s_ashr_i32 s9, s8, 31
	s_delay_alu instid0(SALU_CYCLE_1) | instskip(NEXT) | instid1(SALU_CYCLE_1)
	s_lshl_b64 s[4:5], s[8:9], 2
	s_add_nc_u64 s[2:3], s[2:3], s[4:5]
	s_load_b32 s2, s[2:3], 0x4
	s_wait_kmcnt 0x0
	s_sub_co_i32 s48, s2, s28
	s_load_b32 s49, s[0:1], 0x0
	s_wait_kmcnt 0x0
	s_cmp_lt_i32 s49, 1
	s_cbranch_scc1 .LBB38_62
.LBB38_9:
	s_clause 0x3
	s_load_b256 s[20:27], s[0:1], 0x58
	s_load_b128 s[44:47], s[0:1], 0x80
	s_load_b256 s[36:43], s[0:1], 0x28
	s_load_b64 s[34:35], s[0:1], 0x48
	v_dual_lshrrev_b32 v1, 4, v0 :: v_dual_bitop2_b32 v7, 15, v0 bitop3:0x40
	v_mbcnt_lo_u32_b32 v6, -1, 0
	s_ashr_i32 s9, s8, 31
	v_dual_mov_b32 v17, 0 :: v_dual_lshrrev_b32 v8, 3, v0
	s_delay_alu instid0(VALU_DEP_2)
	v_dual_add_nc_u32 v18, s6, v1 :: v_dual_bitop2_b32 v1, 8, v6 bitop3:0x14
	s_lshl_b64 s[50:51], s[8:9], 2
	s_wait_xcnt 0x0
	v_cmp_eq_u32_e64 s0, 0, v0
	v_subrev_nc_u32_e32 v16, s31, v0
	v_cmp_eq_u32_e64 s1, 0x1ff, v0
	v_cmp_gt_i32_e64 s7, 32, v1
	v_xor_b32_e32 v9, 4, v6
	v_cmp_gt_u32_e64 s2, 32, v0
	v_cmp_gt_u32_e64 s3, 64, v0
	s_wait_kmcnt 0x0
	s_add_nc_u64 s[8:9], s[26:27], s[50:51]
	v_cndmask_b32_e64 v1, v6, v1, s7
	s_load_b32 s8, s[8:9], 0x0
	v_cmp_gt_i32_e64 s7, 32, v9
	v_xor_b32_e32 v10, 2, v6
	s_delay_alu instid0(VALU_DEP_3) | instskip(NEXT) | instid1(VALU_DEP_3)
	v_dual_lshlrev_b32 v20, 2, v1 :: v_dual_bitop2_b32 v11, 1, v6 bitop3:0x14
	v_dual_cndmask_b32 v8, v6, v9, s7 :: v_dual_bitop2_b32 v19, 60, v8 bitop3:0x40
	s_delay_alu instid0(VALU_DEP_3)
	v_cmp_gt_i32_e64 s7, 32, v10
	v_cmp_gt_u32_e64 s4, 0x60, v0
	v_cmp_gt_u32_e64 s5, 0x80, v0
	v_cmp_gt_i32_e32 vcc_lo, s48, v18
	s_wait_xcnt 0x0
	v_cmp_gt_u32_e64 s9, 0xe0, v0
	v_cndmask_b32_e64 v9, v6, v10, s7
	v_cmp_gt_i32_e64 s7, 32, v11
	v_xor_b32_e32 v12, 31, v6
	v_cmp_gt_u32_e64 s10, 0x100, v0
	v_cmp_gt_u32_e64 s11, 0x120, v0
	;; [unrolled: 1-line block ×3, first 2 shown]
	v_cndmask_b32_e64 v10, v6, v11, s7
	v_cmp_gt_u32_e64 s7, 0xa0, v0
	s_wait_kmcnt 0x0
	s_sub_co_i32 s19, s8, s30
	v_cmp_gt_u32_e64 s8, 0xc0, v0
	v_cmp_gt_u32_e64 s13, 0x160, v0
	v_dual_lshlrev_b32 v23, 2, v10 :: v_dual_lshlrev_b32 v25, 3, v0
	v_cmp_gt_u32_e64 s14, 0x180, v0
	v_cmp_gt_u32_e64 s15, 0x1a0, v0
	;; [unrolled: 1-line block ×4, first 2 shown]
	v_or_b32_e32 v24, 0xfffffe00, v0
	v_mov_b64_e32 v[0:1], 0
	v_cmp_eq_u32_e64 s6, 15, v7
	v_lshrrev_b32_e64 v6, v12, -1
	v_dual_lshlrev_b32 v21, 2, v8 :: v_dual_lshlrev_b32 v22, 2, v9
	v_dual_mov_b32 v29, 0x800 :: v_dual_mov_b32 v26, s19
	v_dual_mov_b32 v27, 1 :: v_dual_mov_b32 v28, 0
	s_add_nc_u64 s[26:27], s[20:21], s[50:51]
	s_and_b32 s21, s18, vcc_lo
	s_branch .LBB38_11
.LBB38_10:                              ;   in Loop: Header=BB38_11 Depth=1
	s_or_b32 exec_lo, exec_lo, s18
	ds_load_b32 v28, v17 offset:18432
	s_wait_dscnt 0x0
	s_barrier_signal -1
	s_barrier_wait -1
	v_cmp_le_i32_e32 vcc_lo, s49, v28
	v_add_nc_u32_e32 v29, 0x800, v28
	s_cbranch_vccnz .LBB38_62
.LBB38_11:                              ; =>This Loop Header: Depth=1
                                        ;     Child Loop BB38_12 Depth 2
                                        ;     Child Loop BB38_18 Depth 2
                                        ;       Child Loop BB38_24 Depth 3
                                        ;     Child Loop BB38_41 Depth 2
                                        ;     Child Loop BB38_53 Depth 2
	;; [unrolled: 1-line block ×3, first 2 shown]
	v_dual_mov_b32 v8, v25 :: v_dual_mov_b32 v9, v24
	s_mov_b32 s18, 0
.LBB38_12:                              ;   Parent Loop BB38_11 Depth=1
                                        ; =>  This Inner Loop Header: Depth=2
	ds_store_b8 v9, v17 offset:16896
	v_add_nc_u32_e32 v9, 0x200, v9
	ds_store_b64 v8, v[0:1]
	v_add_nc_u32_e32 v8, 0x1000, v8
	v_cmp_lt_u32_e32 vcc_lo, 0x5ff, v9
	s_or_b32 s18, vcc_lo, s18
	s_delay_alu instid0(SALU_CYCLE_1)
	s_and_not1_b32 exec_lo, exec_lo, s18
	s_cbranch_execnz .LBB38_12
; %bb.13:                               ;   in Loop: Header=BB38_11 Depth=1
	s_or_b32 exec_lo, exec_lo, s18
	s_and_saveexec_b32 s18, s0
; %bb.14:                               ;   in Loop: Header=BB38_11 Depth=1
	v_mov_b32_e32 v8, s49
	ds_store_b32 v17, v8 offset:18432
; %bb.15:                               ;   in Loop: Header=BB38_11 Depth=1
	s_or_b32 exec_lo, exec_lo, s18
	v_mov_b32_e32 v30, s49
	s_wait_loadcnt_dscnt 0x0
	s_barrier_signal -1
	s_barrier_wait -1
	s_and_saveexec_b32 s30, s21
	s_cbranch_execz .LBB38_37
; %bb.16:                               ;   in Loop: Header=BB38_11 Depth=1
	v_cmp_ne_u32_e64 s18, 0, v28
	v_dual_mov_b32 v30, s49 :: v_dual_mov_b32 v8, v18
	s_mov_b32 s50, 0
	s_branch .LBB38_18
.LBB38_17:                              ;   in Loop: Header=BB38_18 Depth=2
	s_wait_xcnt 0x0
	s_or_b32 exec_lo, exec_lo, s19
	v_add_nc_u32_e32 v8, 32, v8
	s_delay_alu instid0(VALU_DEP_1) | instskip(SKIP_1) | instid1(SALU_CYCLE_1)
	v_cmp_le_i32_e32 vcc_lo, s48, v8
	s_or_b32 s50, vcc_lo, s50
	s_and_not1_b32 exec_lo, exec_lo, s50
	s_cbranch_execz .LBB38_36
.LBB38_18:                              ;   Parent Loop BB38_11 Depth=1
                                        ; =>  This Loop Header: Depth=2
                                        ;       Child Loop BB38_24 Depth 3
	global_load_b32 v10, v8, s[36:37] scale_offset
	s_wait_dscnt 0x0
	global_load_b64 v[12:13], v8, s[38:39] scale_offset
	s_and_b32 vcc_lo, exec_lo, s18
	s_wait_loadcnt 0x1
	v_subrev_nc_u32_e32 v14, s28, v10
	s_delay_alu instid0(VALU_DEP_1) | instskip(NEXT) | instid1(VALU_DEP_1)
	v_dual_ashrrev_i32 v9, 31, v8 :: v_dual_ashrrev_i32 v15, 31, v14
	v_lshl_add_u64 v[10:11], v[8:9], 2, s[46:47]
	s_cbranch_vccz .LBB38_35
; %bb.19:                               ;   in Loop: Header=BB38_18 Depth=2
	global_load_b32 v9, v[10:11], off
	s_cbranch_execnz .LBB38_21
.LBB38_20:                              ;   in Loop: Header=BB38_18 Depth=2
	s_wait_loadcnt 0x0
	global_load_b32 v9, v14, s[40:41] scale_offset
	s_wait_loadcnt 0x0
	v_subrev_nc_u32_e32 v9, s29, v9
.LBB38_21:                              ;   in Loop: Header=BB38_18 Depth=2
	s_wait_xcnt 0x0
	v_lshl_add_u64 v[14:15], v[14:15], 2, s[40:41]
	s_wait_loadcnt 0x0
	s_delay_alu instid0(VALU_DEP_2)
	v_add_nc_u32_e32 v9, v9, v7
	s_mov_b32 s51, exec_lo
	global_load_b32 v14, v[14:15], off offset:4
	s_wait_loadcnt 0x0
	v_subrev_nc_u32_e32 v31, s29, v14
	s_wait_xcnt 0x0
	s_delay_alu instid0(VALU_DEP_1)
	v_cmpx_lt_i32_e64 v9, v31
	s_cbranch_execz .LBB38_33
; %bb.22:                               ;   in Loop: Header=BB38_18 Depth=2
	v_dual_mul_f64 v[12:13], v[2:3], v[12:13] :: v_dual_mov_b32 v15, v9
	s_mov_b32 s53, 0
                                        ; implicit-def: $sgpr52
                                        ; implicit-def: $sgpr54
	s_branch .LBB38_24
.LBB38_23:                              ;   in Loop: Header=BB38_24 Depth=3
	s_or_b32 exec_lo, exec_lo, s55
	s_delay_alu instid0(SALU_CYCLE_1) | instskip(NEXT) | instid1(SALU_CYCLE_1)
	s_and_b32 s19, exec_lo, s20
	s_or_b32 s53, s19, s53
	s_and_not1_b32 s19, s52, exec_lo
	s_and_b32 s20, s54, exec_lo
	s_delay_alu instid0(SALU_CYCLE_1)
	s_or_b32 s52, s19, s20
	s_and_not1_b32 exec_lo, exec_lo, s53
	s_cbranch_execz .LBB38_30
.LBB38_24:                              ;   Parent Loop BB38_11 Depth=1
                                        ;     Parent Loop BB38_18 Depth=2
                                        ; =>    This Inner Loop Header: Depth=3
	s_delay_alu instid0(VALU_DEP_1) | instskip(SKIP_3) | instid1(VALU_DEP_1)
	v_mov_b32_e32 v14, v15
	global_load_b32 v15, v15, s[42:43] scale_offset
	s_wait_loadcnt 0x0
	v_subrev_nc_u32_e32 v32, s29, v15
	v_cmp_lt_i32_e64 s19, v32, v28
	v_cmp_ge_i32_e64 s20, v32, v29
	v_cmp_lt_i32_e32 vcc_lo, v32, v29
	s_or_b32 s20, s19, s20
	s_mov_b32 s19, 0
	s_wait_xcnt 0x0
	s_and_saveexec_b32 s55, s20
	s_delay_alu instid0(SALU_CYCLE_1)
	s_xor_b32 s20, exec_lo, s55
; %bb.25:                               ;   in Loop: Header=BB38_24 Depth=3
	s_and_b32 s19, vcc_lo, exec_lo
; %bb.26:                               ;   in Loop: Header=BB38_24 Depth=3
	s_and_not1_saveexec_b32 s20, s20
	s_cbranch_execz .LBB38_28
; %bb.27:                               ;   in Loop: Header=BB38_24 Depth=3
	v_ashrrev_i32_e32 v15, 31, v14
	s_or_b32 s19, s19, exec_lo
	s_delay_alu instid0(VALU_DEP_1)
	v_lshl_add_u64 v[34:35], v[14:15], 3, s[34:35]
	v_sub_nc_u32_e32 v15, v32, v28
	global_load_b64 v[34:35], v[34:35], off
	v_lshlrev_b32_e32 v33, 3, v15
	ds_store_b8 v15, v27 offset:16384
	s_wait_loadcnt 0x0
	s_wait_xcnt 0x0
	v_mul_f64_e32 v[34:35], v[12:13], v[34:35]
	ds_add_f64 v33, v[34:35]
.LBB38_28:                              ;   in Loop: Header=BB38_24 Depth=3
	s_or_b32 exec_lo, exec_lo, s20
	s_mov_b32 s20, -1
	s_or_b32 s54, s54, exec_lo
                                        ; implicit-def: $vgpr15
	s_and_saveexec_b32 s55, s19
	s_cbranch_execz .LBB38_23
; %bb.29:                               ;   in Loop: Header=BB38_24 Depth=3
	v_add_nc_u32_e32 v15, 16, v14
	s_and_not1_b32 s54, s54, exec_lo
	s_delay_alu instid0(VALU_DEP_1)
	v_cmp_ge_i32_e32 vcc_lo, v15, v31
	s_or_not1_b32 s20, vcc_lo, exec_lo
	s_branch .LBB38_23
.LBB38_30:                              ;   in Loop: Header=BB38_18 Depth=2
	s_or_b32 exec_lo, exec_lo, s53
	s_and_saveexec_b32 s19, s52
	s_delay_alu instid0(SALU_CYCLE_1)
	s_xor_b32 s19, exec_lo, s19
; %bb.31:                               ;   in Loop: Header=BB38_18 Depth=2
	v_dual_mov_b32 v9, v14 :: v_dual_min_i32 v30, v32, v30
; %bb.32:                               ;   in Loop: Header=BB38_18 Depth=2
	s_or_b32 exec_lo, exec_lo, s19
.LBB38_33:                              ;   in Loop: Header=BB38_18 Depth=2
	s_delay_alu instid0(SALU_CYCLE_1)
	s_or_b32 exec_lo, exec_lo, s51
	ds_bpermute_b32 v12, v20, v9
	s_wait_dscnt 0x0
	v_min_i32_e32 v9, v12, v9
	ds_bpermute_b32 v12, v21, v9
	s_wait_dscnt 0x0
	v_min_i32_e32 v9, v12, v9
	;; [unrolled: 3-line block ×3, first 2 shown]
	ds_bpermute_b32 v12, v23, v9
	s_and_saveexec_b32 s19, s6
	s_cbranch_execz .LBB38_17
; %bb.34:                               ;   in Loop: Header=BB38_18 Depth=2
	s_wait_dscnt 0x0
	v_min_i32_e32 v9, v12, v9
	global_store_b32 v[10:11], v9, off
	s_branch .LBB38_17
.LBB38_35:                              ;   in Loop: Header=BB38_18 Depth=2
                                        ; implicit-def: $vgpr9
	s_branch .LBB38_20
.LBB38_36:                              ;   in Loop: Header=BB38_11 Depth=1
	s_or_b32 exec_lo, exec_lo, s50
.LBB38_37:                              ;   in Loop: Header=BB38_11 Depth=1
	s_delay_alu instid0(SALU_CYCLE_1) | instskip(NEXT) | instid1(SALU_CYCLE_1)
	s_or_b32 exec_lo, exec_lo, s30
	s_and_not1_b32 vcc_lo, exec_lo, s33
	s_cbranch_vccnz .LBB38_51
; %bb.38:                               ;   in Loop: Header=BB38_11 Depth=1
	s_load_b64 s[18:19], s[26:27], 0x0
	s_mov_b32 s20, exec_lo
	s_wait_kmcnt 0x0
	v_add_nc_u32_e32 v8, s18, v16
	s_sub_co_i32 s30, s19, s31
	s_delay_alu instid0(VALU_DEP_1) | instid1(SALU_CYCLE_1)
	v_cmpx_gt_i32_e64 s30, v8
	s_cbranch_execz .LBB38_50
; %bb.39:                               ;   in Loop: Header=BB38_11 Depth=1
	s_mov_b32 s50, 0
                                        ; implicit-def: $sgpr51
                                        ; implicit-def: $sgpr52
	s_branch .LBB38_41
.LBB38_40:                              ;   in Loop: Header=BB38_41 Depth=2
	s_or_b32 exec_lo, exec_lo, s53
	s_delay_alu instid0(SALU_CYCLE_1) | instskip(NEXT) | instid1(SALU_CYCLE_1)
	s_and_b32 s18, exec_lo, s19
	s_or_b32 s50, s18, s50
	s_and_not1_b32 s18, s51, exec_lo
	s_and_b32 s19, s52, exec_lo
	s_delay_alu instid0(SALU_CYCLE_1)
	s_or_b32 s51, s18, s19
	s_and_not1_b32 exec_lo, exec_lo, s50
	s_cbranch_execz .LBB38_47
.LBB38_41:                              ;   Parent Loop BB38_11 Depth=1
                                        ; =>  This Inner Loop Header: Depth=2
	global_load_b32 v9, v8, s[22:23] scale_offset
	s_wait_loadcnt 0x0
	v_subrev_nc_u32_e32 v10, s31, v9
	s_delay_alu instid0(VALU_DEP_1)
	v_cmp_lt_i32_e64 s18, v10, v28
	v_cmp_ge_i32_e64 s19, v10, v29
	v_cmp_lt_i32_e32 vcc_lo, v10, v29
	s_or_b32 s19, s18, s19
	s_mov_b32 s18, 0
	s_wait_xcnt 0x0
	s_and_saveexec_b32 s53, s19
	s_delay_alu instid0(SALU_CYCLE_1)
	s_xor_b32 s19, exec_lo, s53
; %bb.42:                               ;   in Loop: Header=BB38_41 Depth=2
	s_and_b32 s18, vcc_lo, exec_lo
; %bb.43:                               ;   in Loop: Header=BB38_41 Depth=2
	s_or_saveexec_b32 s19, s19
	v_ashrrev_i32_e32 v9, 31, v8
	s_xor_b32 exec_lo, exec_lo, s19
	s_cbranch_execz .LBB38_45
; %bb.44:                               ;   in Loop: Header=BB38_41 Depth=2
	s_wait_dscnt 0x0
	s_delay_alu instid0(VALU_DEP_1)
	v_lshl_add_u64 v[12:13], v[8:9], 3, s[24:25]
	v_sub_nc_u32_e32 v9, v10, v28
	s_or_b32 s18, s18, exec_lo
	global_load_b64 v[12:13], v[12:13], off
	v_lshlrev_b32_e32 v11, 3, v9
	ds_store_b8 v9, v27 offset:16384
	s_wait_loadcnt 0x0
	s_wait_xcnt 0x0
	v_mul_f64_e32 v[12:13], v[4:5], v[12:13]
	ds_add_f64 v11, v[12:13]
.LBB38_45:                              ;   in Loop: Header=BB38_41 Depth=2
	s_or_b32 exec_lo, exec_lo, s19
	s_mov_b32 s19, -1
	s_or_b32 s52, s52, exec_lo
	s_and_saveexec_b32 s53, s18
	s_cbranch_execz .LBB38_40
; %bb.46:                               ;   in Loop: Header=BB38_41 Depth=2
	v_add_nc_u32_e32 v8, 0x200, v8
	s_and_not1_b32 s52, s52, exec_lo
	s_delay_alu instid0(VALU_DEP_1)
	v_cmp_le_i32_e32 vcc_lo, s30, v8
	s_or_not1_b32 s19, vcc_lo, exec_lo
	s_branch .LBB38_40
.LBB38_47:                              ;   in Loop: Header=BB38_11 Depth=1
	s_or_b32 exec_lo, exec_lo, s50
	s_and_saveexec_b32 s18, s51
	s_delay_alu instid0(SALU_CYCLE_1)
	s_xor_b32 s18, exec_lo, s18
; %bb.48:                               ;   in Loop: Header=BB38_11 Depth=1
	v_min_i32_e32 v30, v10, v30
; %bb.49:                               ;   in Loop: Header=BB38_11 Depth=1
	s_or_b32 exec_lo, exec_lo, s18
.LBB38_50:                              ;   in Loop: Header=BB38_11 Depth=1
	s_delay_alu instid0(SALU_CYCLE_1)
	s_or_b32 exec_lo, exec_lo, s20
.LBB38_51:                              ;   in Loop: Header=BB38_11 Depth=1
	ds_bpermute_b32 v8, v20, v30
	s_wait_dscnt 0x0
	v_min_i32_e32 v8, v8, v30
	ds_bpermute_b32 v9, v21, v8
	s_wait_dscnt 0x0
	v_min_i32_e32 v8, v9, v8
	;; [unrolled: 3-line block ×3, first 2 shown]
	ds_bpermute_b32 v9, v23, v8
	s_and_saveexec_b32 s18, s6
	s_cbranch_execz .LBB38_56
; %bb.52:                               ;   in Loop: Header=BB38_11 Depth=1
	s_wait_dscnt 0x0
	v_min_i32_e32 v8, v9, v8
	s_mov_b32 s20, exec_lo
	s_brev_b32 s19, -2
.LBB38_53:                              ;   Parent Loop BB38_11 Depth=1
                                        ; =>  This Inner Loop Header: Depth=2
	s_ctz_i32_b32 s30, s20
	s_delay_alu instid0(VALU_DEP_1) | instid1(SALU_CYCLE_1)
	v_readlane_b32 s50, v8, s30
	s_lshl_b32 s30, 1, s30
	s_delay_alu instid0(SALU_CYCLE_1)
	s_and_not1_b32 s20, s20, s30
	s_min_i32 s19, s19, s50
	s_cmp_lg_u32 s20, 0
	s_cbranch_scc1 .LBB38_53
; %bb.54:                               ;   in Loop: Header=BB38_11 Depth=1
	v_mbcnt_lo_u32_b32 v8, exec_lo, 0
	s_mov_b32 s20, exec_lo
	s_delay_alu instid0(VALU_DEP_1)
	v_cmpx_eq_u32_e32 0, v8
	s_xor_b32 s20, exec_lo, s20
; %bb.55:                               ;   in Loop: Header=BB38_11 Depth=1
	v_mov_b32_e32 v8, s19
	ds_min_i32 v17, v8 offset:18432
.LBB38_56:                              ;   in Loop: Header=BB38_11 Depth=1
	s_or_b32 exec_lo, exec_lo, s18
	v_dual_mov_b32 v10, v25 :: v_dual_mov_b32 v11, v24
	s_mov_b32 s18, 0
	s_wait_storecnt_dscnt 0x0
	s_barrier_signal -1
	s_barrier_wait -1
	s_branch .LBB38_58
.LBB38_57:                              ;   in Loop: Header=BB38_58 Depth=2
	s_or_b32 exec_lo, exec_lo, s19
	s_wait_storecnt_dscnt 0x0
	s_barrier_signal -1
	s_barrier_wait -1
	ds_load_b32 v8, v17 offset:60
	v_add_nc_u32_e32 v11, 0x200, v11
	v_add_nc_u32_e32 v10, 0x1000, v10
	s_delay_alu instid0(VALU_DEP_2)
	v_cmp_lt_u32_e32 vcc_lo, 0x5ff, v11
	s_or_b32 s18, vcc_lo, s18
	s_wait_dscnt 0x0
	v_add_nc_u32_e32 v26, v8, v26
	s_and_not1_b32 exec_lo, exec_lo, s18
	s_cbranch_execz .LBB38_10
.LBB38_58:                              ;   Parent Loop BB38_11 Depth=1
                                        ; =>  This Inner Loop Header: Depth=2
	ds_load_u8 v36, v11 offset:16896
	ds_load_b64 v[8:9], v10
	s_wait_dscnt 0x0
	s_barrier_signal -1
	s_barrier_wait -1
	v_cmp_ne_u16_e32 vcc_lo, 0, v36
	s_bcnt1_i32_b32 s19, vcc_lo
	s_delay_alu instid0(SALU_CYCLE_1)
	v_dual_mov_b32 v12, s19 :: v_dual_bitop2_b32 v37, vcc_lo, v6 bitop3:0x40
	s_mov_b32 s19, exec_lo
	ds_store_b32 v19, v12
	s_wait_dscnt 0x0
	s_barrier_signal -1
	s_barrier_wait -1
	ds_load_b128 v[12:15], v17
	ds_load_b128 v[28:31], v17 offset:16
	ds_load_b128 v[32:35], v17 offset:32
	s_wait_dscnt 0x2
	v_cndmask_b32_e64 v12, v12, 0, s2
	v_cndmask_b32_e64 v38, v13, 0, s3
	;; [unrolled: 1-line block ×4, first 2 shown]
	s_wait_dscnt 0x1
	v_cndmask_b32_e64 v28, v28, 0, s7
	v_bcnt_u32_b32 v37, v37, v12
	ds_load_b96 v[12:14], v17 offset:48
	v_cndmask_b32_e64 v29, v29, 0, s8
	v_cndmask_b32_e64 v30, v30, 0, s9
	v_add3_u32 v37, v37, v38, v39
	s_delay_alu instid0(VALU_DEP_1) | instskip(SKIP_3) | instid1(VALU_DEP_3)
	v_add3_u32 v15, v37, v15, v28
	v_cndmask_b32_e64 v28, v31, 0, s10
	s_wait_dscnt 0x1
	v_cndmask_b32_e64 v31, v32, 0, s11
	v_add3_u32 v15, v15, v29, v30
	v_cndmask_b32_e64 v29, v33, 0, s12
	v_cndmask_b32_e64 v30, v34, 0, s13
	s_delay_alu instid0(VALU_DEP_3)
	v_add3_u32 v15, v15, v28, v31
	v_cndmask_b32_e64 v28, v35, 0, s14
	s_wait_dscnt 0x0
	v_cndmask_b32_e64 v12, v12, 0, s15
	v_cndmask_b32_e64 v13, v13, 0, s16
	;; [unrolled: 1-line block ×3, first 2 shown]
	v_add3_u32 v15, v15, v29, v30
	s_delay_alu instid0(VALU_DEP_1) | instskip(SKIP_1) | instid1(VALU_DEP_2)
	v_add3_u32 v12, v15, v28, v12
	v_and_b32_e32 v15, 1, v36
	v_add3_u32 v12, v12, v13, v14
	s_delay_alu instid0(VALU_DEP_2)
	v_cmpx_eq_u32_e32 1, v15
	s_cbranch_execz .LBB38_60
; %bb.59:                               ;   in Loop: Header=BB38_58 Depth=2
	s_delay_alu instid0(VALU_DEP_2)
	v_add_nc_u32_e32 v13, v12, v26
	global_store_b64 v13, v[8:9], s[44:45] offset:-8 scale_offset
.LBB38_60:                              ;   in Loop: Header=BB38_58 Depth=2
	s_wait_xcnt 0x0
	s_or_b32 exec_lo, exec_lo, s19
	s_and_saveexec_b32 s19, s1
	s_cbranch_execz .LBB38_57
; %bb.61:                               ;   in Loop: Header=BB38_58 Depth=2
	ds_store_b32 v17, v12 offset:60
	s_branch .LBB38_57
.LBB38_62:
	s_endpgm
	.section	.rodata,"a",@progbits
	.p2align	6, 0x0
	.amdhsa_kernel _ZN9rocsparseL51csrgemm_numeric_fill_block_per_row_multipass_kernelILj512ELj16ELj2048ELj32EiidEEvT4_PKS1_S3_NS_24const_host_device_scalarIT5_EEPKT3_S3_PKS5_S9_S3_SB_S6_S9_S3_SB_S9_S3_PS5_PS7_21rocsparse_index_base_SE_SE_SE_bbb
		.amdhsa_group_segment_fixed_size 18440
		.amdhsa_private_segment_fixed_size 0
		.amdhsa_kernarg_size 164
		.amdhsa_user_sgpr_count 2
		.amdhsa_user_sgpr_dispatch_ptr 0
		.amdhsa_user_sgpr_queue_ptr 0
		.amdhsa_user_sgpr_kernarg_segment_ptr 1
		.amdhsa_user_sgpr_dispatch_id 0
		.amdhsa_user_sgpr_kernarg_preload_length 0
		.amdhsa_user_sgpr_kernarg_preload_offset 0
		.amdhsa_user_sgpr_private_segment_size 0
		.amdhsa_wavefront_size32 1
		.amdhsa_uses_dynamic_stack 0
		.amdhsa_enable_private_segment 0
		.amdhsa_system_sgpr_workgroup_id_x 1
		.amdhsa_system_sgpr_workgroup_id_y 0
		.amdhsa_system_sgpr_workgroup_id_z 0
		.amdhsa_system_sgpr_workgroup_info 0
		.amdhsa_system_vgpr_workitem_id 0
		.amdhsa_next_free_vgpr 40
		.amdhsa_next_free_sgpr 56
		.amdhsa_named_barrier_count 0
		.amdhsa_reserve_vcc 1
		.amdhsa_float_round_mode_32 0
		.amdhsa_float_round_mode_16_64 0
		.amdhsa_float_denorm_mode_32 3
		.amdhsa_float_denorm_mode_16_64 3
		.amdhsa_fp16_overflow 0
		.amdhsa_memory_ordered 1
		.amdhsa_forward_progress 1
		.amdhsa_inst_pref_size 21
		.amdhsa_round_robin_scheduling 0
		.amdhsa_exception_fp_ieee_invalid_op 0
		.amdhsa_exception_fp_denorm_src 0
		.amdhsa_exception_fp_ieee_div_zero 0
		.amdhsa_exception_fp_ieee_overflow 0
		.amdhsa_exception_fp_ieee_underflow 0
		.amdhsa_exception_fp_ieee_inexact 0
		.amdhsa_exception_int_div_zero 0
	.end_amdhsa_kernel
	.section	.text._ZN9rocsparseL51csrgemm_numeric_fill_block_per_row_multipass_kernelILj512ELj16ELj2048ELj32EiidEEvT4_PKS1_S3_NS_24const_host_device_scalarIT5_EEPKT3_S3_PKS5_S9_S3_SB_S6_S9_S3_SB_S9_S3_PS5_PS7_21rocsparse_index_base_SE_SE_SE_bbb,"axG",@progbits,_ZN9rocsparseL51csrgemm_numeric_fill_block_per_row_multipass_kernelILj512ELj16ELj2048ELj32EiidEEvT4_PKS1_S3_NS_24const_host_device_scalarIT5_EEPKT3_S3_PKS5_S9_S3_SB_S6_S9_S3_SB_S9_S3_PS5_PS7_21rocsparse_index_base_SE_SE_SE_bbb,comdat
.Lfunc_end38:
	.size	_ZN9rocsparseL51csrgemm_numeric_fill_block_per_row_multipass_kernelILj512ELj16ELj2048ELj32EiidEEvT4_PKS1_S3_NS_24const_host_device_scalarIT5_EEPKT3_S3_PKS5_S9_S3_SB_S6_S9_S3_SB_S9_S3_PS5_PS7_21rocsparse_index_base_SE_SE_SE_bbb, .Lfunc_end38-_ZN9rocsparseL51csrgemm_numeric_fill_block_per_row_multipass_kernelILj512ELj16ELj2048ELj32EiidEEvT4_PKS1_S3_NS_24const_host_device_scalarIT5_EEPKT3_S3_PKS5_S9_S3_SB_S6_S9_S3_SB_S9_S3_PS5_PS7_21rocsparse_index_base_SE_SE_SE_bbb
                                        ; -- End function
	.set _ZN9rocsparseL51csrgemm_numeric_fill_block_per_row_multipass_kernelILj512ELj16ELj2048ELj32EiidEEvT4_PKS1_S3_NS_24const_host_device_scalarIT5_EEPKT3_S3_PKS5_S9_S3_SB_S6_S9_S3_SB_S9_S3_PS5_PS7_21rocsparse_index_base_SE_SE_SE_bbb.num_vgpr, 40
	.set _ZN9rocsparseL51csrgemm_numeric_fill_block_per_row_multipass_kernelILj512ELj16ELj2048ELj32EiidEEvT4_PKS1_S3_NS_24const_host_device_scalarIT5_EEPKT3_S3_PKS5_S9_S3_SB_S6_S9_S3_SB_S9_S3_PS5_PS7_21rocsparse_index_base_SE_SE_SE_bbb.num_agpr, 0
	.set _ZN9rocsparseL51csrgemm_numeric_fill_block_per_row_multipass_kernelILj512ELj16ELj2048ELj32EiidEEvT4_PKS1_S3_NS_24const_host_device_scalarIT5_EEPKT3_S3_PKS5_S9_S3_SB_S6_S9_S3_SB_S9_S3_PS5_PS7_21rocsparse_index_base_SE_SE_SE_bbb.numbered_sgpr, 56
	.set _ZN9rocsparseL51csrgemm_numeric_fill_block_per_row_multipass_kernelILj512ELj16ELj2048ELj32EiidEEvT4_PKS1_S3_NS_24const_host_device_scalarIT5_EEPKT3_S3_PKS5_S9_S3_SB_S6_S9_S3_SB_S9_S3_PS5_PS7_21rocsparse_index_base_SE_SE_SE_bbb.num_named_barrier, 0
	.set _ZN9rocsparseL51csrgemm_numeric_fill_block_per_row_multipass_kernelILj512ELj16ELj2048ELj32EiidEEvT4_PKS1_S3_NS_24const_host_device_scalarIT5_EEPKT3_S3_PKS5_S9_S3_SB_S6_S9_S3_SB_S9_S3_PS5_PS7_21rocsparse_index_base_SE_SE_SE_bbb.private_seg_size, 0
	.set _ZN9rocsparseL51csrgemm_numeric_fill_block_per_row_multipass_kernelILj512ELj16ELj2048ELj32EiidEEvT4_PKS1_S3_NS_24const_host_device_scalarIT5_EEPKT3_S3_PKS5_S9_S3_SB_S6_S9_S3_SB_S9_S3_PS5_PS7_21rocsparse_index_base_SE_SE_SE_bbb.uses_vcc, 1
	.set _ZN9rocsparseL51csrgemm_numeric_fill_block_per_row_multipass_kernelILj512ELj16ELj2048ELj32EiidEEvT4_PKS1_S3_NS_24const_host_device_scalarIT5_EEPKT3_S3_PKS5_S9_S3_SB_S6_S9_S3_SB_S9_S3_PS5_PS7_21rocsparse_index_base_SE_SE_SE_bbb.uses_flat_scratch, 0
	.set _ZN9rocsparseL51csrgemm_numeric_fill_block_per_row_multipass_kernelILj512ELj16ELj2048ELj32EiidEEvT4_PKS1_S3_NS_24const_host_device_scalarIT5_EEPKT3_S3_PKS5_S9_S3_SB_S6_S9_S3_SB_S9_S3_PS5_PS7_21rocsparse_index_base_SE_SE_SE_bbb.has_dyn_sized_stack, 0
	.set _ZN9rocsparseL51csrgemm_numeric_fill_block_per_row_multipass_kernelILj512ELj16ELj2048ELj32EiidEEvT4_PKS1_S3_NS_24const_host_device_scalarIT5_EEPKT3_S3_PKS5_S9_S3_SB_S6_S9_S3_SB_S9_S3_PS5_PS7_21rocsparse_index_base_SE_SE_SE_bbb.has_recursion, 0
	.set _ZN9rocsparseL51csrgemm_numeric_fill_block_per_row_multipass_kernelILj512ELj16ELj2048ELj32EiidEEvT4_PKS1_S3_NS_24const_host_device_scalarIT5_EEPKT3_S3_PKS5_S9_S3_SB_S6_S9_S3_SB_S9_S3_PS5_PS7_21rocsparse_index_base_SE_SE_SE_bbb.has_indirect_call, 0
	.section	.AMDGPU.csdata,"",@progbits
; Kernel info:
; codeLenInByte = 2680
; TotalNumSgprs: 58
; NumVgprs: 40
; ScratchSize: 0
; MemoryBound: 0
; FloatMode: 240
; IeeeMode: 1
; LDSByteSize: 18440 bytes/workgroup (compile time only)
; SGPRBlocks: 0
; VGPRBlocks: 2
; NumSGPRsForWavesPerEU: 58
; NumVGPRsForWavesPerEU: 40
; NamedBarCnt: 0
; Occupancy: 16
; WaveLimiterHint : 1
; COMPUTE_PGM_RSRC2:SCRATCH_EN: 0
; COMPUTE_PGM_RSRC2:USER_SGPR: 2
; COMPUTE_PGM_RSRC2:TRAP_HANDLER: 0
; COMPUTE_PGM_RSRC2:TGID_X_EN: 1
; COMPUTE_PGM_RSRC2:TGID_Y_EN: 0
; COMPUTE_PGM_RSRC2:TGID_Z_EN: 0
; COMPUTE_PGM_RSRC2:TIDIG_COMP_CNT: 0
	.section	.text._ZN9rocsparseL51csrgemm_numeric_fill_block_per_row_multipass_kernelILj512ELj16ELj2048ELj64EiidEEvT4_PKS1_S3_NS_24const_host_device_scalarIT5_EEPKT3_S3_PKS5_S9_S3_SB_S6_S9_S3_SB_S9_S3_PS5_PS7_21rocsparse_index_base_SE_SE_SE_bbb,"axG",@progbits,_ZN9rocsparseL51csrgemm_numeric_fill_block_per_row_multipass_kernelILj512ELj16ELj2048ELj64EiidEEvT4_PKS1_S3_NS_24const_host_device_scalarIT5_EEPKT3_S3_PKS5_S9_S3_SB_S6_S9_S3_SB_S9_S3_PS5_PS7_21rocsparse_index_base_SE_SE_SE_bbb,comdat
	.globl	_ZN9rocsparseL51csrgemm_numeric_fill_block_per_row_multipass_kernelILj512ELj16ELj2048ELj64EiidEEvT4_PKS1_S3_NS_24const_host_device_scalarIT5_EEPKT3_S3_PKS5_S9_S3_SB_S6_S9_S3_SB_S9_S3_PS5_PS7_21rocsparse_index_base_SE_SE_SE_bbb ; -- Begin function _ZN9rocsparseL51csrgemm_numeric_fill_block_per_row_multipass_kernelILj512ELj16ELj2048ELj64EiidEEvT4_PKS1_S3_NS_24const_host_device_scalarIT5_EEPKT3_S3_PKS5_S9_S3_SB_S6_S9_S3_SB_S9_S3_PS5_PS7_21rocsparse_index_base_SE_SE_SE_bbb
	.p2align	8
	.type	_ZN9rocsparseL51csrgemm_numeric_fill_block_per_row_multipass_kernelILj512ELj16ELj2048ELj64EiidEEvT4_PKS1_S3_NS_24const_host_device_scalarIT5_EEPKT3_S3_PKS5_S9_S3_SB_S6_S9_S3_SB_S9_S3_PS5_PS7_21rocsparse_index_base_SE_SE_SE_bbb,@function
_ZN9rocsparseL51csrgemm_numeric_fill_block_per_row_multipass_kernelILj512ELj16ELj2048ELj64EiidEEvT4_PKS1_S3_NS_24const_host_device_scalarIT5_EEPKT3_S3_PKS5_S9_S3_SB_S6_S9_S3_SB_S9_S3_PS5_PS7_21rocsparse_index_base_SE_SE_SE_bbb: ; @_ZN9rocsparseL51csrgemm_numeric_fill_block_per_row_multipass_kernelILj512ELj16ELj2048ELj64EiidEEvT4_PKS1_S3_NS_24const_host_device_scalarIT5_EEPKT3_S3_PKS5_S9_S3_SB_S6_S9_S3_SB_S9_S3_PS5_PS7_21rocsparse_index_base_SE_SE_SE_bbb
; %bb.0:
	s_clause 0x4
	s_load_b32 s11, s[0:1], 0xa0
	s_load_b64 s[8:9], s[0:1], 0x18
	s_load_b128 s[4:7], s[0:1], 0x8
	s_load_b128 s[28:31], s[0:1], 0x90
	s_load_b64 s[2:3], s[0:1], 0x50
	s_wait_kmcnt 0x0
	s_bitcmp1_b32 s11, 0
	s_cselect_b32 s10, -1, 0
	s_bitcmp1_b32 s11, 16
	s_cselect_b32 s12, -1, 0
	s_xor_b32 s13, s10, -1
	s_delay_alu instid0(SALU_CYCLE_1)
	s_or_b32 s13, s12, s13
	s_and_b32 s14, s10, exec_lo
	s_cselect_b32 s15, s9, 0
	s_cselect_b32 s14, s8, 0
	s_and_b32 vcc_lo, exec_lo, s13
	v_mov_b64_e32 v[2:3], s[14:15]
	s_cbranch_vccnz .LBB39_2
; %bb.1:
	v_mov_b32_e32 v1, 0
	flat_load_b64 v[2:3], v1, s[8:9]
.LBB39_2:
	s_bitcmp1_b32 s11, 8
	s_cselect_b32 s33, -1, 0
	s_wait_xcnt 0x0
	s_xor_b32 s8, s33, -1
	s_delay_alu instid0(SALU_CYCLE_1)
	s_or_b32 s11, s12, s8
	s_and_b32 s8, s33, exec_lo
	s_cselect_b32 s9, s3, 0
	s_cselect_b32 s8, s2, 0
	s_and_b32 vcc_lo, exec_lo, s11
	v_mov_b64_e32 v[4:5], s[8:9]
	s_cbranch_vccnz .LBB39_4
; %bb.3:
	v_mov_b32_e32 v1, 0
	flat_load_b64 v[4:5], v1, s[2:3]
.LBB39_4:
	s_wait_xcnt 0x0
	s_load_b32 s2, s[4:5], 0x0
	s_bfe_u32 s3, ttmp6, 0x4000c
	s_wait_xcnt 0x0
	s_and_b32 s4, ttmp6, 15
	s_add_co_i32 s3, s3, 1
	s_getreg_b32 s5, hwreg(HW_REG_IB_STS2, 6, 4)
	s_mul_i32 s3, ttmp9, s3
	s_mov_b32 s40, 0
	s_add_co_i32 s4, s4, s3
	s_cmp_eq_u32 s5, 0
	s_cselect_b32 s3, ttmp9, s4
	s_and_not1_b32 vcc_lo, exec_lo, s10
	s_wait_kmcnt 0x0
	s_add_co_i32 s4, s2, s3
	s_load_b64 s[2:3], s[0:1], 0x20
	s_load_b32 s8, s[6:7], s4 offset:0x0 scale_offset
	s_wait_xcnt 0x0
	s_mov_b32 s7, 0
	s_cbranch_vccz .LBB39_7
; %bb.5:
	s_and_not1_b32 vcc_lo, exec_lo, s10
	s_cbranch_vccz .LBB39_8
.LBB39_6:
	s_load_b32 s41, s[0:1], 0x0
	s_wait_kmcnt 0x0
	s_cmp_lt_i32 s41, 1
	s_cbranch_scc0 .LBB39_9
	s_branch .LBB39_62
.LBB39_7:
	s_wait_kmcnt 0x0
	s_ashr_i32 s9, s8, 31
	s_delay_alu instid0(SALU_CYCLE_1) | instskip(NEXT) | instid1(SALU_CYCLE_1)
	s_lshl_b64 s[4:5], s[8:9], 2
	s_add_nc_u64 s[4:5], s[2:3], s[4:5]
	s_load_b32 s4, s[4:5], 0x0
	s_wait_kmcnt 0x0
	s_sub_co_i32 s7, s4, s28
	s_and_not1_b32 vcc_lo, exec_lo, s10
	s_cbranch_vccnz .LBB39_6
.LBB39_8:
	s_wait_kmcnt 0x0
	s_ashr_i32 s9, s8, 31
	s_delay_alu instid0(SALU_CYCLE_1) | instskip(NEXT) | instid1(SALU_CYCLE_1)
	s_lshl_b64 s[4:5], s[8:9], 2
	s_add_nc_u64 s[2:3], s[2:3], s[4:5]
	s_load_b32 s2, s[2:3], 0x4
	s_wait_kmcnt 0x0
	s_sub_co_i32 s40, s2, s28
	s_load_b32 s41, s[0:1], 0x0
	s_wait_kmcnt 0x0
	s_cmp_lt_i32 s41, 1
	s_cbranch_scc1 .LBB39_62
.LBB39_9:
	s_clause 0x3
	s_load_b256 s[12:19], s[0:1], 0x58
	s_load_b128 s[36:39], s[0:1], 0x80
	s_load_b256 s[20:27], s[0:1], 0x28
	s_load_b64 s[34:35], s[0:1], 0x48
	v_mbcnt_lo_u32_b32 v6, -1, 0
	s_ashr_i32 s9, s8, 31
	v_dual_lshrrev_b32 v1, 4, v0 :: v_dual_bitop2_b32 v7, 15, v0 bitop3:0x40
	s_lshl_b64 s[42:43], s[8:9], 2
	s_delay_alu instid0(VALU_DEP_2) | instskip(SKIP_1) | instid1(VALU_DEP_3)
	v_xor_b32_e32 v11, 1, v6
	v_dual_mov_b32 v17, 0 :: v_dual_bitop2_b32 v8, 8, v6 bitop3:0x14
	v_dual_add_nc_u32 v18, s7, v1 :: v_dual_bitop2_b32 v19, 28, v1 bitop3:0x40
	s_wait_xcnt 0x0
	v_cmp_eq_u32_e64 s0, 0, v0
	v_subrev_nc_u32_e32 v16, s31, v0
	v_cmp_eq_u32_e64 s1, 0x1ff, v0
	v_cmp_gt_u32_e64 s2, 64, v0
	v_cmp_gt_u32_e64 s3, 0x80, v0
	;; [unrolled: 1-line block ×3, first 2 shown]
	s_wait_kmcnt 0x0
	s_add_nc_u64 s[8:9], s[18:19], s[42:43]
	v_cmp_gt_u32_e64 s5, 0x100, v0
	s_load_b32 s9, s[8:9], 0x0
	s_wait_xcnt 0x0
	v_cmp_gt_i32_e64 s8, 32, v8
	v_xor_b32_e32 v9, 4, v6
	v_cmp_gt_u32_e64 s6, 0x140, v0
	v_cmp_gt_i32_e32 vcc_lo, s40, v18
	v_or_b32_e32 v24, 0xfffffe00, v0
	v_cndmask_b32_e64 v1, v6, v8, s8
	v_cmp_gt_i32_e64 s8, 32, v9
	v_xor_b32_e32 v10, 2, v6
	v_cmp_eq_u32_e64 s7, 15, v7
	v_dual_mov_b32 v29, 0x800 :: v_dual_mov_b32 v28, 0
	s_delay_alu instid0(VALU_DEP_4) | instskip(NEXT) | instid1(VALU_DEP_4)
	v_cndmask_b32_e64 v8, v6, v9, s8
	v_cmp_gt_i32_e64 s8, 32, v10
	v_dual_lshlrev_b32 v20, 2, v1 :: v_dual_bitop2_b32 v12, 31, v6 bitop3:0x14
	s_delay_alu instid0(VALU_DEP_3) | instskip(NEXT) | instid1(VALU_DEP_3)
	v_dual_mov_b32 v27, 1 :: v_dual_lshlrev_b32 v21, 2, v8
	v_cndmask_b32_e64 v9, v6, v10, s8
	v_cmp_gt_i32_e64 s8, 32, v11
	s_wait_kmcnt 0x0
	s_sub_co_i32 s11, s9, s30
	v_cmp_gt_u32_e64 s9, 0x1c0, v0
	v_dual_mov_b32 v26, s11 :: v_dual_lshlrev_b32 v25, 3, v0
	v_cndmask_b32_e64 v10, v6, v11, s8
	v_cmp_gt_u32_e64 s8, 0x180, v0
	v_mov_b64_e32 v[0:1], 0
	v_lshrrev_b32_e64 v6, v12, -1
	s_delay_alu instid0(VALU_DEP_4)
	v_dual_lshlrev_b32 v22, 2, v9 :: v_dual_lshlrev_b32 v23, 2, v10
	s_add_nc_u64 s[18:19], s[12:13], s[42:43]
	s_and_b32 s13, s10, vcc_lo
	s_branch .LBB39_11
.LBB39_10:                              ;   in Loop: Header=BB39_11 Depth=1
	s_or_b32 exec_lo, exec_lo, s10
	ds_load_b32 v28, v17 offset:18432
	s_wait_dscnt 0x0
	s_barrier_signal -1
	s_barrier_wait -1
	v_cmp_le_i32_e32 vcc_lo, s41, v28
	v_add_nc_u32_e32 v29, 0x800, v28
	s_cbranch_vccnz .LBB39_62
.LBB39_11:                              ; =>This Loop Header: Depth=1
                                        ;     Child Loop BB39_12 Depth 2
                                        ;     Child Loop BB39_18 Depth 2
                                        ;       Child Loop BB39_24 Depth 3
                                        ;     Child Loop BB39_41 Depth 2
                                        ;     Child Loop BB39_53 Depth 2
	;; [unrolled: 1-line block ×3, first 2 shown]
	v_dual_mov_b32 v8, v25 :: v_dual_mov_b32 v9, v24
	s_mov_b32 s10, 0
.LBB39_12:                              ;   Parent Loop BB39_11 Depth=1
                                        ; =>  This Inner Loop Header: Depth=2
	ds_store_b8 v9, v17 offset:16896
	v_add_nc_u32_e32 v9, 0x200, v9
	ds_store_b64 v8, v[0:1]
	v_add_nc_u32_e32 v8, 0x1000, v8
	v_cmp_lt_u32_e32 vcc_lo, 0x5ff, v9
	s_or_b32 s10, vcc_lo, s10
	s_delay_alu instid0(SALU_CYCLE_1)
	s_and_not1_b32 exec_lo, exec_lo, s10
	s_cbranch_execnz .LBB39_12
; %bb.13:                               ;   in Loop: Header=BB39_11 Depth=1
	s_or_b32 exec_lo, exec_lo, s10
	s_and_saveexec_b32 s10, s0
; %bb.14:                               ;   in Loop: Header=BB39_11 Depth=1
	v_mov_b32_e32 v8, s41
	ds_store_b32 v17, v8 offset:18432
; %bb.15:                               ;   in Loop: Header=BB39_11 Depth=1
	s_or_b32 exec_lo, exec_lo, s10
	v_mov_b32_e32 v30, s41
	s_wait_loadcnt_dscnt 0x0
	s_barrier_signal -1
	s_barrier_wait -1
	s_and_saveexec_b32 s30, s13
	s_cbranch_execz .LBB39_37
; %bb.16:                               ;   in Loop: Header=BB39_11 Depth=1
	v_cmp_ne_u32_e64 s10, 0, v28
	v_dual_mov_b32 v30, s41 :: v_dual_mov_b32 v8, v18
	s_mov_b32 s42, 0
	s_branch .LBB39_18
.LBB39_17:                              ;   in Loop: Header=BB39_18 Depth=2
	s_wait_xcnt 0x0
	s_or_b32 exec_lo, exec_lo, s11
	v_add_nc_u32_e32 v8, 32, v8
	s_delay_alu instid0(VALU_DEP_1) | instskip(SKIP_1) | instid1(SALU_CYCLE_1)
	v_cmp_le_i32_e32 vcc_lo, s40, v8
	s_or_b32 s42, vcc_lo, s42
	s_and_not1_b32 exec_lo, exec_lo, s42
	s_cbranch_execz .LBB39_36
.LBB39_18:                              ;   Parent Loop BB39_11 Depth=1
                                        ; =>  This Loop Header: Depth=2
                                        ;       Child Loop BB39_24 Depth 3
	global_load_b32 v10, v8, s[20:21] scale_offset
	s_wait_dscnt 0x0
	global_load_b64 v[12:13], v8, s[22:23] scale_offset
	s_and_b32 vcc_lo, exec_lo, s10
	s_wait_loadcnt 0x1
	v_subrev_nc_u32_e32 v14, s28, v10
	s_delay_alu instid0(VALU_DEP_1) | instskip(NEXT) | instid1(VALU_DEP_1)
	v_dual_ashrrev_i32 v9, 31, v8 :: v_dual_ashrrev_i32 v15, 31, v14
	v_lshl_add_u64 v[10:11], v[8:9], 2, s[38:39]
	s_cbranch_vccz .LBB39_35
; %bb.19:                               ;   in Loop: Header=BB39_18 Depth=2
	global_load_b32 v9, v[10:11], off
	s_cbranch_execnz .LBB39_21
.LBB39_20:                              ;   in Loop: Header=BB39_18 Depth=2
	s_wait_loadcnt 0x0
	global_load_b32 v9, v14, s[24:25] scale_offset
	s_wait_loadcnt 0x0
	v_subrev_nc_u32_e32 v9, s29, v9
.LBB39_21:                              ;   in Loop: Header=BB39_18 Depth=2
	s_wait_xcnt 0x0
	v_lshl_add_u64 v[14:15], v[14:15], 2, s[24:25]
	s_wait_loadcnt 0x0
	s_delay_alu instid0(VALU_DEP_2)
	v_add_nc_u32_e32 v9, v9, v7
	s_mov_b32 s43, exec_lo
	global_load_b32 v14, v[14:15], off offset:4
	s_wait_loadcnt 0x0
	v_subrev_nc_u32_e32 v31, s29, v14
	s_wait_xcnt 0x0
	s_delay_alu instid0(VALU_DEP_1)
	v_cmpx_lt_i32_e64 v9, v31
	s_cbranch_execz .LBB39_33
; %bb.22:                               ;   in Loop: Header=BB39_18 Depth=2
	v_dual_mul_f64 v[12:13], v[2:3], v[12:13] :: v_dual_mov_b32 v15, v9
	s_mov_b32 s45, 0
                                        ; implicit-def: $sgpr44
                                        ; implicit-def: $sgpr46
	s_branch .LBB39_24
.LBB39_23:                              ;   in Loop: Header=BB39_24 Depth=3
	s_or_b32 exec_lo, exec_lo, s47
	s_delay_alu instid0(SALU_CYCLE_1) | instskip(NEXT) | instid1(SALU_CYCLE_1)
	s_and_b32 s11, exec_lo, s12
	s_or_b32 s45, s11, s45
	s_and_not1_b32 s11, s44, exec_lo
	s_and_b32 s12, s46, exec_lo
	s_delay_alu instid0(SALU_CYCLE_1)
	s_or_b32 s44, s11, s12
	s_and_not1_b32 exec_lo, exec_lo, s45
	s_cbranch_execz .LBB39_30
.LBB39_24:                              ;   Parent Loop BB39_11 Depth=1
                                        ;     Parent Loop BB39_18 Depth=2
                                        ; =>    This Inner Loop Header: Depth=3
	s_delay_alu instid0(VALU_DEP_1) | instskip(SKIP_3) | instid1(VALU_DEP_1)
	v_mov_b32_e32 v14, v15
	global_load_b32 v15, v15, s[26:27] scale_offset
	s_wait_loadcnt 0x0
	v_subrev_nc_u32_e32 v32, s29, v15
	v_cmp_lt_i32_e64 s11, v32, v28
	v_cmp_ge_i32_e64 s12, v32, v29
	v_cmp_lt_i32_e32 vcc_lo, v32, v29
	s_or_b32 s12, s11, s12
	s_mov_b32 s11, 0
	s_wait_xcnt 0x0
	s_and_saveexec_b32 s47, s12
	s_delay_alu instid0(SALU_CYCLE_1)
	s_xor_b32 s12, exec_lo, s47
; %bb.25:                               ;   in Loop: Header=BB39_24 Depth=3
	s_and_b32 s11, vcc_lo, exec_lo
; %bb.26:                               ;   in Loop: Header=BB39_24 Depth=3
	s_and_not1_saveexec_b32 s12, s12
	s_cbranch_execz .LBB39_28
; %bb.27:                               ;   in Loop: Header=BB39_24 Depth=3
	v_ashrrev_i32_e32 v15, 31, v14
	s_or_b32 s11, s11, exec_lo
	s_delay_alu instid0(VALU_DEP_1)
	v_lshl_add_u64 v[34:35], v[14:15], 3, s[34:35]
	v_sub_nc_u32_e32 v15, v32, v28
	global_load_b64 v[34:35], v[34:35], off
	v_lshlrev_b32_e32 v33, 3, v15
	ds_store_b8 v15, v27 offset:16384
	s_wait_loadcnt 0x0
	s_wait_xcnt 0x0
	v_mul_f64_e32 v[34:35], v[12:13], v[34:35]
	ds_add_f64 v33, v[34:35]
.LBB39_28:                              ;   in Loop: Header=BB39_24 Depth=3
	s_or_b32 exec_lo, exec_lo, s12
	s_mov_b32 s12, -1
	s_or_b32 s46, s46, exec_lo
                                        ; implicit-def: $vgpr15
	s_and_saveexec_b32 s47, s11
	s_cbranch_execz .LBB39_23
; %bb.29:                               ;   in Loop: Header=BB39_24 Depth=3
	v_add_nc_u32_e32 v15, 16, v14
	s_and_not1_b32 s46, s46, exec_lo
	s_delay_alu instid0(VALU_DEP_1)
	v_cmp_ge_i32_e32 vcc_lo, v15, v31
	s_or_not1_b32 s12, vcc_lo, exec_lo
	s_branch .LBB39_23
.LBB39_30:                              ;   in Loop: Header=BB39_18 Depth=2
	s_or_b32 exec_lo, exec_lo, s45
	s_and_saveexec_b32 s11, s44
	s_delay_alu instid0(SALU_CYCLE_1)
	s_xor_b32 s11, exec_lo, s11
; %bb.31:                               ;   in Loop: Header=BB39_18 Depth=2
	v_dual_mov_b32 v9, v14 :: v_dual_min_i32 v30, v32, v30
; %bb.32:                               ;   in Loop: Header=BB39_18 Depth=2
	s_or_b32 exec_lo, exec_lo, s11
.LBB39_33:                              ;   in Loop: Header=BB39_18 Depth=2
	s_delay_alu instid0(SALU_CYCLE_1)
	s_or_b32 exec_lo, exec_lo, s43
	ds_bpermute_b32 v12, v20, v9
	s_wait_dscnt 0x0
	v_min_i32_e32 v9, v12, v9
	ds_bpermute_b32 v12, v21, v9
	s_wait_dscnt 0x0
	v_min_i32_e32 v9, v12, v9
	;; [unrolled: 3-line block ×3, first 2 shown]
	ds_bpermute_b32 v12, v23, v9
	s_and_saveexec_b32 s11, s7
	s_cbranch_execz .LBB39_17
; %bb.34:                               ;   in Loop: Header=BB39_18 Depth=2
	s_wait_dscnt 0x0
	v_min_i32_e32 v9, v12, v9
	global_store_b32 v[10:11], v9, off
	s_branch .LBB39_17
.LBB39_35:                              ;   in Loop: Header=BB39_18 Depth=2
                                        ; implicit-def: $vgpr9
	s_branch .LBB39_20
.LBB39_36:                              ;   in Loop: Header=BB39_11 Depth=1
	s_or_b32 exec_lo, exec_lo, s42
.LBB39_37:                              ;   in Loop: Header=BB39_11 Depth=1
	s_delay_alu instid0(SALU_CYCLE_1) | instskip(NEXT) | instid1(SALU_CYCLE_1)
	s_or_b32 exec_lo, exec_lo, s30
	s_and_not1_b32 vcc_lo, exec_lo, s33
	s_cbranch_vccnz .LBB39_51
; %bb.38:                               ;   in Loop: Header=BB39_11 Depth=1
	s_load_b64 s[10:11], s[18:19], 0x0
	s_mov_b32 s12, exec_lo
	s_wait_kmcnt 0x0
	v_add_nc_u32_e32 v8, s10, v16
	s_sub_co_i32 s30, s11, s31
	s_delay_alu instid0(VALU_DEP_1) | instid1(SALU_CYCLE_1)
	v_cmpx_gt_i32_e64 s30, v8
	s_cbranch_execz .LBB39_50
; %bb.39:                               ;   in Loop: Header=BB39_11 Depth=1
	s_mov_b32 s42, 0
                                        ; implicit-def: $sgpr43
                                        ; implicit-def: $sgpr44
	s_branch .LBB39_41
.LBB39_40:                              ;   in Loop: Header=BB39_41 Depth=2
	s_or_b32 exec_lo, exec_lo, s45
	s_delay_alu instid0(SALU_CYCLE_1) | instskip(NEXT) | instid1(SALU_CYCLE_1)
	s_and_b32 s10, exec_lo, s11
	s_or_b32 s42, s10, s42
	s_and_not1_b32 s10, s43, exec_lo
	s_and_b32 s11, s44, exec_lo
	s_delay_alu instid0(SALU_CYCLE_1)
	s_or_b32 s43, s10, s11
	s_and_not1_b32 exec_lo, exec_lo, s42
	s_cbranch_execz .LBB39_47
.LBB39_41:                              ;   Parent Loop BB39_11 Depth=1
                                        ; =>  This Inner Loop Header: Depth=2
	global_load_b32 v9, v8, s[14:15] scale_offset
	s_wait_loadcnt 0x0
	v_subrev_nc_u32_e32 v10, s31, v9
	s_delay_alu instid0(VALU_DEP_1)
	v_cmp_lt_i32_e64 s10, v10, v28
	v_cmp_ge_i32_e64 s11, v10, v29
	v_cmp_lt_i32_e32 vcc_lo, v10, v29
	s_or_b32 s11, s10, s11
	s_mov_b32 s10, 0
	s_wait_xcnt 0x0
	s_and_saveexec_b32 s45, s11
	s_delay_alu instid0(SALU_CYCLE_1)
	s_xor_b32 s11, exec_lo, s45
; %bb.42:                               ;   in Loop: Header=BB39_41 Depth=2
	s_and_b32 s10, vcc_lo, exec_lo
; %bb.43:                               ;   in Loop: Header=BB39_41 Depth=2
	s_or_saveexec_b32 s11, s11
	v_ashrrev_i32_e32 v9, 31, v8
	s_xor_b32 exec_lo, exec_lo, s11
	s_cbranch_execz .LBB39_45
; %bb.44:                               ;   in Loop: Header=BB39_41 Depth=2
	s_wait_dscnt 0x0
	s_delay_alu instid0(VALU_DEP_1)
	v_lshl_add_u64 v[12:13], v[8:9], 3, s[16:17]
	v_sub_nc_u32_e32 v9, v10, v28
	s_or_b32 s10, s10, exec_lo
	global_load_b64 v[12:13], v[12:13], off
	v_lshlrev_b32_e32 v11, 3, v9
	ds_store_b8 v9, v27 offset:16384
	s_wait_loadcnt 0x0
	s_wait_xcnt 0x0
	v_mul_f64_e32 v[12:13], v[4:5], v[12:13]
	ds_add_f64 v11, v[12:13]
.LBB39_45:                              ;   in Loop: Header=BB39_41 Depth=2
	s_or_b32 exec_lo, exec_lo, s11
	s_mov_b32 s11, -1
	s_or_b32 s44, s44, exec_lo
	s_and_saveexec_b32 s45, s10
	s_cbranch_execz .LBB39_40
; %bb.46:                               ;   in Loop: Header=BB39_41 Depth=2
	v_add_nc_u32_e32 v8, 0x200, v8
	s_and_not1_b32 s44, s44, exec_lo
	s_delay_alu instid0(VALU_DEP_1)
	v_cmp_le_i32_e32 vcc_lo, s30, v8
	s_or_not1_b32 s11, vcc_lo, exec_lo
	s_branch .LBB39_40
.LBB39_47:                              ;   in Loop: Header=BB39_11 Depth=1
	s_or_b32 exec_lo, exec_lo, s42
	s_and_saveexec_b32 s10, s43
	s_delay_alu instid0(SALU_CYCLE_1)
	s_xor_b32 s10, exec_lo, s10
; %bb.48:                               ;   in Loop: Header=BB39_11 Depth=1
	v_min_i32_e32 v30, v10, v30
; %bb.49:                               ;   in Loop: Header=BB39_11 Depth=1
	s_or_b32 exec_lo, exec_lo, s10
.LBB39_50:                              ;   in Loop: Header=BB39_11 Depth=1
	s_delay_alu instid0(SALU_CYCLE_1)
	s_or_b32 exec_lo, exec_lo, s12
.LBB39_51:                              ;   in Loop: Header=BB39_11 Depth=1
	ds_bpermute_b32 v8, v20, v30
	s_wait_dscnt 0x0
	v_min_i32_e32 v8, v8, v30
	ds_bpermute_b32 v9, v21, v8
	s_wait_dscnt 0x0
	v_min_i32_e32 v8, v9, v8
	;; [unrolled: 3-line block ×3, first 2 shown]
	ds_bpermute_b32 v9, v23, v8
	s_and_saveexec_b32 s10, s7
	s_cbranch_execz .LBB39_56
; %bb.52:                               ;   in Loop: Header=BB39_11 Depth=1
	s_wait_dscnt 0x0
	v_min_i32_e32 v8, v9, v8
	s_mov_b32 s12, exec_lo
	s_brev_b32 s11, -2
.LBB39_53:                              ;   Parent Loop BB39_11 Depth=1
                                        ; =>  This Inner Loop Header: Depth=2
	s_ctz_i32_b32 s30, s12
	s_delay_alu instid0(VALU_DEP_1) | instid1(SALU_CYCLE_1)
	v_readlane_b32 s42, v8, s30
	s_lshl_b32 s30, 1, s30
	s_delay_alu instid0(SALU_CYCLE_1)
	s_and_not1_b32 s12, s12, s30
	s_min_i32 s11, s11, s42
	s_cmp_lg_u32 s12, 0
	s_cbranch_scc1 .LBB39_53
; %bb.54:                               ;   in Loop: Header=BB39_11 Depth=1
	v_mbcnt_lo_u32_b32 v8, exec_lo, 0
	s_mov_b32 s12, exec_lo
	s_delay_alu instid0(VALU_DEP_1)
	v_cmpx_eq_u32_e32 0, v8
	s_xor_b32 s12, exec_lo, s12
; %bb.55:                               ;   in Loop: Header=BB39_11 Depth=1
	v_mov_b32_e32 v8, s11
	ds_min_i32 v17, v8 offset:18432
.LBB39_56:                              ;   in Loop: Header=BB39_11 Depth=1
	s_or_b32 exec_lo, exec_lo, s10
	v_dual_mov_b32 v10, v25 :: v_dual_mov_b32 v11, v24
	s_mov_b32 s10, 0
	s_wait_storecnt_dscnt 0x0
	s_barrier_signal -1
	s_barrier_wait -1
	s_branch .LBB39_58
.LBB39_57:                              ;   in Loop: Header=BB39_58 Depth=2
	s_or_b32 exec_lo, exec_lo, s11
	s_wait_storecnt_dscnt 0x0
	s_barrier_signal -1
	s_barrier_wait -1
	ds_load_b32 v8, v17 offset:28
	v_add_nc_u32_e32 v11, 0x200, v11
	v_add_nc_u32_e32 v10, 0x1000, v10
	s_delay_alu instid0(VALU_DEP_2)
	v_cmp_lt_u32_e32 vcc_lo, 0x5ff, v11
	s_or_b32 s10, vcc_lo, s10
	s_wait_dscnt 0x0
	v_add_nc_u32_e32 v26, v8, v26
	s_and_not1_b32 exec_lo, exec_lo, s10
	s_cbranch_execz .LBB39_10
.LBB39_58:                              ;   Parent Loop BB39_11 Depth=1
                                        ; =>  This Inner Loop Header: Depth=2
	ds_load_u8 v31, v11 offset:16896
	ds_load_b64 v[8:9], v10
	s_wait_dscnt 0x0
	s_barrier_signal -1
	s_barrier_wait -1
	v_cmp_ne_u16_e32 vcc_lo, 0, v31
	s_bcnt1_i32_b32 s11, vcc_lo
	s_delay_alu instid0(SALU_CYCLE_1)
	v_dual_mov_b32 v12, s11 :: v_dual_bitop2_b32 v32, vcc_lo, v6 bitop3:0x40
	s_mov_b32 s11, exec_lo
	ds_store_b32 v19, v12
	s_wait_dscnt 0x0
	s_barrier_signal -1
	s_barrier_wait -1
	ds_load_b128 v[12:15], v17
	ds_load_b96 v[28:30], v17 offset:16
	s_wait_dscnt 0x1
	v_cndmask_b32_e64 v12, v12, 0, s2
	v_cndmask_b32_e64 v13, v13, 0, s3
	;; [unrolled: 1-line block ×4, first 2 shown]
	s_wait_dscnt 0x0
	v_cndmask_b32_e64 v28, v28, 0, s6
	v_bcnt_u32_b32 v12, v32, v12
	s_delay_alu instid0(VALU_DEP_1) | instskip(SKIP_2) | instid1(VALU_DEP_3)
	v_add3_u32 v12, v12, v13, v14
	v_cndmask_b32_e64 v13, v29, 0, s8
	v_cndmask_b32_e64 v14, v30, 0, s9
	v_add3_u32 v12, v12, v15, v28
	v_and_b32_e32 v15, 1, v31
	s_delay_alu instid0(VALU_DEP_2) | instskip(NEXT) | instid1(VALU_DEP_2)
	v_add3_u32 v12, v12, v13, v14
	v_cmpx_eq_u32_e32 1, v15
	s_cbranch_execz .LBB39_60
; %bb.59:                               ;   in Loop: Header=BB39_58 Depth=2
	s_delay_alu instid0(VALU_DEP_2)
	v_add_nc_u32_e32 v13, v12, v26
	global_store_b64 v13, v[8:9], s[36:37] offset:-8 scale_offset
.LBB39_60:                              ;   in Loop: Header=BB39_58 Depth=2
	s_wait_xcnt 0x0
	s_or_b32 exec_lo, exec_lo, s11
	s_and_saveexec_b32 s11, s1
	s_cbranch_execz .LBB39_57
; %bb.61:                               ;   in Loop: Header=BB39_58 Depth=2
	ds_store_b32 v17, v12 offset:28
	s_branch .LBB39_57
.LBB39_62:
	s_endpgm
	.section	.rodata,"a",@progbits
	.p2align	6, 0x0
	.amdhsa_kernel _ZN9rocsparseL51csrgemm_numeric_fill_block_per_row_multipass_kernelILj512ELj16ELj2048ELj64EiidEEvT4_PKS1_S3_NS_24const_host_device_scalarIT5_EEPKT3_S3_PKS5_S9_S3_SB_S6_S9_S3_SB_S9_S3_PS5_PS7_21rocsparse_index_base_SE_SE_SE_bbb
		.amdhsa_group_segment_fixed_size 18440
		.amdhsa_private_segment_fixed_size 0
		.amdhsa_kernarg_size 164
		.amdhsa_user_sgpr_count 2
		.amdhsa_user_sgpr_dispatch_ptr 0
		.amdhsa_user_sgpr_queue_ptr 0
		.amdhsa_user_sgpr_kernarg_segment_ptr 1
		.amdhsa_user_sgpr_dispatch_id 0
		.amdhsa_user_sgpr_kernarg_preload_length 0
		.amdhsa_user_sgpr_kernarg_preload_offset 0
		.amdhsa_user_sgpr_private_segment_size 0
		.amdhsa_wavefront_size32 1
		.amdhsa_uses_dynamic_stack 0
		.amdhsa_enable_private_segment 0
		.amdhsa_system_sgpr_workgroup_id_x 1
		.amdhsa_system_sgpr_workgroup_id_y 0
		.amdhsa_system_sgpr_workgroup_id_z 0
		.amdhsa_system_sgpr_workgroup_info 0
		.amdhsa_system_vgpr_workitem_id 0
		.amdhsa_next_free_vgpr 36
		.amdhsa_next_free_sgpr 48
		.amdhsa_named_barrier_count 0
		.amdhsa_reserve_vcc 1
		.amdhsa_float_round_mode_32 0
		.amdhsa_float_round_mode_16_64 0
		.amdhsa_float_denorm_mode_32 3
		.amdhsa_float_denorm_mode_16_64 3
		.amdhsa_fp16_overflow 0
		.amdhsa_memory_ordered 1
		.amdhsa_forward_progress 1
		.amdhsa_inst_pref_size 20
		.amdhsa_round_robin_scheduling 0
		.amdhsa_exception_fp_ieee_invalid_op 0
		.amdhsa_exception_fp_denorm_src 0
		.amdhsa_exception_fp_ieee_div_zero 0
		.amdhsa_exception_fp_ieee_overflow 0
		.amdhsa_exception_fp_ieee_underflow 0
		.amdhsa_exception_fp_ieee_inexact 0
		.amdhsa_exception_int_div_zero 0
	.end_amdhsa_kernel
	.section	.text._ZN9rocsparseL51csrgemm_numeric_fill_block_per_row_multipass_kernelILj512ELj16ELj2048ELj64EiidEEvT4_PKS1_S3_NS_24const_host_device_scalarIT5_EEPKT3_S3_PKS5_S9_S3_SB_S6_S9_S3_SB_S9_S3_PS5_PS7_21rocsparse_index_base_SE_SE_SE_bbb,"axG",@progbits,_ZN9rocsparseL51csrgemm_numeric_fill_block_per_row_multipass_kernelILj512ELj16ELj2048ELj64EiidEEvT4_PKS1_S3_NS_24const_host_device_scalarIT5_EEPKT3_S3_PKS5_S9_S3_SB_S6_S9_S3_SB_S9_S3_PS5_PS7_21rocsparse_index_base_SE_SE_SE_bbb,comdat
.Lfunc_end39:
	.size	_ZN9rocsparseL51csrgemm_numeric_fill_block_per_row_multipass_kernelILj512ELj16ELj2048ELj64EiidEEvT4_PKS1_S3_NS_24const_host_device_scalarIT5_EEPKT3_S3_PKS5_S9_S3_SB_S6_S9_S3_SB_S9_S3_PS5_PS7_21rocsparse_index_base_SE_SE_SE_bbb, .Lfunc_end39-_ZN9rocsparseL51csrgemm_numeric_fill_block_per_row_multipass_kernelILj512ELj16ELj2048ELj64EiidEEvT4_PKS1_S3_NS_24const_host_device_scalarIT5_EEPKT3_S3_PKS5_S9_S3_SB_S6_S9_S3_SB_S9_S3_PS5_PS7_21rocsparse_index_base_SE_SE_SE_bbb
                                        ; -- End function
	.set _ZN9rocsparseL51csrgemm_numeric_fill_block_per_row_multipass_kernelILj512ELj16ELj2048ELj64EiidEEvT4_PKS1_S3_NS_24const_host_device_scalarIT5_EEPKT3_S3_PKS5_S9_S3_SB_S6_S9_S3_SB_S9_S3_PS5_PS7_21rocsparse_index_base_SE_SE_SE_bbb.num_vgpr, 36
	.set _ZN9rocsparseL51csrgemm_numeric_fill_block_per_row_multipass_kernelILj512ELj16ELj2048ELj64EiidEEvT4_PKS1_S3_NS_24const_host_device_scalarIT5_EEPKT3_S3_PKS5_S9_S3_SB_S6_S9_S3_SB_S9_S3_PS5_PS7_21rocsparse_index_base_SE_SE_SE_bbb.num_agpr, 0
	.set _ZN9rocsparseL51csrgemm_numeric_fill_block_per_row_multipass_kernelILj512ELj16ELj2048ELj64EiidEEvT4_PKS1_S3_NS_24const_host_device_scalarIT5_EEPKT3_S3_PKS5_S9_S3_SB_S6_S9_S3_SB_S9_S3_PS5_PS7_21rocsparse_index_base_SE_SE_SE_bbb.numbered_sgpr, 48
	.set _ZN9rocsparseL51csrgemm_numeric_fill_block_per_row_multipass_kernelILj512ELj16ELj2048ELj64EiidEEvT4_PKS1_S3_NS_24const_host_device_scalarIT5_EEPKT3_S3_PKS5_S9_S3_SB_S6_S9_S3_SB_S9_S3_PS5_PS7_21rocsparse_index_base_SE_SE_SE_bbb.num_named_barrier, 0
	.set _ZN9rocsparseL51csrgemm_numeric_fill_block_per_row_multipass_kernelILj512ELj16ELj2048ELj64EiidEEvT4_PKS1_S3_NS_24const_host_device_scalarIT5_EEPKT3_S3_PKS5_S9_S3_SB_S6_S9_S3_SB_S9_S3_PS5_PS7_21rocsparse_index_base_SE_SE_SE_bbb.private_seg_size, 0
	.set _ZN9rocsparseL51csrgemm_numeric_fill_block_per_row_multipass_kernelILj512ELj16ELj2048ELj64EiidEEvT4_PKS1_S3_NS_24const_host_device_scalarIT5_EEPKT3_S3_PKS5_S9_S3_SB_S6_S9_S3_SB_S9_S3_PS5_PS7_21rocsparse_index_base_SE_SE_SE_bbb.uses_vcc, 1
	.set _ZN9rocsparseL51csrgemm_numeric_fill_block_per_row_multipass_kernelILj512ELj16ELj2048ELj64EiidEEvT4_PKS1_S3_NS_24const_host_device_scalarIT5_EEPKT3_S3_PKS5_S9_S3_SB_S6_S9_S3_SB_S9_S3_PS5_PS7_21rocsparse_index_base_SE_SE_SE_bbb.uses_flat_scratch, 0
	.set _ZN9rocsparseL51csrgemm_numeric_fill_block_per_row_multipass_kernelILj512ELj16ELj2048ELj64EiidEEvT4_PKS1_S3_NS_24const_host_device_scalarIT5_EEPKT3_S3_PKS5_S9_S3_SB_S6_S9_S3_SB_S9_S3_PS5_PS7_21rocsparse_index_base_SE_SE_SE_bbb.has_dyn_sized_stack, 0
	.set _ZN9rocsparseL51csrgemm_numeric_fill_block_per_row_multipass_kernelILj512ELj16ELj2048ELj64EiidEEvT4_PKS1_S3_NS_24const_host_device_scalarIT5_EEPKT3_S3_PKS5_S9_S3_SB_S6_S9_S3_SB_S9_S3_PS5_PS7_21rocsparse_index_base_SE_SE_SE_bbb.has_recursion, 0
	.set _ZN9rocsparseL51csrgemm_numeric_fill_block_per_row_multipass_kernelILj512ELj16ELj2048ELj64EiidEEvT4_PKS1_S3_NS_24const_host_device_scalarIT5_EEPKT3_S3_PKS5_S9_S3_SB_S6_S9_S3_SB_S9_S3_PS5_PS7_21rocsparse_index_base_SE_SE_SE_bbb.has_indirect_call, 0
	.section	.AMDGPU.csdata,"",@progbits
; Kernel info:
; codeLenInByte = 2464
; TotalNumSgprs: 50
; NumVgprs: 36
; ScratchSize: 0
; MemoryBound: 0
; FloatMode: 240
; IeeeMode: 1
; LDSByteSize: 18440 bytes/workgroup (compile time only)
; SGPRBlocks: 0
; VGPRBlocks: 2
; NumSGPRsForWavesPerEU: 50
; NumVGPRsForWavesPerEU: 36
; NamedBarCnt: 0
; Occupancy: 16
; WaveLimiterHint : 1
; COMPUTE_PGM_RSRC2:SCRATCH_EN: 0
; COMPUTE_PGM_RSRC2:USER_SGPR: 2
; COMPUTE_PGM_RSRC2:TRAP_HANDLER: 0
; COMPUTE_PGM_RSRC2:TGID_X_EN: 1
; COMPUTE_PGM_RSRC2:TGID_Y_EN: 0
; COMPUTE_PGM_RSRC2:TGID_Z_EN: 0
; COMPUTE_PGM_RSRC2:TIDIG_COMP_CNT: 0
	.section	.text._ZN9rocsparseL38csrgemm_numeric_fill_wf_per_row_kernelILj256ELj8ELj16ELj137Eii21rocsparse_complex_numIfEEEvT4_S3_PKS3_S5_NS_24const_host_device_scalarIT5_EEPKT3_S5_PKS7_SB_S5_SD_S8_SB_S5_SD_SB_S5_PS7_21rocsparse_index_base_SF_SF_SF_bbb,"axG",@progbits,_ZN9rocsparseL38csrgemm_numeric_fill_wf_per_row_kernelILj256ELj8ELj16ELj137Eii21rocsparse_complex_numIfEEEvT4_S3_PKS3_S5_NS_24const_host_device_scalarIT5_EEPKT3_S5_PKS7_SB_S5_SD_S8_SB_S5_SD_SB_S5_PS7_21rocsparse_index_base_SF_SF_SF_bbb,comdat
	.globl	_ZN9rocsparseL38csrgemm_numeric_fill_wf_per_row_kernelILj256ELj8ELj16ELj137Eii21rocsparse_complex_numIfEEEvT4_S3_PKS3_S5_NS_24const_host_device_scalarIT5_EEPKT3_S5_PKS7_SB_S5_SD_S8_SB_S5_SD_SB_S5_PS7_21rocsparse_index_base_SF_SF_SF_bbb ; -- Begin function _ZN9rocsparseL38csrgemm_numeric_fill_wf_per_row_kernelILj256ELj8ELj16ELj137Eii21rocsparse_complex_numIfEEEvT4_S3_PKS3_S5_NS_24const_host_device_scalarIT5_EEPKT3_S5_PKS7_SB_S5_SD_S8_SB_S5_SD_SB_S5_PS7_21rocsparse_index_base_SF_SF_SF_bbb
	.p2align	8
	.type	_ZN9rocsparseL38csrgemm_numeric_fill_wf_per_row_kernelILj256ELj8ELj16ELj137Eii21rocsparse_complex_numIfEEEvT4_S3_PKS3_S5_NS_24const_host_device_scalarIT5_EEPKT3_S5_PKS7_SB_S5_SD_S8_SB_S5_SD_SB_S5_PS7_21rocsparse_index_base_SF_SF_SF_bbb,@function
_ZN9rocsparseL38csrgemm_numeric_fill_wf_per_row_kernelILj256ELj8ELj16ELj137Eii21rocsparse_complex_numIfEEEvT4_S3_PKS3_S5_NS_24const_host_device_scalarIT5_EEPKT3_S5_PKS7_SB_S5_SD_S8_SB_S5_SD_SB_S5_PS7_21rocsparse_index_base_SF_SF_SF_bbb: ; @_ZN9rocsparseL38csrgemm_numeric_fill_wf_per_row_kernelILj256ELj8ELj16ELj137Eii21rocsparse_complex_numIfEEEvT4_S3_PKS3_S5_NS_24const_host_device_scalarIT5_EEPKT3_S5_PKS7_SB_S5_SD_S8_SB_S5_SD_SB_S5_PS7_21rocsparse_index_base_SF_SF_SF_bbb
; %bb.0:
	s_clause 0x7
	s_load_b32 s33, s[0:1], 0x98
	s_load_b128 s[4:7], s[0:1], 0x88
	s_load_b64 s[2:3], s[0:1], 0x80
	s_load_b128 s[8:11], s[0:1], 0x60
	s_load_b128 s[20:23], s[0:1], 0x8
	s_load_b64 s[26:27], s[0:1], 0x28
	s_load_b128 s[12:15], s[0:1], 0x40
	s_load_b64 s[36:37], s[0:1], 0x50
	s_mov_b32 s29, 0
	s_mov_b32 s38, 0
	s_wait_kmcnt 0x0
	s_bitcmp1_b32 s33, 0
	s_cselect_b32 s40, -1, 0
	s_bitcmp1_b32 s33, 16
	s_cselect_b32 s16, -1, 0
	s_delay_alu instid0(SALU_CYCLE_1) | instskip(SKIP_2) | instid1(VALU_DEP_1)
	s_xor_b32 s16, s16, -1
	s_bitcmp0_b32 s33, 0
	v_cndmask_b32_e64 v1, 0, 1, s16
	v_cmp_ne_u32_e32 vcc_lo, 1, v1
	s_cbranch_scc1 .LBB40_5
; %bb.1:
	s_load_b64 s[28:29], s[0:1], 0x18
	s_and_b32 vcc_lo, exec_lo, vcc_lo
	s_wait_kmcnt 0x0
	s_mov_b32 s38, s28
	s_cbranch_vccnz .LBB40_3
; %bb.2:
	s_load_b32 s38, s[28:29], 0x0
.LBB40_3:
	s_and_not1_b32 vcc_lo, exec_lo, s16
	s_cbranch_vccnz .LBB40_5
; %bb.4:
	s_wait_xcnt 0x0
	s_load_b32 s29, s[28:29], 0x4
.LBB40_5:
	s_clause 0x3
	s_load_b64 s[24:25], s[0:1], 0x70
	s_load_b64 s[30:31], s[0:1], 0x58
	;; [unrolled: 1-line block ×3, first 2 shown]
	s_load_b128 s[16:19], s[0:1], 0x30
	s_bitcmp1_b32 s33, 8
	s_wait_xcnt 0x0
	s_mov_b32 s28, 0
	s_cselect_b32 s39, -1, 0
	s_bfe_u32 s33, s33, 0x10008
	s_delay_alu instid0(SALU_CYCLE_1)
	s_cmp_eq_u32 s33, 0
	s_mov_b32 s33, 0
	s_cbranch_scc1 .LBB40_11
; %bb.6:
	v_cmp_ne_u32_e32 vcc_lo, 1, v1
	s_mov_b32 s28, s36
	s_cbranch_vccnz .LBB40_8
; %bb.7:
	s_load_b32 s28, s[36:37], 0x0
.LBB40_8:
	v_cmp_ne_u32_e32 vcc_lo, 1, v1
	s_cbranch_vccnz .LBB40_10
; %bb.9:
	s_wait_xcnt 0x0
	s_load_b32 s37, s[36:37], 0x4
.LBB40_10:
	s_wait_kmcnt 0x0
	s_mov_b32 s33, s37
.LBB40_11:
	s_load_b64 s[0:1], s[0:1], 0x0
	v_dual_lshrrev_b32 v2, 3, v0 :: v_dual_bitop2_b32 v11, 7, v0 bitop3:0x40
	s_mov_b32 s36, 0
	s_delay_alu instid0(VALU_DEP_1) | instskip(SKIP_1) | instid1(VALU_DEP_2)
	v_dual_lshlrev_b32 v0, 6, v2 :: v_dual_lshlrev_b32 v1, 2, v11
	v_dual_lshlrev_b32 v3, 3, v11 :: v_dual_bitop2_b32 v8, -8, v11 bitop3:0x54
	v_or3_b32 v6, v0, v1, 0x1000
	s_delay_alu instid0(VALU_DEP_2) | instskip(SKIP_1) | instid1(VALU_DEP_3)
	v_lshl_or_b32 v7, v2, 7, v3
	v_mov_b64_e32 v[0:1], 0
	v_dual_mov_b32 v9, v8 :: v_dual_mov_b32 v3, v6
	s_wait_kmcnt 0x0
	s_delay_alu instid0(VALU_DEP_3)
	v_dual_mov_b32 v4, v7 :: v_dual_mov_b32 v5, s1
.LBB40_12:                              ; =>This Inner Loop Header: Depth=1
	s_delay_alu instid0(VALU_DEP_2)
	v_add_co_u32 v9, s37, v9, 8
	s_xor_b32 s37, s37, -1
	ds_store_b32 v3, v5
	ds_store_b64 v4, v[0:1]
	v_dual_add_nc_u32 v4, 64, v4 :: v_dual_add_nc_u32 v3, 32, v3
	s_and_b32 s37, exec_lo, s37
	s_delay_alu instid0(SALU_CYCLE_1) | instskip(NEXT) | instid1(SALU_CYCLE_1)
	s_or_b32 s36, s37, s36
	s_and_not1_b32 exec_lo, exec_lo, s36
	s_cbranch_execnz .LBB40_12
; %bb.13:
	s_or_b32 exec_lo, exec_lo, s36
	s_bfe_u32 s36, ttmp6, 0x4000c
	s_and_b32 s37, ttmp6, 15
	s_add_co_i32 s36, s36, 1
	s_getreg_b32 s41, hwreg(HW_REG_IB_STS2, 6, 4)
	s_mul_i32 s36, ttmp9, s36
	s_wait_dscnt 0x0
	s_add_co_i32 s37, s37, s36
	s_cmp_eq_u32 s41, 0
	s_cselect_b32 s36, ttmp9, s37
	s_delay_alu instid0(SALU_CYCLE_1) | instskip(NEXT) | instid1(SALU_CYCLE_1)
	s_lshl_b32 s36, s36, 5
	v_and_or_b32 v0, 0x1fffffe0, s36, v2
	s_delay_alu instid0(VALU_DEP_1)
	v_cmp_gt_i32_e32 vcc_lo, s0, v0
	s_and_saveexec_b32 s0, vcc_lo
	s_cbranch_execz .LBB40_53
; %bb.14:
	s_cmp_eq_u64 s[22:23], 0
	s_cbranch_scc1 .LBB40_16
; %bb.15:
	s_load_b32 s0, s[20:21], 0x0
	s_wait_kmcnt 0x0
	v_add_nc_u32_e32 v0, s0, v0
	global_load_b32 v0, v0, s[22:23] scale_offset
.LBB40_16:
	v_lshl_or_b32 v9, v2, 6, 0x1000
	s_wait_loadcnt 0x0
	v_dual_lshlrev_b32 v10, 7, v2 :: v_dual_ashrrev_i32 v1, 31, v0
	s_and_not1_b32 vcc_lo, exec_lo, s40
	s_cbranch_vccnz .LBB40_34
; %bb.17:
	s_delay_alu instid0(VALU_DEP_1)
	v_lshl_add_u64 v[2:3], v[0:1], 2, s[34:35]
	v_subrev_nc_u32_e32 v4, s4, v11
	s_mov_b32 s0, exec_lo
	global_load_b64 v[2:3], v[2:3], off
	s_wait_loadcnt 0x0
	v_subrev_nc_u32_e32 v12, s4, v3
	v_add_nc_u32_e32 v2, v2, v4
	s_delay_alu instid0(VALU_DEP_1)
	v_cmpx_lt_i32_e64 v2, v12
	s_cbranch_execz .LBB40_33
; %bb.18:
	s_mov_b32 s20, 0
	s_branch .LBB40_20
.LBB40_19:                              ;   in Loop: Header=BB40_20 Depth=1
	s_or_b32 exec_lo, exec_lo, s21
	v_add_nc_u32_e32 v2, 8, v2
	s_delay_alu instid0(VALU_DEP_1) | instskip(SKIP_1) | instid1(SALU_CYCLE_1)
	v_cmp_ge_i32_e32 vcc_lo, v2, v12
	s_or_b32 s20, vcc_lo, s20
	s_and_not1_b32 exec_lo, exec_lo, s20
	s_cbranch_execz .LBB40_33
.LBB40_20:                              ; =>This Loop Header: Depth=1
                                        ;     Child Loop BB40_24 Depth 2
                                        ;       Child Loop BB40_27 Depth 3
	global_load_b32 v3, v2, s[26:27] scale_offset
	s_mov_b32 s21, exec_lo
	s_wait_loadcnt 0x0
	v_subrev_nc_u32_e32 v4, s4, v3
	s_delay_alu instid0(VALU_DEP_1) | instskip(NEXT) | instid1(VALU_DEP_1)
	v_ashrrev_i32_e32 v5, 31, v4
	v_lshl_add_u64 v[4:5], v[4:5], 2, s[18:19]
	global_load_b64 v[4:5], v[4:5], off
	s_wait_loadcnt 0x0
	s_wait_xcnt 0x0
	v_cmpx_lt_i32_e64 v4, v5
	s_cbranch_execz .LBB40_19
; %bb.21:                               ;   in Loop: Header=BB40_20 Depth=1
	v_ashrrev_i32_e32 v3, 31, v2
	s_mov_b32 s22, 0
	s_delay_alu instid0(VALU_DEP_1)
	v_lshl_add_u64 v[14:15], v[2:3], 3, s[16:17]
	global_load_b64 v[16:17], v[14:15], off
	s_wait_xcnt 0x0
	v_subrev_nc_u32_e32 v14, s5, v5
	v_subrev_nc_u32_e32 v15, s5, v4
	s_wait_loadcnt 0x0
	v_mul_f32_e64 v3, v17, -s29
	s_delay_alu instid0(VALU_DEP_1) | instskip(NEXT) | instid1(VALU_DEP_1)
	v_dual_mul_f32 v13, s38, v17 :: v_dual_fmac_f32 v3, s38, v16
	v_fmac_f32_e32 v13, s29, v16
	s_branch .LBB40_24
.LBB40_22:                              ;   in Loop: Header=BB40_24 Depth=2
	s_or_b32 exec_lo, exec_lo, s34
.LBB40_23:                              ;   in Loop: Header=BB40_24 Depth=2
	s_delay_alu instid0(SALU_CYCLE_1) | instskip(SKIP_4) | instid1(VALU_DEP_3)
	s_or_b32 exec_lo, exec_lo, s23
	s_wait_loadcnt 0x0
	v_dual_mul_f32 v17, v5, -v13 :: v_dual_add_nc_u32 v15, 1, v15
	v_mul_f32_e32 v5, v3, v5
	v_lshl_add_u32 v16, v16, 3, v10
	v_fmac_f32_e32 v17, v3, v4
	s_delay_alu instid0(VALU_DEP_4) | instskip(NEXT) | instid1(VALU_DEP_4)
	v_cmp_ge_i32_e32 vcc_lo, v15, v14
	v_fmac_f32_e32 v5, v13, v4
	ds_add_f32 v16, v17
	ds_add_f32 v16, v5 offset:4
	s_or_b32 s22, vcc_lo, s22
	s_delay_alu instid0(SALU_CYCLE_1)
	s_and_not1_b32 exec_lo, exec_lo, s22
	s_cbranch_execz .LBB40_19
.LBB40_24:                              ;   Parent Loop BB40_20 Depth=1
                                        ; =>  This Loop Header: Depth=2
                                        ;       Child Loop BB40_27 Depth 3
	s_clause 0x1
	global_load_b32 v16, v15, s[12:13] scale_offset
	global_load_b64 v[4:5], v15, s[14:15] scale_offset
	s_mov_b32 s23, exec_lo
	s_wait_loadcnt 0x1
	v_subrev_nc_u32_e32 v17, s5, v16
	s_delay_alu instid0(VALU_DEP_1) | instskip(NEXT) | instid1(VALU_DEP_1)
	v_lshl_add_u32 v16, v17, 3, v17
	v_and_b32_e32 v16, 15, v16
	s_delay_alu instid0(VALU_DEP_1)
	v_lshl_add_u32 v18, v16, 2, v9
	ds_load_b32 v19, v18
	s_wait_dscnt 0x0
	s_wait_xcnt 0x0
	v_cmpx_ne_u32_e64 v19, v17
	s_cbranch_execz .LBB40_23
; %bb.25:                               ;   in Loop: Header=BB40_24 Depth=2
	s_mov_b32 s34, 0
	s_branch .LBB40_27
.LBB40_26:                              ;   in Loop: Header=BB40_27 Depth=3
	s_or_b32 exec_lo, exec_lo, s37
	s_delay_alu instid0(SALU_CYCLE_1) | instskip(NEXT) | instid1(SALU_CYCLE_1)
	s_and_b32 s35, exec_lo, s36
	s_or_b32 s34, s35, s34
	s_delay_alu instid0(SALU_CYCLE_1)
	s_and_not1_b32 exec_lo, exec_lo, s34
	s_cbranch_execz .LBB40_22
.LBB40_27:                              ;   Parent Loop BB40_20 Depth=1
                                        ;     Parent Loop BB40_24 Depth=2
                                        ; =>    This Inner Loop Header: Depth=3
	s_mov_b32 s35, 0
	s_mov_b32 s36, exec_lo
	v_cmpx_ne_u32_e64 s1, v19
	s_xor_b32 s36, exec_lo, s36
	s_cbranch_execz .LBB40_29
; %bb.28:                               ;   in Loop: Header=BB40_27 Depth=3
	v_add_nc_u32_e32 v16, 1, v16
	s_mov_b32 s35, exec_lo
                                        ; implicit-def: $vgpr18
	s_delay_alu instid0(VALU_DEP_1)
	v_and_b32_e32 v16, 15, v16
	s_and_not1_saveexec_b32 s36, s36
	s_cbranch_execz .LBB40_31
	s_branch .LBB40_30
.LBB40_29:                              ;   in Loop: Header=BB40_27 Depth=3
	s_and_not1_saveexec_b32 s36, s36
	s_cbranch_execz .LBB40_31
.LBB40_30:                              ;   in Loop: Header=BB40_27 Depth=3
	v_mov_b32_e32 v19, s1
	s_and_not1_b32 s35, s35, exec_lo
	ds_cmpstore_rtn_b32 v18, v18, v17, v19
	s_wait_dscnt 0x0
	v_cmp_ne_u32_e32 vcc_lo, s1, v18
	s_and_b32 s37, vcc_lo, exec_lo
	s_delay_alu instid0(SALU_CYCLE_1)
	s_or_b32 s35, s35, s37
.LBB40_31:                              ;   in Loop: Header=BB40_27 Depth=3
	s_or_b32 exec_lo, exec_lo, s36
	s_mov_b32 s36, -1
                                        ; implicit-def: $vgpr18
                                        ; implicit-def: $vgpr19
	s_and_saveexec_b32 s37, s35
	s_cbranch_execz .LBB40_26
; %bb.32:                               ;   in Loop: Header=BB40_27 Depth=3
	v_lshl_add_u32 v18, v16, 2, v9
	ds_load_b32 v19, v18
	s_wait_dscnt 0x0
	v_cmp_eq_u32_e32 vcc_lo, v19, v17
	s_or_not1_b32 s36, vcc_lo, exec_lo
	s_branch .LBB40_26
.LBB40_33:
	s_or_b32 exec_lo, exec_lo, s0
.LBB40_34:
	s_delay_alu instid0(SALU_CYCLE_1)
	s_and_not1_b32 vcc_lo, exec_lo, s39
	s_cbranch_vccnz .LBB40_49
; %bb.35:
	v_lshl_add_u64 v[2:3], v[0:1], 2, s[30:31]
	v_subrev_nc_u32_e32 v5, s7, v11
	s_mov_b32 s0, exec_lo
	global_load_b64 v[2:3], v[2:3], off
	s_wait_loadcnt 0x0
	v_subrev_nc_u32_e32 v4, s7, v3
	v_add_nc_u32_e32 v5, v2, v5
	s_delay_alu instid0(VALU_DEP_1)
	v_cmpx_lt_i32_e64 v5, v4
	s_cbranch_execz .LBB40_48
; %bb.36:
	s_mov_b32 s4, 0
	s_branch .LBB40_39
.LBB40_37:                              ;   in Loop: Header=BB40_39 Depth=1
	s_or_b32 exec_lo, exec_lo, s12
.LBB40_38:                              ;   in Loop: Header=BB40_39 Depth=1
	s_delay_alu instid0(SALU_CYCLE_1) | instskip(SKIP_4) | instid1(VALU_DEP_3)
	s_or_b32 exec_lo, exec_lo, s5
	s_wait_loadcnt 0x0
	v_mul_f32_e64 v12, v3, -s33
	v_mul_f32_e32 v3, s28, v3
	v_lshl_add_u32 v11, v11, 3, v10
	v_dual_fmac_f32 v12, s28, v2 :: v_dual_add_nc_u32 v5, 8, v5
	s_delay_alu instid0(VALU_DEP_3) | instskip(SKIP_4) | instid1(SALU_CYCLE_1)
	v_fmac_f32_e32 v3, s33, v2
	ds_add_f32 v11, v12
	ds_add_f32 v11, v3 offset:4
	v_cmp_ge_i32_e32 vcc_lo, v5, v4
	s_or_b32 s4, vcc_lo, s4
	s_and_not1_b32 exec_lo, exec_lo, s4
	s_cbranch_execz .LBB40_48
.LBB40_39:                              ; =>This Loop Header: Depth=1
                                        ;     Child Loop BB40_42 Depth 2
	s_clause 0x1
	global_load_b32 v11, v5, s[8:9] scale_offset
	global_load_b64 v[2:3], v5, s[10:11] scale_offset
	s_mov_b32 s5, exec_lo
	s_wait_loadcnt 0x1
	v_subrev_nc_u32_e32 v12, s7, v11
	s_delay_alu instid0(VALU_DEP_1) | instskip(NEXT) | instid1(VALU_DEP_1)
	v_lshl_add_u32 v11, v12, 3, v12
	v_and_b32_e32 v11, 15, v11
	s_delay_alu instid0(VALU_DEP_1)
	v_lshl_add_u32 v13, v11, 2, v9
	ds_load_b32 v14, v13
	s_wait_dscnt 0x0
	s_wait_xcnt 0x0
	v_cmpx_ne_u32_e64 v14, v12
	s_cbranch_execz .LBB40_38
; %bb.40:                               ;   in Loop: Header=BB40_39 Depth=1
	s_mov_b32 s12, 0
	s_branch .LBB40_42
.LBB40_41:                              ;   in Loop: Header=BB40_42 Depth=2
	s_or_b32 exec_lo, exec_lo, s15
	s_delay_alu instid0(SALU_CYCLE_1) | instskip(NEXT) | instid1(SALU_CYCLE_1)
	s_and_b32 s13, exec_lo, s14
	s_or_b32 s12, s13, s12
	s_delay_alu instid0(SALU_CYCLE_1)
	s_and_not1_b32 exec_lo, exec_lo, s12
	s_cbranch_execz .LBB40_37
.LBB40_42:                              ;   Parent Loop BB40_39 Depth=1
                                        ; =>  This Inner Loop Header: Depth=2
	s_mov_b32 s13, 0
	s_mov_b32 s14, exec_lo
	v_cmpx_ne_u32_e64 s1, v14
	s_xor_b32 s14, exec_lo, s14
	s_cbranch_execz .LBB40_44
; %bb.43:                               ;   in Loop: Header=BB40_42 Depth=2
	v_add_nc_u32_e32 v11, 1, v11
	s_mov_b32 s13, exec_lo
                                        ; implicit-def: $vgpr13
	s_delay_alu instid0(VALU_DEP_1)
	v_and_b32_e32 v11, 15, v11
	s_and_not1_saveexec_b32 s14, s14
	s_cbranch_execz .LBB40_46
	s_branch .LBB40_45
.LBB40_44:                              ;   in Loop: Header=BB40_42 Depth=2
	s_and_not1_saveexec_b32 s14, s14
	s_cbranch_execz .LBB40_46
.LBB40_45:                              ;   in Loop: Header=BB40_42 Depth=2
	v_mov_b32_e32 v14, s1
	s_and_not1_b32 s13, s13, exec_lo
	ds_cmpstore_rtn_b32 v13, v13, v12, v14
	s_wait_dscnt 0x0
	v_cmp_ne_u32_e32 vcc_lo, s1, v13
	s_and_b32 s15, vcc_lo, exec_lo
	s_delay_alu instid0(SALU_CYCLE_1)
	s_or_b32 s13, s13, s15
.LBB40_46:                              ;   in Loop: Header=BB40_42 Depth=2
	s_or_b32 exec_lo, exec_lo, s14
	s_mov_b32 s14, -1
                                        ; implicit-def: $vgpr13
                                        ; implicit-def: $vgpr14
	s_and_saveexec_b32 s15, s13
	s_cbranch_execz .LBB40_41
; %bb.47:                               ;   in Loop: Header=BB40_42 Depth=2
	v_lshl_add_u32 v13, v11, 2, v9
	ds_load_b32 v14, v13
	s_wait_dscnt 0x0
	v_cmp_eq_u32_e32 vcc_lo, v14, v12
	s_or_not1_b32 s14, vcc_lo, exec_lo
	s_branch .LBB40_41
.LBB40_48:
	s_or_b32 exec_lo, exec_lo, s0
.LBB40_49:
	v_lshl_add_u64 v[0:1], v[0:1], 2, s[24:25]
	s_wait_dscnt 0x0
	s_mov_b32 s0, 0
	global_load_b32 v0, v[0:1], off
	s_wait_loadcnt 0x0
	v_subrev_nc_u32_e32 v0, s6, v0
	s_branch .LBB40_51
.LBB40_50:                              ;   in Loop: Header=BB40_51 Depth=1
	s_wait_xcnt 0x0
	s_or_b32 exec_lo, exec_lo, s4
	v_add_co_u32 v8, s4, v8, 8
	s_xor_b32 s4, s4, -1
	v_dual_add_nc_u32 v7, 64, v7 :: v_dual_add_nc_u32 v6, 32, v6
	s_and_b32 s4, exec_lo, s4
	s_delay_alu instid0(SALU_CYCLE_1) | instskip(NEXT) | instid1(SALU_CYCLE_1)
	s_or_b32 s0, s4, s0
	s_and_not1_b32 exec_lo, exec_lo, s0
	s_cbranch_execz .LBB40_53
.LBB40_51:                              ; =>This Inner Loop Header: Depth=1
	ds_load_b32 v1, v6
	s_mov_b32 s4, exec_lo
	s_wait_dscnt 0x0
	v_cmpx_gt_i32_e64 s1, v1
	s_cbranch_execz .LBB40_50
; %bb.52:                               ;   in Loop: Header=BB40_51 Depth=1
	ds_load_b128 v[2:5], v9
	ds_load_b128 v[10:13], v9 offset:16
	ds_load_b128 v[14:17], v9 offset:32
	;; [unrolled: 1-line block ×3, first 2 shown]
	ds_load_b64 v[22:23], v7
	s_wait_dscnt 0x4
	v_cmp_gt_i32_e32 vcc_lo, v1, v2
	v_cndmask_b32_e64 v2, 0, 1, vcc_lo
	v_cmp_gt_i32_e32 vcc_lo, v1, v4
	v_cndmask_b32_e64 v4, 0, 1, vcc_lo
	v_cmp_gt_i32_e32 vcc_lo, v1, v3
	s_delay_alu instid0(VALU_DEP_4)
	v_add_co_ci_u32_e64 v2, null, v0, v2, vcc_lo
	s_wait_dscnt 0x3
	v_cmp_gt_i32_e32 vcc_lo, v1, v10
	v_cndmask_b32_e64 v3, 0, 1, vcc_lo
	v_cmp_gt_i32_e32 vcc_lo, v1, v5
	v_add_co_ci_u32_e64 v2, null, v2, v4, vcc_lo
	v_cmp_gt_i32_e32 vcc_lo, v1, v12
	v_cndmask_b32_e64 v4, 0, 1, vcc_lo
	v_cmp_gt_i32_e32 vcc_lo, v1, v11
	s_delay_alu instid0(VALU_DEP_4)
	v_add_co_ci_u32_e64 v2, null, v2, v3, vcc_lo
	s_wait_dscnt 0x2
	v_cmp_gt_i32_e32 vcc_lo, v1, v14
	v_cndmask_b32_e64 v3, 0, 1, vcc_lo
	v_cmp_gt_i32_e32 vcc_lo, v1, v13
	v_add_co_ci_u32_e64 v2, null, v2, v4, vcc_lo
	v_cmp_gt_i32_e32 vcc_lo, v1, v16
	v_cndmask_b32_e64 v4, 0, 1, vcc_lo
	v_cmp_gt_i32_e32 vcc_lo, v1, v15
	s_delay_alu instid0(VALU_DEP_4)
	v_add_co_ci_u32_e64 v2, null, v2, v3, vcc_lo
	s_wait_dscnt 0x1
	v_cmp_gt_i32_e32 vcc_lo, v1, v18
	v_cndmask_b32_e64 v3, 0, 1, vcc_lo
	v_cmp_gt_i32_e32 vcc_lo, v1, v17
	v_add_co_ci_u32_e64 v2, null, v2, v4, vcc_lo
	v_cmp_gt_i32_e32 vcc_lo, v1, v19
	s_delay_alu instid0(VALU_DEP_2) | instskip(SKIP_3) | instid1(VALU_DEP_2)
	v_add_co_ci_u32_e64 v2, null, v2, v3, vcc_lo
	v_cmp_gt_i32_e32 vcc_lo, v1, v20
	v_cndmask_b32_e64 v3, 0, 1, vcc_lo
	v_cmp_gt_i32_e32 vcc_lo, v1, v21
	v_add_co_ci_u32_e64 v1, null, v2, v3, vcc_lo
	s_wait_dscnt 0x0
	global_store_b64 v1, v[22:23], s[2:3] scale_offset
	s_branch .LBB40_50
.LBB40_53:
	s_endpgm
	.section	.rodata,"a",@progbits
	.p2align	6, 0x0
	.amdhsa_kernel _ZN9rocsparseL38csrgemm_numeric_fill_wf_per_row_kernelILj256ELj8ELj16ELj137Eii21rocsparse_complex_numIfEEEvT4_S3_PKS3_S5_NS_24const_host_device_scalarIT5_EEPKT3_S5_PKS7_SB_S5_SD_S8_SB_S5_SD_SB_S5_PS7_21rocsparse_index_base_SF_SF_SF_bbb
		.amdhsa_group_segment_fixed_size 6144
		.amdhsa_private_segment_fixed_size 0
		.amdhsa_kernarg_size 156
		.amdhsa_user_sgpr_count 2
		.amdhsa_user_sgpr_dispatch_ptr 0
		.amdhsa_user_sgpr_queue_ptr 0
		.amdhsa_user_sgpr_kernarg_segment_ptr 1
		.amdhsa_user_sgpr_dispatch_id 0
		.amdhsa_user_sgpr_kernarg_preload_length 0
		.amdhsa_user_sgpr_kernarg_preload_offset 0
		.amdhsa_user_sgpr_private_segment_size 0
		.amdhsa_wavefront_size32 1
		.amdhsa_uses_dynamic_stack 0
		.amdhsa_enable_private_segment 0
		.amdhsa_system_sgpr_workgroup_id_x 1
		.amdhsa_system_sgpr_workgroup_id_y 0
		.amdhsa_system_sgpr_workgroup_id_z 0
		.amdhsa_system_sgpr_workgroup_info 0
		.amdhsa_system_vgpr_workitem_id 0
		.amdhsa_next_free_vgpr 24
		.amdhsa_next_free_sgpr 42
		.amdhsa_named_barrier_count 0
		.amdhsa_reserve_vcc 1
		.amdhsa_float_round_mode_32 0
		.amdhsa_float_round_mode_16_64 0
		.amdhsa_float_denorm_mode_32 3
		.amdhsa_float_denorm_mode_16_64 3
		.amdhsa_fp16_overflow 0
		.amdhsa_memory_ordered 1
		.amdhsa_forward_progress 1
		.amdhsa_inst_pref_size 17
		.amdhsa_round_robin_scheduling 0
		.amdhsa_exception_fp_ieee_invalid_op 0
		.amdhsa_exception_fp_denorm_src 0
		.amdhsa_exception_fp_ieee_div_zero 0
		.amdhsa_exception_fp_ieee_overflow 0
		.amdhsa_exception_fp_ieee_underflow 0
		.amdhsa_exception_fp_ieee_inexact 0
		.amdhsa_exception_int_div_zero 0
	.end_amdhsa_kernel
	.section	.text._ZN9rocsparseL38csrgemm_numeric_fill_wf_per_row_kernelILj256ELj8ELj16ELj137Eii21rocsparse_complex_numIfEEEvT4_S3_PKS3_S5_NS_24const_host_device_scalarIT5_EEPKT3_S5_PKS7_SB_S5_SD_S8_SB_S5_SD_SB_S5_PS7_21rocsparse_index_base_SF_SF_SF_bbb,"axG",@progbits,_ZN9rocsparseL38csrgemm_numeric_fill_wf_per_row_kernelILj256ELj8ELj16ELj137Eii21rocsparse_complex_numIfEEEvT4_S3_PKS3_S5_NS_24const_host_device_scalarIT5_EEPKT3_S5_PKS7_SB_S5_SD_S8_SB_S5_SD_SB_S5_PS7_21rocsparse_index_base_SF_SF_SF_bbb,comdat
.Lfunc_end40:
	.size	_ZN9rocsparseL38csrgemm_numeric_fill_wf_per_row_kernelILj256ELj8ELj16ELj137Eii21rocsparse_complex_numIfEEEvT4_S3_PKS3_S5_NS_24const_host_device_scalarIT5_EEPKT3_S5_PKS7_SB_S5_SD_S8_SB_S5_SD_SB_S5_PS7_21rocsparse_index_base_SF_SF_SF_bbb, .Lfunc_end40-_ZN9rocsparseL38csrgemm_numeric_fill_wf_per_row_kernelILj256ELj8ELj16ELj137Eii21rocsparse_complex_numIfEEEvT4_S3_PKS3_S5_NS_24const_host_device_scalarIT5_EEPKT3_S5_PKS7_SB_S5_SD_S8_SB_S5_SD_SB_S5_PS7_21rocsparse_index_base_SF_SF_SF_bbb
                                        ; -- End function
	.set _ZN9rocsparseL38csrgemm_numeric_fill_wf_per_row_kernelILj256ELj8ELj16ELj137Eii21rocsparse_complex_numIfEEEvT4_S3_PKS3_S5_NS_24const_host_device_scalarIT5_EEPKT3_S5_PKS7_SB_S5_SD_S8_SB_S5_SD_SB_S5_PS7_21rocsparse_index_base_SF_SF_SF_bbb.num_vgpr, 24
	.set _ZN9rocsparseL38csrgemm_numeric_fill_wf_per_row_kernelILj256ELj8ELj16ELj137Eii21rocsparse_complex_numIfEEEvT4_S3_PKS3_S5_NS_24const_host_device_scalarIT5_EEPKT3_S5_PKS7_SB_S5_SD_S8_SB_S5_SD_SB_S5_PS7_21rocsparse_index_base_SF_SF_SF_bbb.num_agpr, 0
	.set _ZN9rocsparseL38csrgemm_numeric_fill_wf_per_row_kernelILj256ELj8ELj16ELj137Eii21rocsparse_complex_numIfEEEvT4_S3_PKS3_S5_NS_24const_host_device_scalarIT5_EEPKT3_S5_PKS7_SB_S5_SD_S8_SB_S5_SD_SB_S5_PS7_21rocsparse_index_base_SF_SF_SF_bbb.numbered_sgpr, 42
	.set _ZN9rocsparseL38csrgemm_numeric_fill_wf_per_row_kernelILj256ELj8ELj16ELj137Eii21rocsparse_complex_numIfEEEvT4_S3_PKS3_S5_NS_24const_host_device_scalarIT5_EEPKT3_S5_PKS7_SB_S5_SD_S8_SB_S5_SD_SB_S5_PS7_21rocsparse_index_base_SF_SF_SF_bbb.num_named_barrier, 0
	.set _ZN9rocsparseL38csrgemm_numeric_fill_wf_per_row_kernelILj256ELj8ELj16ELj137Eii21rocsparse_complex_numIfEEEvT4_S3_PKS3_S5_NS_24const_host_device_scalarIT5_EEPKT3_S5_PKS7_SB_S5_SD_S8_SB_S5_SD_SB_S5_PS7_21rocsparse_index_base_SF_SF_SF_bbb.private_seg_size, 0
	.set _ZN9rocsparseL38csrgemm_numeric_fill_wf_per_row_kernelILj256ELj8ELj16ELj137Eii21rocsparse_complex_numIfEEEvT4_S3_PKS3_S5_NS_24const_host_device_scalarIT5_EEPKT3_S5_PKS7_SB_S5_SD_S8_SB_S5_SD_SB_S5_PS7_21rocsparse_index_base_SF_SF_SF_bbb.uses_vcc, 1
	.set _ZN9rocsparseL38csrgemm_numeric_fill_wf_per_row_kernelILj256ELj8ELj16ELj137Eii21rocsparse_complex_numIfEEEvT4_S3_PKS3_S5_NS_24const_host_device_scalarIT5_EEPKT3_S5_PKS7_SB_S5_SD_S8_SB_S5_SD_SB_S5_PS7_21rocsparse_index_base_SF_SF_SF_bbb.uses_flat_scratch, 0
	.set _ZN9rocsparseL38csrgemm_numeric_fill_wf_per_row_kernelILj256ELj8ELj16ELj137Eii21rocsparse_complex_numIfEEEvT4_S3_PKS3_S5_NS_24const_host_device_scalarIT5_EEPKT3_S5_PKS7_SB_S5_SD_S8_SB_S5_SD_SB_S5_PS7_21rocsparse_index_base_SF_SF_SF_bbb.has_dyn_sized_stack, 0
	.set _ZN9rocsparseL38csrgemm_numeric_fill_wf_per_row_kernelILj256ELj8ELj16ELj137Eii21rocsparse_complex_numIfEEEvT4_S3_PKS3_S5_NS_24const_host_device_scalarIT5_EEPKT3_S5_PKS7_SB_S5_SD_S8_SB_S5_SD_SB_S5_PS7_21rocsparse_index_base_SF_SF_SF_bbb.has_recursion, 0
	.set _ZN9rocsparseL38csrgemm_numeric_fill_wf_per_row_kernelILj256ELj8ELj16ELj137Eii21rocsparse_complex_numIfEEEvT4_S3_PKS3_S5_NS_24const_host_device_scalarIT5_EEPKT3_S5_PKS7_SB_S5_SD_S8_SB_S5_SD_SB_S5_PS7_21rocsparse_index_base_SF_SF_SF_bbb.has_indirect_call, 0
	.section	.AMDGPU.csdata,"",@progbits
; Kernel info:
; codeLenInByte = 2088
; TotalNumSgprs: 44
; NumVgprs: 24
; ScratchSize: 0
; MemoryBound: 0
; FloatMode: 240
; IeeeMode: 1
; LDSByteSize: 6144 bytes/workgroup (compile time only)
; SGPRBlocks: 0
; VGPRBlocks: 1
; NumSGPRsForWavesPerEU: 44
; NumVGPRsForWavesPerEU: 24
; NamedBarCnt: 0
; Occupancy: 16
; WaveLimiterHint : 1
; COMPUTE_PGM_RSRC2:SCRATCH_EN: 0
; COMPUTE_PGM_RSRC2:USER_SGPR: 2
; COMPUTE_PGM_RSRC2:TRAP_HANDLER: 0
; COMPUTE_PGM_RSRC2:TGID_X_EN: 1
; COMPUTE_PGM_RSRC2:TGID_Y_EN: 0
; COMPUTE_PGM_RSRC2:TGID_Z_EN: 0
; COMPUTE_PGM_RSRC2:TIDIG_COMP_CNT: 0
	.section	.text._ZN9rocsparseL38csrgemm_numeric_fill_wf_per_row_kernelILj256ELj16ELj32ELj137Eii21rocsparse_complex_numIfEEEvT4_S3_PKS3_S5_NS_24const_host_device_scalarIT5_EEPKT3_S5_PKS7_SB_S5_SD_S8_SB_S5_SD_SB_S5_PS7_21rocsparse_index_base_SF_SF_SF_bbb,"axG",@progbits,_ZN9rocsparseL38csrgemm_numeric_fill_wf_per_row_kernelILj256ELj16ELj32ELj137Eii21rocsparse_complex_numIfEEEvT4_S3_PKS3_S5_NS_24const_host_device_scalarIT5_EEPKT3_S5_PKS7_SB_S5_SD_S8_SB_S5_SD_SB_S5_PS7_21rocsparse_index_base_SF_SF_SF_bbb,comdat
	.globl	_ZN9rocsparseL38csrgemm_numeric_fill_wf_per_row_kernelILj256ELj16ELj32ELj137Eii21rocsparse_complex_numIfEEEvT4_S3_PKS3_S5_NS_24const_host_device_scalarIT5_EEPKT3_S5_PKS7_SB_S5_SD_S8_SB_S5_SD_SB_S5_PS7_21rocsparse_index_base_SF_SF_SF_bbb ; -- Begin function _ZN9rocsparseL38csrgemm_numeric_fill_wf_per_row_kernelILj256ELj16ELj32ELj137Eii21rocsparse_complex_numIfEEEvT4_S3_PKS3_S5_NS_24const_host_device_scalarIT5_EEPKT3_S5_PKS7_SB_S5_SD_S8_SB_S5_SD_SB_S5_PS7_21rocsparse_index_base_SF_SF_SF_bbb
	.p2align	8
	.type	_ZN9rocsparseL38csrgemm_numeric_fill_wf_per_row_kernelILj256ELj16ELj32ELj137Eii21rocsparse_complex_numIfEEEvT4_S3_PKS3_S5_NS_24const_host_device_scalarIT5_EEPKT3_S5_PKS7_SB_S5_SD_S8_SB_S5_SD_SB_S5_PS7_21rocsparse_index_base_SF_SF_SF_bbb,@function
_ZN9rocsparseL38csrgemm_numeric_fill_wf_per_row_kernelILj256ELj16ELj32ELj137Eii21rocsparse_complex_numIfEEEvT4_S3_PKS3_S5_NS_24const_host_device_scalarIT5_EEPKT3_S5_PKS7_SB_S5_SD_S8_SB_S5_SD_SB_S5_PS7_21rocsparse_index_base_SF_SF_SF_bbb: ; @_ZN9rocsparseL38csrgemm_numeric_fill_wf_per_row_kernelILj256ELj16ELj32ELj137Eii21rocsparse_complex_numIfEEEvT4_S3_PKS3_S5_NS_24const_host_device_scalarIT5_EEPKT3_S5_PKS7_SB_S5_SD_S8_SB_S5_SD_SB_S5_PS7_21rocsparse_index_base_SF_SF_SF_bbb
; %bb.0:
	s_clause 0x7
	s_load_b32 s33, s[0:1], 0x98
	s_load_b128 s[4:7], s[0:1], 0x88
	s_load_b64 s[2:3], s[0:1], 0x80
	s_load_b128 s[8:11], s[0:1], 0x60
	s_load_b128 s[20:23], s[0:1], 0x8
	s_load_b64 s[26:27], s[0:1], 0x28
	s_load_b128 s[12:15], s[0:1], 0x40
	s_load_b64 s[36:37], s[0:1], 0x50
	s_mov_b32 s29, 0
	s_mov_b32 s38, 0
	s_wait_kmcnt 0x0
	s_bitcmp1_b32 s33, 0
	s_cselect_b32 s40, -1, 0
	s_bitcmp1_b32 s33, 16
	s_cselect_b32 s16, -1, 0
	s_delay_alu instid0(SALU_CYCLE_1) | instskip(SKIP_2) | instid1(VALU_DEP_1)
	s_xor_b32 s16, s16, -1
	s_bitcmp0_b32 s33, 0
	v_cndmask_b32_e64 v1, 0, 1, s16
	v_cmp_ne_u32_e32 vcc_lo, 1, v1
	s_cbranch_scc1 .LBB41_5
; %bb.1:
	s_load_b64 s[28:29], s[0:1], 0x18
	s_and_b32 vcc_lo, exec_lo, vcc_lo
	s_wait_kmcnt 0x0
	s_mov_b32 s38, s28
	s_cbranch_vccnz .LBB41_3
; %bb.2:
	s_load_b32 s38, s[28:29], 0x0
.LBB41_3:
	s_and_not1_b32 vcc_lo, exec_lo, s16
	s_cbranch_vccnz .LBB41_5
; %bb.4:
	s_wait_xcnt 0x0
	s_load_b32 s29, s[28:29], 0x4
.LBB41_5:
	s_clause 0x3
	s_load_b64 s[24:25], s[0:1], 0x70
	s_load_b64 s[30:31], s[0:1], 0x58
	s_load_b64 s[34:35], s[0:1], 0x20
	s_load_b128 s[16:19], s[0:1], 0x30
	s_bitcmp1_b32 s33, 8
	s_wait_xcnt 0x0
	s_mov_b32 s28, 0
	s_cselect_b32 s39, -1, 0
	s_bfe_u32 s33, s33, 0x10008
	s_delay_alu instid0(SALU_CYCLE_1)
	s_cmp_eq_u32 s33, 0
	s_mov_b32 s33, 0
	s_cbranch_scc1 .LBB41_11
; %bb.6:
	v_cmp_ne_u32_e32 vcc_lo, 1, v1
	s_mov_b32 s28, s36
	s_cbranch_vccnz .LBB41_8
; %bb.7:
	s_load_b32 s28, s[36:37], 0x0
.LBB41_8:
	v_cmp_ne_u32_e32 vcc_lo, 1, v1
	s_cbranch_vccnz .LBB41_10
; %bb.9:
	s_wait_xcnt 0x0
	s_load_b32 s37, s[36:37], 0x4
.LBB41_10:
	s_wait_kmcnt 0x0
	s_mov_b32 s33, s37
.LBB41_11:
	s_load_b64 s[0:1], s[0:1], 0x0
	v_dual_lshrrev_b32 v2, 4, v0 :: v_dual_bitop2_b32 v11, 15, v0 bitop3:0x40
	s_mov_b32 s36, 0
	s_delay_alu instid0(VALU_DEP_1) | instskip(SKIP_1) | instid1(VALU_DEP_2)
	v_dual_lshlrev_b32 v0, 7, v2 :: v_dual_lshlrev_b32 v1, 2, v11
	v_dual_lshlrev_b32 v3, 3, v11 :: v_dual_bitop2_b32 v8, -16, v11 bitop3:0x54
	v_or3_b32 v6, v0, v1, 0x1000
	s_delay_alu instid0(VALU_DEP_2) | instskip(SKIP_1) | instid1(VALU_DEP_3)
	v_lshl_or_b32 v7, v2, 8, v3
	v_mov_b64_e32 v[0:1], 0
	v_dual_mov_b32 v9, v8 :: v_dual_mov_b32 v3, v6
	s_wait_kmcnt 0x0
	s_delay_alu instid0(VALU_DEP_3)
	v_dual_mov_b32 v4, v7 :: v_dual_mov_b32 v5, s1
.LBB41_12:                              ; =>This Inner Loop Header: Depth=1
	s_delay_alu instid0(VALU_DEP_2)
	v_add_co_u32 v9, s37, v9, 16
	s_xor_b32 s37, s37, -1
	ds_store_b32 v3, v5
	ds_store_b64 v4, v[0:1]
	v_add_nc_u32_e32 v4, 0x80, v4
	v_add_nc_u32_e32 v3, 64, v3
	s_and_b32 s37, exec_lo, s37
	s_delay_alu instid0(SALU_CYCLE_1) | instskip(NEXT) | instid1(SALU_CYCLE_1)
	s_or_b32 s36, s37, s36
	s_and_not1_b32 exec_lo, exec_lo, s36
	s_cbranch_execnz .LBB41_12
; %bb.13:
	s_or_b32 exec_lo, exec_lo, s36
	s_bfe_u32 s36, ttmp6, 0x4000c
	s_and_b32 s37, ttmp6, 15
	s_add_co_i32 s36, s36, 1
	s_getreg_b32 s41, hwreg(HW_REG_IB_STS2, 6, 4)
	s_mul_i32 s36, ttmp9, s36
	s_wait_dscnt 0x0
	s_add_co_i32 s37, s37, s36
	s_cmp_eq_u32 s41, 0
	s_cselect_b32 s36, ttmp9, s37
	s_delay_alu instid0(SALU_CYCLE_1) | instskip(NEXT) | instid1(SALU_CYCLE_1)
	s_lshl_b32 s36, s36, 4
	v_and_or_b32 v0, 0xffffff0, s36, v2
	s_delay_alu instid0(VALU_DEP_1)
	v_cmp_gt_i32_e32 vcc_lo, s0, v0
	s_and_saveexec_b32 s0, vcc_lo
	s_cbranch_execz .LBB41_53
; %bb.14:
	s_cmp_eq_u64 s[22:23], 0
	s_cbranch_scc1 .LBB41_16
; %bb.15:
	s_load_b32 s0, s[20:21], 0x0
	s_wait_kmcnt 0x0
	v_add_nc_u32_e32 v0, s0, v0
	global_load_b32 v0, v0, s[22:23] scale_offset
.LBB41_16:
	v_lshl_or_b32 v9, v2, 7, 0x1000
	s_wait_loadcnt 0x0
	v_dual_lshlrev_b32 v10, 8, v2 :: v_dual_ashrrev_i32 v1, 31, v0
	s_and_not1_b32 vcc_lo, exec_lo, s40
	s_cbranch_vccnz .LBB41_34
; %bb.17:
	s_delay_alu instid0(VALU_DEP_1)
	v_lshl_add_u64 v[2:3], v[0:1], 2, s[34:35]
	v_subrev_nc_u32_e32 v4, s4, v11
	s_mov_b32 s0, exec_lo
	global_load_b64 v[2:3], v[2:3], off
	s_wait_loadcnt 0x0
	v_subrev_nc_u32_e32 v12, s4, v3
	v_add_nc_u32_e32 v2, v2, v4
	s_delay_alu instid0(VALU_DEP_1)
	v_cmpx_lt_i32_e64 v2, v12
	s_cbranch_execz .LBB41_33
; %bb.18:
	s_mov_b32 s20, 0
	s_branch .LBB41_20
.LBB41_19:                              ;   in Loop: Header=BB41_20 Depth=1
	s_or_b32 exec_lo, exec_lo, s21
	v_add_nc_u32_e32 v2, 16, v2
	s_delay_alu instid0(VALU_DEP_1) | instskip(SKIP_1) | instid1(SALU_CYCLE_1)
	v_cmp_ge_i32_e32 vcc_lo, v2, v12
	s_or_b32 s20, vcc_lo, s20
	s_and_not1_b32 exec_lo, exec_lo, s20
	s_cbranch_execz .LBB41_33
.LBB41_20:                              ; =>This Loop Header: Depth=1
                                        ;     Child Loop BB41_24 Depth 2
                                        ;       Child Loop BB41_27 Depth 3
	global_load_b32 v3, v2, s[26:27] scale_offset
	s_mov_b32 s21, exec_lo
	s_wait_loadcnt 0x0
	v_subrev_nc_u32_e32 v4, s4, v3
	s_delay_alu instid0(VALU_DEP_1) | instskip(NEXT) | instid1(VALU_DEP_1)
	v_ashrrev_i32_e32 v5, 31, v4
	v_lshl_add_u64 v[4:5], v[4:5], 2, s[18:19]
	global_load_b64 v[4:5], v[4:5], off
	s_wait_loadcnt 0x0
	s_wait_xcnt 0x0
	v_cmpx_lt_i32_e64 v4, v5
	s_cbranch_execz .LBB41_19
; %bb.21:                               ;   in Loop: Header=BB41_20 Depth=1
	v_ashrrev_i32_e32 v3, 31, v2
	s_mov_b32 s22, 0
	s_delay_alu instid0(VALU_DEP_1)
	v_lshl_add_u64 v[14:15], v[2:3], 3, s[16:17]
	global_load_b64 v[16:17], v[14:15], off
	s_wait_xcnt 0x0
	v_subrev_nc_u32_e32 v14, s5, v5
	v_subrev_nc_u32_e32 v15, s5, v4
	s_wait_loadcnt 0x0
	v_mul_f32_e64 v3, v17, -s29
	s_delay_alu instid0(VALU_DEP_1) | instskip(NEXT) | instid1(VALU_DEP_1)
	v_dual_mul_f32 v13, s38, v17 :: v_dual_fmac_f32 v3, s38, v16
	v_fmac_f32_e32 v13, s29, v16
	s_branch .LBB41_24
.LBB41_22:                              ;   in Loop: Header=BB41_24 Depth=2
	s_or_b32 exec_lo, exec_lo, s34
.LBB41_23:                              ;   in Loop: Header=BB41_24 Depth=2
	s_delay_alu instid0(SALU_CYCLE_1) | instskip(SKIP_4) | instid1(VALU_DEP_3)
	s_or_b32 exec_lo, exec_lo, s23
	s_wait_loadcnt 0x0
	v_dual_mul_f32 v17, v5, -v13 :: v_dual_add_nc_u32 v15, 1, v15
	v_mul_f32_e32 v5, v3, v5
	v_lshl_add_u32 v16, v16, 3, v10
	v_fmac_f32_e32 v17, v3, v4
	s_delay_alu instid0(VALU_DEP_4) | instskip(NEXT) | instid1(VALU_DEP_4)
	v_cmp_ge_i32_e32 vcc_lo, v15, v14
	v_fmac_f32_e32 v5, v13, v4
	ds_add_f32 v16, v17
	ds_add_f32 v16, v5 offset:4
	s_or_b32 s22, vcc_lo, s22
	s_delay_alu instid0(SALU_CYCLE_1)
	s_and_not1_b32 exec_lo, exec_lo, s22
	s_cbranch_execz .LBB41_19
.LBB41_24:                              ;   Parent Loop BB41_20 Depth=1
                                        ; =>  This Loop Header: Depth=2
                                        ;       Child Loop BB41_27 Depth 3
	s_clause 0x1
	global_load_b32 v16, v15, s[12:13] scale_offset
	global_load_b64 v[4:5], v15, s[14:15] scale_offset
	s_mov_b32 s23, exec_lo
	s_wait_loadcnt 0x1
	v_subrev_nc_u32_e32 v17, s5, v16
	s_delay_alu instid0(VALU_DEP_1) | instskip(NEXT) | instid1(VALU_DEP_1)
	v_lshl_add_u32 v16, v17, 3, v17
	v_and_b32_e32 v16, 31, v16
	s_delay_alu instid0(VALU_DEP_1)
	v_lshl_add_u32 v18, v16, 2, v9
	ds_load_b32 v19, v18
	s_wait_dscnt 0x0
	s_wait_xcnt 0x0
	v_cmpx_ne_u32_e64 v19, v17
	s_cbranch_execz .LBB41_23
; %bb.25:                               ;   in Loop: Header=BB41_24 Depth=2
	s_mov_b32 s34, 0
	s_branch .LBB41_27
.LBB41_26:                              ;   in Loop: Header=BB41_27 Depth=3
	s_or_b32 exec_lo, exec_lo, s37
	s_delay_alu instid0(SALU_CYCLE_1) | instskip(NEXT) | instid1(SALU_CYCLE_1)
	s_and_b32 s35, exec_lo, s36
	s_or_b32 s34, s35, s34
	s_delay_alu instid0(SALU_CYCLE_1)
	s_and_not1_b32 exec_lo, exec_lo, s34
	s_cbranch_execz .LBB41_22
.LBB41_27:                              ;   Parent Loop BB41_20 Depth=1
                                        ;     Parent Loop BB41_24 Depth=2
                                        ; =>    This Inner Loop Header: Depth=3
	s_mov_b32 s35, 0
	s_mov_b32 s36, exec_lo
	v_cmpx_ne_u32_e64 s1, v19
	s_xor_b32 s36, exec_lo, s36
	s_cbranch_execz .LBB41_29
; %bb.28:                               ;   in Loop: Header=BB41_27 Depth=3
	v_add_nc_u32_e32 v16, 1, v16
	s_mov_b32 s35, exec_lo
                                        ; implicit-def: $vgpr18
	s_delay_alu instid0(VALU_DEP_1)
	v_and_b32_e32 v16, 31, v16
	s_and_not1_saveexec_b32 s36, s36
	s_cbranch_execz .LBB41_31
	s_branch .LBB41_30
.LBB41_29:                              ;   in Loop: Header=BB41_27 Depth=3
	s_and_not1_saveexec_b32 s36, s36
	s_cbranch_execz .LBB41_31
.LBB41_30:                              ;   in Loop: Header=BB41_27 Depth=3
	v_mov_b32_e32 v19, s1
	s_and_not1_b32 s35, s35, exec_lo
	ds_cmpstore_rtn_b32 v18, v18, v17, v19
	s_wait_dscnt 0x0
	v_cmp_ne_u32_e32 vcc_lo, s1, v18
	s_and_b32 s37, vcc_lo, exec_lo
	s_delay_alu instid0(SALU_CYCLE_1)
	s_or_b32 s35, s35, s37
.LBB41_31:                              ;   in Loop: Header=BB41_27 Depth=3
	s_or_b32 exec_lo, exec_lo, s36
	s_mov_b32 s36, -1
                                        ; implicit-def: $vgpr18
                                        ; implicit-def: $vgpr19
	s_and_saveexec_b32 s37, s35
	s_cbranch_execz .LBB41_26
; %bb.32:                               ;   in Loop: Header=BB41_27 Depth=3
	v_lshl_add_u32 v18, v16, 2, v9
	ds_load_b32 v19, v18
	s_wait_dscnt 0x0
	v_cmp_eq_u32_e32 vcc_lo, v19, v17
	s_or_not1_b32 s36, vcc_lo, exec_lo
	s_branch .LBB41_26
.LBB41_33:
	s_or_b32 exec_lo, exec_lo, s0
.LBB41_34:
	s_delay_alu instid0(SALU_CYCLE_1)
	s_and_not1_b32 vcc_lo, exec_lo, s39
	s_cbranch_vccnz .LBB41_49
; %bb.35:
	v_lshl_add_u64 v[2:3], v[0:1], 2, s[30:31]
	v_subrev_nc_u32_e32 v5, s7, v11
	s_mov_b32 s0, exec_lo
	global_load_b64 v[2:3], v[2:3], off
	s_wait_loadcnt 0x0
	v_subrev_nc_u32_e32 v4, s7, v3
	v_add_nc_u32_e32 v5, v2, v5
	s_delay_alu instid0(VALU_DEP_1)
	v_cmpx_lt_i32_e64 v5, v4
	s_cbranch_execz .LBB41_48
; %bb.36:
	s_mov_b32 s4, 0
	s_branch .LBB41_39
.LBB41_37:                              ;   in Loop: Header=BB41_39 Depth=1
	s_or_b32 exec_lo, exec_lo, s12
.LBB41_38:                              ;   in Loop: Header=BB41_39 Depth=1
	s_delay_alu instid0(SALU_CYCLE_1) | instskip(SKIP_4) | instid1(VALU_DEP_3)
	s_or_b32 exec_lo, exec_lo, s5
	s_wait_loadcnt 0x0
	v_mul_f32_e64 v12, v3, -s33
	v_mul_f32_e32 v3, s28, v3
	v_lshl_add_u32 v11, v11, 3, v10
	v_dual_fmac_f32 v12, s28, v2 :: v_dual_add_nc_u32 v5, 16, v5
	s_delay_alu instid0(VALU_DEP_3) | instskip(SKIP_4) | instid1(SALU_CYCLE_1)
	v_fmac_f32_e32 v3, s33, v2
	ds_add_f32 v11, v12
	ds_add_f32 v11, v3 offset:4
	v_cmp_ge_i32_e32 vcc_lo, v5, v4
	s_or_b32 s4, vcc_lo, s4
	s_and_not1_b32 exec_lo, exec_lo, s4
	s_cbranch_execz .LBB41_48
.LBB41_39:                              ; =>This Loop Header: Depth=1
                                        ;     Child Loop BB41_42 Depth 2
	s_clause 0x1
	global_load_b32 v11, v5, s[8:9] scale_offset
	global_load_b64 v[2:3], v5, s[10:11] scale_offset
	s_mov_b32 s5, exec_lo
	s_wait_loadcnt 0x1
	v_subrev_nc_u32_e32 v12, s7, v11
	s_delay_alu instid0(VALU_DEP_1) | instskip(NEXT) | instid1(VALU_DEP_1)
	v_lshl_add_u32 v11, v12, 3, v12
	v_and_b32_e32 v11, 31, v11
	s_delay_alu instid0(VALU_DEP_1)
	v_lshl_add_u32 v13, v11, 2, v9
	ds_load_b32 v14, v13
	s_wait_dscnt 0x0
	s_wait_xcnt 0x0
	v_cmpx_ne_u32_e64 v14, v12
	s_cbranch_execz .LBB41_38
; %bb.40:                               ;   in Loop: Header=BB41_39 Depth=1
	s_mov_b32 s12, 0
	s_branch .LBB41_42
.LBB41_41:                              ;   in Loop: Header=BB41_42 Depth=2
	s_or_b32 exec_lo, exec_lo, s15
	s_delay_alu instid0(SALU_CYCLE_1) | instskip(NEXT) | instid1(SALU_CYCLE_1)
	s_and_b32 s13, exec_lo, s14
	s_or_b32 s12, s13, s12
	s_delay_alu instid0(SALU_CYCLE_1)
	s_and_not1_b32 exec_lo, exec_lo, s12
	s_cbranch_execz .LBB41_37
.LBB41_42:                              ;   Parent Loop BB41_39 Depth=1
                                        ; =>  This Inner Loop Header: Depth=2
	s_mov_b32 s13, 0
	s_mov_b32 s14, exec_lo
	v_cmpx_ne_u32_e64 s1, v14
	s_xor_b32 s14, exec_lo, s14
	s_cbranch_execz .LBB41_44
; %bb.43:                               ;   in Loop: Header=BB41_42 Depth=2
	v_add_nc_u32_e32 v11, 1, v11
	s_mov_b32 s13, exec_lo
                                        ; implicit-def: $vgpr13
	s_delay_alu instid0(VALU_DEP_1)
	v_and_b32_e32 v11, 31, v11
	s_and_not1_saveexec_b32 s14, s14
	s_cbranch_execz .LBB41_46
	s_branch .LBB41_45
.LBB41_44:                              ;   in Loop: Header=BB41_42 Depth=2
	s_and_not1_saveexec_b32 s14, s14
	s_cbranch_execz .LBB41_46
.LBB41_45:                              ;   in Loop: Header=BB41_42 Depth=2
	v_mov_b32_e32 v14, s1
	s_and_not1_b32 s13, s13, exec_lo
	ds_cmpstore_rtn_b32 v13, v13, v12, v14
	s_wait_dscnt 0x0
	v_cmp_ne_u32_e32 vcc_lo, s1, v13
	s_and_b32 s15, vcc_lo, exec_lo
	s_delay_alu instid0(SALU_CYCLE_1)
	s_or_b32 s13, s13, s15
.LBB41_46:                              ;   in Loop: Header=BB41_42 Depth=2
	s_or_b32 exec_lo, exec_lo, s14
	s_mov_b32 s14, -1
                                        ; implicit-def: $vgpr13
                                        ; implicit-def: $vgpr14
	s_and_saveexec_b32 s15, s13
	s_cbranch_execz .LBB41_41
; %bb.47:                               ;   in Loop: Header=BB41_42 Depth=2
	v_lshl_add_u32 v13, v11, 2, v9
	ds_load_b32 v14, v13
	s_wait_dscnt 0x0
	v_cmp_eq_u32_e32 vcc_lo, v14, v12
	s_or_not1_b32 s14, vcc_lo, exec_lo
	s_branch .LBB41_41
.LBB41_48:
	s_or_b32 exec_lo, exec_lo, s0
.LBB41_49:
	v_lshl_add_u64 v[0:1], v[0:1], 2, s[24:25]
	s_wait_dscnt 0x0
	s_mov_b32 s0, 0
	global_load_b32 v0, v[0:1], off
	s_wait_loadcnt 0x0
	v_subrev_nc_u32_e32 v0, s6, v0
	s_branch .LBB41_51
.LBB41_50:                              ;   in Loop: Header=BB41_51 Depth=1
	s_wait_xcnt 0x0
	s_or_b32 exec_lo, exec_lo, s4
	v_add_co_u32 v8, s4, v8, 16
	s_xor_b32 s4, s4, -1
	v_add_nc_u32_e32 v7, 0x80, v7
	v_add_nc_u32_e32 v6, 64, v6
	s_and_b32 s4, exec_lo, s4
	s_delay_alu instid0(SALU_CYCLE_1) | instskip(NEXT) | instid1(SALU_CYCLE_1)
	s_or_b32 s0, s4, s0
	s_and_not1_b32 exec_lo, exec_lo, s0
	s_cbranch_execz .LBB41_53
.LBB41_51:                              ; =>This Inner Loop Header: Depth=1
	ds_load_b32 v1, v6
	s_mov_b32 s4, exec_lo
	s_wait_dscnt 0x0
	v_cmpx_gt_i32_e64 s1, v1
	s_cbranch_execz .LBB41_50
; %bb.52:                               ;   in Loop: Header=BB41_51 Depth=1
	ds_load_b128 v[2:5], v9
	ds_load_b128 v[10:13], v9 offset:16
	ds_load_b128 v[14:17], v9 offset:32
	;; [unrolled: 1-line block ×7, first 2 shown]
	ds_load_b64 v[38:39], v7
	s_wait_dscnt 0x8
	v_cmp_gt_i32_e32 vcc_lo, v1, v2
	v_cndmask_b32_e64 v2, 0, 1, vcc_lo
	v_cmp_gt_i32_e32 vcc_lo, v1, v4
	v_cndmask_b32_e64 v4, 0, 1, vcc_lo
	v_cmp_gt_i32_e32 vcc_lo, v1, v3
	s_delay_alu instid0(VALU_DEP_4)
	v_add_co_ci_u32_e64 v2, null, v0, v2, vcc_lo
	s_wait_dscnt 0x7
	v_cmp_gt_i32_e32 vcc_lo, v1, v10
	v_cndmask_b32_e64 v3, 0, 1, vcc_lo
	v_cmp_gt_i32_e32 vcc_lo, v1, v5
	v_add_co_ci_u32_e64 v2, null, v2, v4, vcc_lo
	v_cmp_gt_i32_e32 vcc_lo, v1, v12
	v_cndmask_b32_e64 v4, 0, 1, vcc_lo
	v_cmp_gt_i32_e32 vcc_lo, v1, v11
	s_delay_alu instid0(VALU_DEP_4)
	v_add_co_ci_u32_e64 v2, null, v2, v3, vcc_lo
	s_wait_dscnt 0x6
	v_cmp_gt_i32_e32 vcc_lo, v1, v14
	v_cndmask_b32_e64 v3, 0, 1, vcc_lo
	v_cmp_gt_i32_e32 vcc_lo, v1, v13
	v_add_co_ci_u32_e64 v2, null, v2, v4, vcc_lo
	;; [unrolled: 10-line block ×7, first 2 shown]
	v_cmp_gt_i32_e32 vcc_lo, v1, v35
	s_delay_alu instid0(VALU_DEP_2) | instskip(SKIP_3) | instid1(VALU_DEP_2)
	v_add_co_ci_u32_e64 v2, null, v2, v3, vcc_lo
	v_cmp_gt_i32_e32 vcc_lo, v1, v36
	v_cndmask_b32_e64 v3, 0, 1, vcc_lo
	v_cmp_gt_i32_e32 vcc_lo, v1, v37
	v_add_co_ci_u32_e64 v1, null, v2, v3, vcc_lo
	s_wait_dscnt 0x0
	global_store_b64 v1, v[38:39], s[2:3] scale_offset
	s_branch .LBB41_50
.LBB41_53:
	s_endpgm
	.section	.rodata,"a",@progbits
	.p2align	6, 0x0
	.amdhsa_kernel _ZN9rocsparseL38csrgemm_numeric_fill_wf_per_row_kernelILj256ELj16ELj32ELj137Eii21rocsparse_complex_numIfEEEvT4_S3_PKS3_S5_NS_24const_host_device_scalarIT5_EEPKT3_S5_PKS7_SB_S5_SD_S8_SB_S5_SD_SB_S5_PS7_21rocsparse_index_base_SF_SF_SF_bbb
		.amdhsa_group_segment_fixed_size 6144
		.amdhsa_private_segment_fixed_size 0
		.amdhsa_kernarg_size 156
		.amdhsa_user_sgpr_count 2
		.amdhsa_user_sgpr_dispatch_ptr 0
		.amdhsa_user_sgpr_queue_ptr 0
		.amdhsa_user_sgpr_kernarg_segment_ptr 1
		.amdhsa_user_sgpr_dispatch_id 0
		.amdhsa_user_sgpr_kernarg_preload_length 0
		.amdhsa_user_sgpr_kernarg_preload_offset 0
		.amdhsa_user_sgpr_private_segment_size 0
		.amdhsa_wavefront_size32 1
		.amdhsa_uses_dynamic_stack 0
		.amdhsa_enable_private_segment 0
		.amdhsa_system_sgpr_workgroup_id_x 1
		.amdhsa_system_sgpr_workgroup_id_y 0
		.amdhsa_system_sgpr_workgroup_id_z 0
		.amdhsa_system_sgpr_workgroup_info 0
		.amdhsa_system_vgpr_workitem_id 0
		.amdhsa_next_free_vgpr 40
		.amdhsa_next_free_sgpr 42
		.amdhsa_named_barrier_count 0
		.amdhsa_reserve_vcc 1
		.amdhsa_float_round_mode_32 0
		.amdhsa_float_round_mode_16_64 0
		.amdhsa_float_denorm_mode_32 3
		.amdhsa_float_denorm_mode_16_64 3
		.amdhsa_fp16_overflow 0
		.amdhsa_memory_ordered 1
		.amdhsa_forward_progress 1
		.amdhsa_inst_pref_size 19
		.amdhsa_round_robin_scheduling 0
		.amdhsa_exception_fp_ieee_invalid_op 0
		.amdhsa_exception_fp_denorm_src 0
		.amdhsa_exception_fp_ieee_div_zero 0
		.amdhsa_exception_fp_ieee_overflow 0
		.amdhsa_exception_fp_ieee_underflow 0
		.amdhsa_exception_fp_ieee_inexact 0
		.amdhsa_exception_int_div_zero 0
	.end_amdhsa_kernel
	.section	.text._ZN9rocsparseL38csrgemm_numeric_fill_wf_per_row_kernelILj256ELj16ELj32ELj137Eii21rocsparse_complex_numIfEEEvT4_S3_PKS3_S5_NS_24const_host_device_scalarIT5_EEPKT3_S5_PKS7_SB_S5_SD_S8_SB_S5_SD_SB_S5_PS7_21rocsparse_index_base_SF_SF_SF_bbb,"axG",@progbits,_ZN9rocsparseL38csrgemm_numeric_fill_wf_per_row_kernelILj256ELj16ELj32ELj137Eii21rocsparse_complex_numIfEEEvT4_S3_PKS3_S5_NS_24const_host_device_scalarIT5_EEPKT3_S5_PKS7_SB_S5_SD_S8_SB_S5_SD_SB_S5_PS7_21rocsparse_index_base_SF_SF_SF_bbb,comdat
.Lfunc_end41:
	.size	_ZN9rocsparseL38csrgemm_numeric_fill_wf_per_row_kernelILj256ELj16ELj32ELj137Eii21rocsparse_complex_numIfEEEvT4_S3_PKS3_S5_NS_24const_host_device_scalarIT5_EEPKT3_S5_PKS7_SB_S5_SD_S8_SB_S5_SD_SB_S5_PS7_21rocsparse_index_base_SF_SF_SF_bbb, .Lfunc_end41-_ZN9rocsparseL38csrgemm_numeric_fill_wf_per_row_kernelILj256ELj16ELj32ELj137Eii21rocsparse_complex_numIfEEEvT4_S3_PKS3_S5_NS_24const_host_device_scalarIT5_EEPKT3_S5_PKS7_SB_S5_SD_S8_SB_S5_SD_SB_S5_PS7_21rocsparse_index_base_SF_SF_SF_bbb
                                        ; -- End function
	.set _ZN9rocsparseL38csrgemm_numeric_fill_wf_per_row_kernelILj256ELj16ELj32ELj137Eii21rocsparse_complex_numIfEEEvT4_S3_PKS3_S5_NS_24const_host_device_scalarIT5_EEPKT3_S5_PKS7_SB_S5_SD_S8_SB_S5_SD_SB_S5_PS7_21rocsparse_index_base_SF_SF_SF_bbb.num_vgpr, 40
	.set _ZN9rocsparseL38csrgemm_numeric_fill_wf_per_row_kernelILj256ELj16ELj32ELj137Eii21rocsparse_complex_numIfEEEvT4_S3_PKS3_S5_NS_24const_host_device_scalarIT5_EEPKT3_S5_PKS7_SB_S5_SD_S8_SB_S5_SD_SB_S5_PS7_21rocsparse_index_base_SF_SF_SF_bbb.num_agpr, 0
	.set _ZN9rocsparseL38csrgemm_numeric_fill_wf_per_row_kernelILj256ELj16ELj32ELj137Eii21rocsparse_complex_numIfEEEvT4_S3_PKS3_S5_NS_24const_host_device_scalarIT5_EEPKT3_S5_PKS7_SB_S5_SD_S8_SB_S5_SD_SB_S5_PS7_21rocsparse_index_base_SF_SF_SF_bbb.numbered_sgpr, 42
	.set _ZN9rocsparseL38csrgemm_numeric_fill_wf_per_row_kernelILj256ELj16ELj32ELj137Eii21rocsparse_complex_numIfEEEvT4_S3_PKS3_S5_NS_24const_host_device_scalarIT5_EEPKT3_S5_PKS7_SB_S5_SD_S8_SB_S5_SD_SB_S5_PS7_21rocsparse_index_base_SF_SF_SF_bbb.num_named_barrier, 0
	.set _ZN9rocsparseL38csrgemm_numeric_fill_wf_per_row_kernelILj256ELj16ELj32ELj137Eii21rocsparse_complex_numIfEEEvT4_S3_PKS3_S5_NS_24const_host_device_scalarIT5_EEPKT3_S5_PKS7_SB_S5_SD_S8_SB_S5_SD_SB_S5_PS7_21rocsparse_index_base_SF_SF_SF_bbb.private_seg_size, 0
	.set _ZN9rocsparseL38csrgemm_numeric_fill_wf_per_row_kernelILj256ELj16ELj32ELj137Eii21rocsparse_complex_numIfEEEvT4_S3_PKS3_S5_NS_24const_host_device_scalarIT5_EEPKT3_S5_PKS7_SB_S5_SD_S8_SB_S5_SD_SB_S5_PS7_21rocsparse_index_base_SF_SF_SF_bbb.uses_vcc, 1
	.set _ZN9rocsparseL38csrgemm_numeric_fill_wf_per_row_kernelILj256ELj16ELj32ELj137Eii21rocsparse_complex_numIfEEEvT4_S3_PKS3_S5_NS_24const_host_device_scalarIT5_EEPKT3_S5_PKS7_SB_S5_SD_S8_SB_S5_SD_SB_S5_PS7_21rocsparse_index_base_SF_SF_SF_bbb.uses_flat_scratch, 0
	.set _ZN9rocsparseL38csrgemm_numeric_fill_wf_per_row_kernelILj256ELj16ELj32ELj137Eii21rocsparse_complex_numIfEEEvT4_S3_PKS3_S5_NS_24const_host_device_scalarIT5_EEPKT3_S5_PKS7_SB_S5_SD_S8_SB_S5_SD_SB_S5_PS7_21rocsparse_index_base_SF_SF_SF_bbb.has_dyn_sized_stack, 0
	.set _ZN9rocsparseL38csrgemm_numeric_fill_wf_per_row_kernelILj256ELj16ELj32ELj137Eii21rocsparse_complex_numIfEEEvT4_S3_PKS3_S5_NS_24const_host_device_scalarIT5_EEPKT3_S5_PKS7_SB_S5_SD_S8_SB_S5_SD_SB_S5_PS7_21rocsparse_index_base_SF_SF_SF_bbb.has_recursion, 0
	.set _ZN9rocsparseL38csrgemm_numeric_fill_wf_per_row_kernelILj256ELj16ELj32ELj137Eii21rocsparse_complex_numIfEEEvT4_S3_PKS3_S5_NS_24const_host_device_scalarIT5_EEPKT3_S5_PKS7_SB_S5_SD_S8_SB_S5_SD_SB_S5_PS7_21rocsparse_index_base_SF_SF_SF_bbb.has_indirect_call, 0
	.section	.AMDGPU.csdata,"",@progbits
; Kernel info:
; codeLenInByte = 2344
; TotalNumSgprs: 44
; NumVgprs: 40
; ScratchSize: 0
; MemoryBound: 0
; FloatMode: 240
; IeeeMode: 1
; LDSByteSize: 6144 bytes/workgroup (compile time only)
; SGPRBlocks: 0
; VGPRBlocks: 2
; NumSGPRsForWavesPerEU: 44
; NumVGPRsForWavesPerEU: 40
; NamedBarCnt: 0
; Occupancy: 16
; WaveLimiterHint : 1
; COMPUTE_PGM_RSRC2:SCRATCH_EN: 0
; COMPUTE_PGM_RSRC2:USER_SGPR: 2
; COMPUTE_PGM_RSRC2:TRAP_HANDLER: 0
; COMPUTE_PGM_RSRC2:TGID_X_EN: 1
; COMPUTE_PGM_RSRC2:TGID_Y_EN: 0
; COMPUTE_PGM_RSRC2:TGID_Z_EN: 0
; COMPUTE_PGM_RSRC2:TIDIG_COMP_CNT: 0
	.section	.text._ZN9rocsparseL41csrgemm_numeric_fill_block_per_row_kernelILj128ELj16ELj256ELj137ELj32Eii21rocsparse_complex_numIfEEEvT5_PKS3_S5_NS_24const_host_device_scalarIT6_EEPKT4_S5_PKS7_SB_S5_SD_S8_SB_S5_SD_SB_S5_PS7_21rocsparse_index_base_SF_SF_SF_bbb,"axG",@progbits,_ZN9rocsparseL41csrgemm_numeric_fill_block_per_row_kernelILj128ELj16ELj256ELj137ELj32Eii21rocsparse_complex_numIfEEEvT5_PKS3_S5_NS_24const_host_device_scalarIT6_EEPKT4_S5_PKS7_SB_S5_SD_S8_SB_S5_SD_SB_S5_PS7_21rocsparse_index_base_SF_SF_SF_bbb,comdat
	.globl	_ZN9rocsparseL41csrgemm_numeric_fill_block_per_row_kernelILj128ELj16ELj256ELj137ELj32Eii21rocsparse_complex_numIfEEEvT5_PKS3_S5_NS_24const_host_device_scalarIT6_EEPKT4_S5_PKS7_SB_S5_SD_S8_SB_S5_SD_SB_S5_PS7_21rocsparse_index_base_SF_SF_SF_bbb ; -- Begin function _ZN9rocsparseL41csrgemm_numeric_fill_block_per_row_kernelILj128ELj16ELj256ELj137ELj32Eii21rocsparse_complex_numIfEEEvT5_PKS3_S5_NS_24const_host_device_scalarIT6_EEPKT4_S5_PKS7_SB_S5_SD_S8_SB_S5_SD_SB_S5_PS7_21rocsparse_index_base_SF_SF_SF_bbb
	.p2align	8
	.type	_ZN9rocsparseL41csrgemm_numeric_fill_block_per_row_kernelILj128ELj16ELj256ELj137ELj32Eii21rocsparse_complex_numIfEEEvT5_PKS3_S5_NS_24const_host_device_scalarIT6_EEPKT4_S5_PKS7_SB_S5_SD_S8_SB_S5_SD_SB_S5_PS7_21rocsparse_index_base_SF_SF_SF_bbb,@function
_ZN9rocsparseL41csrgemm_numeric_fill_block_per_row_kernelILj128ELj16ELj256ELj137ELj32Eii21rocsparse_complex_numIfEEEvT5_PKS3_S5_NS_24const_host_device_scalarIT6_EEPKT4_S5_PKS7_SB_S5_SD_S8_SB_S5_SD_SB_S5_PS7_21rocsparse_index_base_SF_SF_SF_bbb: ; @_ZN9rocsparseL41csrgemm_numeric_fill_block_per_row_kernelILj128ELj16ELj256ELj137ELj32Eii21rocsparse_complex_numIfEEEvT5_PKS3_S5_NS_24const_host_device_scalarIT6_EEPKT4_S5_PKS7_SB_S5_SD_S8_SB_S5_SD_SB_S5_PS7_21rocsparse_index_base_SF_SF_SF_bbb
; %bb.0:
	s_clause 0x7
	s_load_b32 s33, s[0:1], 0x98
	s_load_b128 s[4:7], s[0:1], 0x88
	s_load_b64 s[24:25], s[0:1], 0x80
	s_load_b128 s[8:11], s[0:1], 0x60
	s_load_b128 s[20:23], s[0:1], 0x8
	s_load_b64 s[2:3], s[0:1], 0x28
	s_load_b128 s[12:15], s[0:1], 0x40
	s_load_b64 s[36:37], s[0:1], 0x50
	s_mov_b32 s29, 0
	s_mov_b32 s39, 0
	s_wait_kmcnt 0x0
	s_bitcmp1_b32 s33, 0
	s_cselect_b32 s41, -1, 0
	s_bitcmp1_b32 s33, 16
	s_cselect_b32 s16, -1, 0
	s_delay_alu instid0(SALU_CYCLE_1) | instskip(SKIP_2) | instid1(VALU_DEP_1)
	s_xor_b32 s16, s16, -1
	s_bitcmp0_b32 s33, 0
	v_cndmask_b32_e64 v1, 0, 1, s16
	v_cmp_ne_u32_e32 vcc_lo, 1, v1
	s_cbranch_scc1 .LBB42_5
; %bb.1:
	s_load_b64 s[28:29], s[0:1], 0x18
	s_and_b32 vcc_lo, exec_lo, vcc_lo
	s_wait_kmcnt 0x0
	s_mov_b32 s39, s28
	s_cbranch_vccnz .LBB42_3
; %bb.2:
	s_load_b32 s39, s[28:29], 0x0
.LBB42_3:
	s_and_not1_b32 vcc_lo, exec_lo, s16
	s_cbranch_vccnz .LBB42_5
; %bb.4:
	s_wait_xcnt 0x0
	s_load_b32 s29, s[28:29], 0x4
.LBB42_5:
	s_clause 0x3
	s_load_b64 s[26:27], s[0:1], 0x70
	s_load_b64 s[30:31], s[0:1], 0x58
	;; [unrolled: 1-line block ×3, first 2 shown]
	s_load_b128 s[16:19], s[0:1], 0x30
	s_bitcmp1_b32 s33, 8
	s_mov_b32 s38, 0
	s_cselect_b32 s40, -1, 0
	s_wait_xcnt 0x0
	s_bfe_u32 s28, s33, 0x10008
	s_mov_b32 s33, 0
	s_cmp_eq_u32 s28, 0
	s_cbranch_scc1 .LBB42_11
; %bb.6:
	v_cmp_ne_u32_e32 vcc_lo, 1, v1
	s_mov_b32 s33, s36
	s_cbranch_vccnz .LBB42_8
; %bb.7:
	s_load_b32 s33, s[36:37], 0x0
.LBB42_8:
	v_cmp_ne_u32_e32 vcc_lo, 1, v1
	s_cbranch_vccnz .LBB42_10
; %bb.9:
	s_wait_xcnt 0x0
	s_load_b32 s37, s[36:37], 0x4
.LBB42_10:
	s_wait_kmcnt 0x0
	s_mov_b32 s38, s37
.LBB42_11:
	s_load_b32 s28, s[0:1], 0x0
	s_wait_xcnt 0x0
	v_cmp_gt_u32_e64 s0, 0x100, v0
	v_lshlrev_b32_e32 v7, 3, v0
	v_or_b32_e32 v1, 0xffffff80, v0
	v_lshl_add_u32 v6, v0, 2, 0
	s_and_saveexec_b32 s1, s0
	s_cbranch_execz .LBB42_14
; %bb.12:
	v_add3_u32 v2, v7, 0, 0x400
	v_or_b32_e32 v3, 0xffffff80, v0
	v_lshl_add_u32 v4, v0, 2, 0
	s_wait_kmcnt 0x0
	v_dual_mov_b32 v5, s28 :: v_dual_mov_b32 v8, 0
	s_mov_b32 s36, 0
.LBB42_13:                              ; =>This Inner Loop Header: Depth=1
	v_add_co_u32 v3, s37, 0x80, v3
	s_xor_b32 s37, s37, -1
	ds_store_b32 v4, v5
	ds_store_2addr_b32 v2, v8, v8 offset1:1
	v_add_nc_u32_e32 v2, 0x400, v2
	v_add_nc_u32_e32 v4, 0x200, v4
	s_and_b32 s37, exec_lo, s37
	s_delay_alu instid0(SALU_CYCLE_1) | instskip(NEXT) | instid1(SALU_CYCLE_1)
	s_or_b32 s36, s37, s36
	s_and_not1_b32 exec_lo, exec_lo, s36
	s_cbranch_execnz .LBB42_13
.LBB42_14:
	s_or_b32 exec_lo, exec_lo, s1
	s_wait_dscnt 0x0
	s_barrier_signal -1
	s_barrier_wait -1
	s_load_b32 s1, s[20:21], 0x0
	s_wait_xcnt 0x0
	s_bfe_u32 s20, ttmp6, 0x4000c
	s_and_b32 s21, ttmp6, 15
	s_add_co_i32 s20, s20, 1
	s_getreg_b32 s36, hwreg(HW_REG_IB_STS2, 6, 4)
	s_mul_i32 s20, ttmp9, s20
	s_delay_alu instid0(SALU_CYCLE_1)
	s_add_co_i32 s21, s21, s20
	s_cmp_eq_u32 s36, 0
	s_cselect_b32 s20, ttmp9, s21
	s_and_b32 vcc_lo, exec_lo, s41
	s_wait_kmcnt 0x0
	s_add_co_i32 s1, s1, s20
	s_load_b32 s20, s[22:23], s1 offset:0x0 scale_offset
	s_cbranch_vccz .LBB42_32
; %bb.15:
	s_wait_kmcnt 0x0
	s_ashr_i32 s21, s20, 31
	v_lshrrev_b32_e32 v2, 4, v0
	s_lshl_b64 s[22:23], s[20:21], 2
	s_mov_b32 s21, exec_lo
	s_add_nc_u64 s[22:23], s[34:35], s[22:23]
	s_delay_alu instid0(VALU_DEP_1) | instskip(SKIP_2) | instid1(VALU_DEP_1)
	v_subrev_nc_u32_e32 v2, s4, v2
	s_load_b64 s[34:35], s[22:23], 0x0
	s_wait_kmcnt 0x0
	v_add_nc_u32_e32 v2, s34, v2
	s_sub_co_i32 s1, s35, s4
	s_delay_alu instid0(VALU_DEP_1) | instid1(SALU_CYCLE_1)
	v_cmpx_gt_i32_e64 s1, v2
	s_cbranch_execz .LBB42_31
; %bb.16:
	v_and_b32_e32 v3, 15, v0
	s_mov_b32 s22, 0
	s_delay_alu instid0(VALU_DEP_1)
	v_subrev_nc_u32_e32 v8, s5, v3
	s_branch .LBB42_18
.LBB42_17:                              ;   in Loop: Header=BB42_18 Depth=1
	s_or_b32 exec_lo, exec_lo, s23
	v_add_nc_u32_e32 v2, 8, v2
	s_delay_alu instid0(VALU_DEP_1) | instskip(SKIP_1) | instid1(SALU_CYCLE_1)
	v_cmp_le_i32_e32 vcc_lo, s1, v2
	s_or_b32 s22, vcc_lo, s22
	s_and_not1_b32 exec_lo, exec_lo, s22
	s_cbranch_execz .LBB42_31
.LBB42_18:                              ; =>This Loop Header: Depth=1
                                        ;     Child Loop BB42_22 Depth 2
                                        ;       Child Loop BB42_25 Depth 3
	global_load_b32 v3, v2, s[2:3] scale_offset
	s_mov_b32 s23, exec_lo
	s_wait_loadcnt 0x0
	v_subrev_nc_u32_e32 v4, s4, v3
	s_delay_alu instid0(VALU_DEP_1) | instskip(NEXT) | instid1(VALU_DEP_1)
	v_ashrrev_i32_e32 v5, 31, v4
	v_lshl_add_u64 v[4:5], v[4:5], 2, s[18:19]
	global_load_b64 v[4:5], v[4:5], off
	s_wait_loadcnt 0x0
	v_subrev_nc_u32_e32 v9, s5, v5
	v_add_nc_u32_e32 v10, v4, v8
	s_wait_xcnt 0x0
	s_delay_alu instid0(VALU_DEP_1)
	v_cmpx_lt_i32_e64 v10, v9
	s_cbranch_execz .LBB42_17
; %bb.19:                               ;   in Loop: Header=BB42_18 Depth=1
	v_ashrrev_i32_e32 v3, 31, v2
	s_mov_b32 s34, 0
	s_delay_alu instid0(VALU_DEP_1) | instskip(SKIP_3) | instid1(VALU_DEP_1)
	v_lshl_add_u64 v[4:5], v[2:3], 3, s[16:17]
	global_load_b64 v[4:5], v[4:5], off
	s_wait_loadcnt 0x0
	v_mul_f32_e64 v3, v5, -s29
	v_dual_mul_f32 v11, s39, v5 :: v_dual_fmac_f32 v3, s39, v4
	s_delay_alu instid0(VALU_DEP_1)
	v_fmac_f32_e32 v11, s29, v4
	s_branch .LBB42_22
.LBB42_20:                              ;   in Loop: Header=BB42_22 Depth=2
	s_or_b32 exec_lo, exec_lo, s36
.LBB42_21:                              ;   in Loop: Header=BB42_22 Depth=2
	s_delay_alu instid0(SALU_CYCLE_1) | instskip(SKIP_3) | instid1(VALU_DEP_2)
	s_or_b32 exec_lo, exec_lo, s35
	s_wait_loadcnt 0x0
	v_dual_mul_f32 v13, v5, -v11 :: v_dual_mul_f32 v5, v3, v5
	v_lshl_add_u32 v12, v12, 3, 0
	v_dual_fmac_f32 v13, v3, v4 :: v_dual_add_nc_u32 v10, 16, v10
	s_delay_alu instid0(VALU_DEP_3) | instskip(SKIP_4) | instid1(SALU_CYCLE_1)
	v_fmac_f32_e32 v5, v11, v4
	ds_add_f32 v12, v13 offset:1024
	ds_add_f32 v12, v5 offset:1028
	v_cmp_ge_i32_e32 vcc_lo, v10, v9
	s_or_b32 s34, vcc_lo, s34
	s_and_not1_b32 exec_lo, exec_lo, s34
	s_cbranch_execz .LBB42_17
.LBB42_22:                              ;   Parent Loop BB42_18 Depth=1
                                        ; =>  This Loop Header: Depth=2
                                        ;       Child Loop BB42_25 Depth 3
	s_clause 0x1
	global_load_b32 v12, v10, s[12:13] scale_offset
	global_load_b64 v[4:5], v10, s[14:15] scale_offset
	s_mov_b32 s35, exec_lo
	s_wait_loadcnt 0x1
	v_subrev_nc_u32_e32 v13, s5, v12
	s_delay_alu instid0(VALU_DEP_1) | instskip(NEXT) | instid1(VALU_DEP_1)
	v_mul_lo_u32 v12, 0x89, v13
	v_and_b32_e32 v12, 0xff, v12
	s_delay_alu instid0(VALU_DEP_1)
	v_lshl_add_u32 v14, v12, 2, 0
	ds_load_b32 v15, v14
	s_wait_dscnt 0x0
	s_wait_xcnt 0x0
	v_cmpx_ne_u32_e64 v15, v13
	s_cbranch_execz .LBB42_21
; %bb.23:                               ;   in Loop: Header=BB42_22 Depth=2
	s_mov_b32 s36, 0
	s_branch .LBB42_25
.LBB42_24:                              ;   in Loop: Header=BB42_25 Depth=3
	s_or_b32 exec_lo, exec_lo, s42
	s_delay_alu instid0(SALU_CYCLE_1) | instskip(NEXT) | instid1(SALU_CYCLE_1)
	s_and_b32 s37, exec_lo, s41
	s_or_b32 s36, s37, s36
	s_delay_alu instid0(SALU_CYCLE_1)
	s_and_not1_b32 exec_lo, exec_lo, s36
	s_cbranch_execz .LBB42_20
.LBB42_25:                              ;   Parent Loop BB42_18 Depth=1
                                        ;     Parent Loop BB42_22 Depth=2
                                        ; =>    This Inner Loop Header: Depth=3
	s_mov_b32 s37, 0
	s_mov_b32 s41, exec_lo
	v_cmpx_ne_u32_e64 s28, v15
	s_xor_b32 s41, exec_lo, s41
	s_cbranch_execz .LBB42_27
; %bb.26:                               ;   in Loop: Header=BB42_25 Depth=3
	v_add_nc_u32_e32 v12, 1, v12
	s_mov_b32 s37, exec_lo
                                        ; implicit-def: $vgpr14
	s_delay_alu instid0(VALU_DEP_1)
	v_and_b32_e32 v12, 0xff, v12
	s_and_not1_saveexec_b32 s41, s41
	s_cbranch_execz .LBB42_29
	s_branch .LBB42_28
.LBB42_27:                              ;   in Loop: Header=BB42_25 Depth=3
	s_and_not1_saveexec_b32 s41, s41
	s_cbranch_execz .LBB42_29
.LBB42_28:                              ;   in Loop: Header=BB42_25 Depth=3
	v_mov_b32_e32 v15, s28
	s_and_not1_b32 s37, s37, exec_lo
	ds_cmpstore_rtn_b32 v14, v14, v13, v15
	s_wait_dscnt 0x0
	v_cmp_ne_u32_e32 vcc_lo, s28, v14
	s_and_b32 s42, vcc_lo, exec_lo
	s_delay_alu instid0(SALU_CYCLE_1)
	s_or_b32 s37, s37, s42
.LBB42_29:                              ;   in Loop: Header=BB42_25 Depth=3
	s_or_b32 exec_lo, exec_lo, s41
	s_mov_b32 s41, -1
                                        ; implicit-def: $vgpr14
                                        ; implicit-def: $vgpr15
	s_and_saveexec_b32 s42, s37
	s_cbranch_execz .LBB42_24
; %bb.30:                               ;   in Loop: Header=BB42_25 Depth=3
	v_lshl_add_u32 v14, v12, 2, 0
	ds_load_b32 v15, v14
	s_wait_dscnt 0x0
	v_cmp_eq_u32_e32 vcc_lo, v15, v13
	s_or_not1_b32 s41, vcc_lo, exec_lo
	s_branch .LBB42_24
.LBB42_31:
	s_or_b32 exec_lo, exec_lo, s21
.LBB42_32:
	s_delay_alu instid0(SALU_CYCLE_1)
	s_and_not1_b32 vcc_lo, exec_lo, s40
	s_cbranch_vccnz .LBB42_47
; %bb.33:
	s_wait_kmcnt 0x0
	s_ashr_i32 s21, s20, 31
	v_subrev_nc_u32_e32 v2, s7, v0
	s_lshl_b64 s[2:3], s[20:21], 2
	s_delay_alu instid0(SALU_CYCLE_1)
	s_add_nc_u64 s[2:3], s[30:31], s[2:3]
	s_load_b64 s[4:5], s[2:3], 0x0
	s_wait_xcnt 0x0
	s_mov_b32 s2, exec_lo
	s_wait_kmcnt 0x0
	v_add_nc_u32_e32 v4, s4, v2
	s_sub_co_i32 s1, s5, s7
	s_delay_alu instid0(VALU_DEP_1) | instid1(SALU_CYCLE_1)
	v_cmpx_gt_i32_e64 s1, v4
	s_cbranch_execz .LBB42_46
; %bb.34:
	s_mov_b32 s3, 0
	s_branch .LBB42_37
.LBB42_35:                              ;   in Loop: Header=BB42_37 Depth=1
	s_or_b32 exec_lo, exec_lo, s5
.LBB42_36:                              ;   in Loop: Header=BB42_37 Depth=1
	s_delay_alu instid0(SALU_CYCLE_1)
	s_or_b32 exec_lo, exec_lo, s4
	s_wait_loadcnt 0x0
	v_mul_f32_e64 v8, v3, -s38
	v_mul_f32_e32 v3, s33, v3
	v_lshl_add_u32 v5, v5, 3, 0
	v_add_nc_u32_e32 v4, 0x80, v4
	s_delay_alu instid0(VALU_DEP_3) | instskip(SKIP_4) | instid1(SALU_CYCLE_1)
	v_dual_fmac_f32 v8, s33, v2 :: v_dual_fmac_f32 v3, s38, v2
	ds_add_f32 v5, v8 offset:1024
	ds_add_f32 v5, v3 offset:1028
	v_cmp_le_i32_e32 vcc_lo, s1, v4
	s_or_b32 s3, vcc_lo, s3
	s_and_not1_b32 exec_lo, exec_lo, s3
	s_cbranch_execz .LBB42_46
.LBB42_37:                              ; =>This Loop Header: Depth=1
                                        ;     Child Loop BB42_40 Depth 2
	s_clause 0x1
	global_load_b32 v5, v4, s[8:9] scale_offset
	global_load_b64 v[2:3], v4, s[10:11] scale_offset
	s_mov_b32 s4, exec_lo
	s_wait_loadcnt 0x1
	v_subrev_nc_u32_e32 v8, s7, v5
	s_delay_alu instid0(VALU_DEP_1) | instskip(NEXT) | instid1(VALU_DEP_1)
	v_mul_lo_u32 v5, 0x89, v8
	v_and_b32_e32 v5, 0xff, v5
	s_delay_alu instid0(VALU_DEP_1)
	v_lshl_add_u32 v9, v5, 2, 0
	ds_load_b32 v10, v9
	s_wait_dscnt 0x0
	s_wait_xcnt 0x0
	v_cmpx_ne_u32_e64 v10, v8
	s_cbranch_execz .LBB42_36
; %bb.38:                               ;   in Loop: Header=BB42_37 Depth=1
	s_mov_b32 s5, 0
	s_branch .LBB42_40
.LBB42_39:                              ;   in Loop: Header=BB42_40 Depth=2
	s_or_b32 exec_lo, exec_lo, s14
	s_delay_alu instid0(SALU_CYCLE_1) | instskip(NEXT) | instid1(SALU_CYCLE_1)
	s_and_b32 s12, exec_lo, s13
	s_or_b32 s5, s12, s5
	s_delay_alu instid0(SALU_CYCLE_1)
	s_and_not1_b32 exec_lo, exec_lo, s5
	s_cbranch_execz .LBB42_35
.LBB42_40:                              ;   Parent Loop BB42_37 Depth=1
                                        ; =>  This Inner Loop Header: Depth=2
	s_mov_b32 s12, 0
	s_mov_b32 s13, exec_lo
	v_cmpx_ne_u32_e64 s28, v10
	s_xor_b32 s13, exec_lo, s13
	s_cbranch_execz .LBB42_42
; %bb.41:                               ;   in Loop: Header=BB42_40 Depth=2
	v_add_nc_u32_e32 v5, 1, v5
	s_mov_b32 s12, exec_lo
                                        ; implicit-def: $vgpr9
	s_delay_alu instid0(VALU_DEP_1)
	v_and_b32_e32 v5, 0xff, v5
	s_and_not1_saveexec_b32 s13, s13
	s_cbranch_execz .LBB42_44
	s_branch .LBB42_43
.LBB42_42:                              ;   in Loop: Header=BB42_40 Depth=2
	s_and_not1_saveexec_b32 s13, s13
	s_cbranch_execz .LBB42_44
.LBB42_43:                              ;   in Loop: Header=BB42_40 Depth=2
	v_mov_b32_e32 v10, s28
	s_and_not1_b32 s12, s12, exec_lo
	ds_cmpstore_rtn_b32 v9, v9, v8, v10
	s_wait_dscnt 0x0
	v_cmp_ne_u32_e32 vcc_lo, s28, v9
	s_and_b32 s14, vcc_lo, exec_lo
	s_delay_alu instid0(SALU_CYCLE_1)
	s_or_b32 s12, s12, s14
.LBB42_44:                              ;   in Loop: Header=BB42_40 Depth=2
	s_or_b32 exec_lo, exec_lo, s13
	s_mov_b32 s13, -1
                                        ; implicit-def: $vgpr9
                                        ; implicit-def: $vgpr10
	s_and_saveexec_b32 s14, s12
	s_cbranch_execz .LBB42_39
; %bb.45:                               ;   in Loop: Header=BB42_40 Depth=2
	v_lshl_add_u32 v9, v5, 2, 0
	ds_load_b32 v10, v9
	s_wait_dscnt 0x0
	v_cmp_eq_u32_e32 vcc_lo, v10, v8
	s_or_not1_b32 s13, vcc_lo, exec_lo
	s_branch .LBB42_39
.LBB42_46:
	s_or_b32 exec_lo, exec_lo, s2
.LBB42_47:
	s_wait_dscnt 0x0
	s_barrier_signal -1
	s_barrier_wait -1
	s_and_saveexec_b32 s4, s0
	s_cbranch_execz .LBB42_60
; %bb.48:
	v_mbcnt_lo_u32_b32 v2, -1, 0
	v_dual_mov_b32 v3, 0 :: v_dual_lshrrev_b32 v4, 3, v0
	v_cmp_lt_u32_e64 s0, 31, v0
	s_wait_xcnt 0x0
	v_cmp_lt_u32_e64 s1, 63, v0
	s_delay_alu instid0(VALU_DEP_3)
	v_dual_mov_b32 v9, 0 :: v_dual_bitop2_b32 v4, 12, v4 bitop3:0x40
	v_xor_b32_e32 v2, 31, v2
	v_cmp_lt_u32_e64 s2, 0x5f, v0
	v_add3_u32 v7, v7, 0, 0x400
	s_mov_b32 s5, 0
	v_add_nc_u32_e32 v8, 0, v4
	v_lshrrev_b32_e64 v2, v2, -1
	v_cmp_eq_u32_e32 vcc_lo, 0x7f, v0
	s_branch .LBB42_50
.LBB42_49:                              ;   in Loop: Header=BB42_50 Depth=1
	s_or_b32 exec_lo, exec_lo, s3
	s_wait_dscnt 0x0
	s_barrier_signal -1
	s_barrier_wait -1
	ds_load_b32 v4, v3 offset:3084
	v_add_co_u32 v1, s3, 0x80, v1
	s_xor_b32 s3, s3, -1
	v_add_nc_u32_e32 v7, 0x400, v7
	v_add_nc_u32_e32 v6, 0x200, v6
	s_and_b32 s3, exec_lo, s3
	s_delay_alu instid0(SALU_CYCLE_1)
	s_or_b32 s5, s3, s5
	s_wait_dscnt 0x0
	v_add_nc_u32_e32 v9, v4, v9
	s_and_not1_b32 exec_lo, exec_lo, s5
	s_cbranch_execz .LBB42_60
.LBB42_50:                              ; =>This Inner Loop Header: Depth=1
	ds_load_b32 v10, v6
	ds_load_2addr_b32 v[4:5], v7 offset1:1
	s_wait_dscnt 0x0
	s_barrier_signal -1
	s_barrier_wait -1
	v_cmp_gt_i32_e64 s3, s28, v10
	s_bcnt1_i32_b32 s7, s3
	s_delay_alu instid0(SALU_CYCLE_1) | instskip(NEXT) | instid1(VALU_DEP_1)
	v_dual_mov_b32 v12, s7 :: v_dual_bitop2_b32 v11, s3, v2 bitop3:0x40
	v_bcnt_u32_b32 v11, v11, 0
	ds_store_b32 v8, v12 offset:3072
	s_wait_dscnt 0x0
	s_barrier_signal -1
	s_barrier_wait -1
	s_and_saveexec_b32 s7, s0
	s_cbranch_execz .LBB42_55
; %bb.51:                               ;   in Loop: Header=BB42_50 Depth=1
	ds_load_b32 v12, v3 offset:3072
	s_wait_dscnt 0x0
	v_add_nc_u32_e32 v11, v12, v11
	s_or_b32 exec_lo, exec_lo, s7
	s_and_saveexec_b32 s7, s1
	s_cbranch_execnz .LBB42_56
.LBB42_52:                              ;   in Loop: Header=BB42_50 Depth=1
	s_or_b32 exec_lo, exec_lo, s7
	s_and_saveexec_b32 s7, s2
	s_cbranch_execz .LBB42_57
.LBB42_53:                              ;   in Loop: Header=BB42_50 Depth=1
	ds_load_b32 v12, v3 offset:3080
	s_wait_dscnt 0x0
	v_add_nc_u32_e32 v11, v12, v11
	s_or_b32 exec_lo, exec_lo, s7
	s_and_saveexec_b32 s7, s3
	s_cbranch_execnz .LBB42_58
.LBB42_54:                              ;   in Loop: Header=BB42_50 Depth=1
	s_or_b32 exec_lo, exec_lo, s7
	s_and_saveexec_b32 s3, vcc_lo
	s_cbranch_execz .LBB42_49
	s_branch .LBB42_59
.LBB42_55:                              ;   in Loop: Header=BB42_50 Depth=1
	s_or_b32 exec_lo, exec_lo, s7
	s_and_saveexec_b32 s7, s1
	s_cbranch_execz .LBB42_52
.LBB42_56:                              ;   in Loop: Header=BB42_50 Depth=1
	ds_load_b32 v12, v3 offset:3076
	s_wait_dscnt 0x0
	v_add_nc_u32_e32 v11, v12, v11
	s_or_b32 exec_lo, exec_lo, s7
	s_and_saveexec_b32 s7, s2
	s_cbranch_execnz .LBB42_53
.LBB42_57:                              ;   in Loop: Header=BB42_50 Depth=1
	s_or_b32 exec_lo, exec_lo, s7
	s_and_saveexec_b32 s7, s3
	s_cbranch_execz .LBB42_54
.LBB42_58:                              ;   in Loop: Header=BB42_50 Depth=1
	s_delay_alu instid0(VALU_DEP_1) | instskip(SKIP_1) | instid1(VALU_DEP_2)
	v_add3_u32 v12, v9, -1, v11
	v_add_nc_u32_e32 v13, v9, v11
	v_lshl_add_u32 v12, v12, 2, 0
	s_delay_alu instid0(VALU_DEP_2)
	v_lshl_add_u32 v13, v13, 3, 0
	ds_store_b32 v12, v10
	ds_store_2addr_b32 v13, v4, v5 offset0:254 offset1:255
	s_or_b32 exec_lo, exec_lo, s7
	s_and_saveexec_b32 s3, vcc_lo
	s_cbranch_execz .LBB42_49
.LBB42_59:                              ;   in Loop: Header=BB42_50 Depth=1
	ds_store_b32 v3, v11 offset:3084
	s_branch .LBB42_49
.LBB42_60:
	s_or_b32 exec_lo, exec_lo, s4
	s_wait_kmcnt 0x0
	s_ashr_i32 s21, s20, 31
	s_delay_alu instid0(SALU_CYCLE_1) | instskip(NEXT) | instid1(SALU_CYCLE_1)
	s_lshl_b64 s[0:1], s[20:21], 2
	s_add_nc_u64 s[2:3], s[26:27], s[0:1]
	s_load_b64 s[0:1], s[2:3], 0x0
	s_wait_kmcnt 0x0
	s_sub_co_i32 s4, s1, s0
	s_mov_b32 s1, exec_lo
	v_cmpx_gt_i32_e64 s4, v0
	s_cbranch_execz .LBB42_74
; %bb.61:
	v_sub_co_u32 v1, s1, s4, 2
	s_sub_co_i32 s2, s0, s6
	s_xor_b32 s6, s1, -1
	s_and_b32 s5, s4, -2
	v_readfirstlane_b32 s3, v1
	s_lshr_b32 s0, s3, 1
	s_mov_b32 s3, 0
	s_add_co_i32 s0, s0, 1
	s_mov_b32 s11, s3
	s_and_b32 s1, s0, 7
	s_and_b32 s7, s0, -8
	s_cmp_lg_u32 s1, 0
	v_cmp_lt_u32_e64 s0, 13, v1
	s_cselect_b32 s8, -1, 0
	s_cmp_lg_u32 s4, s5
	s_cselect_b32 s9, -1, 0
	s_lshl_b32 s10, s1, 3
	s_branch .LBB42_63
.LBB42_62:                              ;   in Loop: Header=BB42_63 Depth=1
	v_add_nc_u32_e32 v0, 0x80, v0
	s_wait_dscnt 0x0
	global_store_b64 v4, v[2:3], s[24:25] scale_offset
	v_cmp_le_i32_e32 vcc_lo, s4, v0
	s_or_b32 s11, vcc_lo, s11
	s_wait_xcnt 0x0
	s_and_not1_b32 exec_lo, exec_lo, s11
	s_cbranch_execz .LBB42_74
.LBB42_63:                              ; =>This Loop Header: Depth=1
                                        ;     Child Loop BB42_66 Depth 2
                                        ;     Child Loop BB42_69 Depth 2
	;; [unrolled: 1-line block ×3, first 2 shown]
	v_dual_mov_b32 v4, s2 :: v_dual_lshlrev_b32 v1, 2, v0
	s_and_not1_b32 vcc_lo, exec_lo, s6
	s_mov_b32 s1, 0
	s_mov_b32 s12, -1
	s_delay_alu instid0(VALU_DEP_1) | instskip(NEXT) | instid1(VALU_DEP_1)
	v_add_nc_u32_e32 v2, 0, v1
	v_add3_u32 v3, v2, v1, 0x400
	ds_load_b32 v1, v2
	ds_load_2addr_b32 v[2:3], v3 offset1:1
	s_cbranch_vccnz .LBB42_71
; %bb.64:                               ;   in Loop: Header=BB42_63 Depth=1
	v_mov_b64_e32 v[4:5], s[2:3]
	s_and_not1_b32 vcc_lo, exec_lo, s0
	s_mov_b32 s12, 0
	s_cbranch_vccnz .LBB42_67
; %bb.65:                               ;   in Loop: Header=BB42_63 Depth=1
	v_dual_mov_b32 v4, s2 :: v_dual_mov_b32 v5, 0
	s_mov_b32 s13, 0
	s_mov_b32 s14, s7
.LBB42_66:                              ;   Parent Loop BB42_63 Depth=1
                                        ; =>  This Inner Loop Header: Depth=2
	v_mov_b32_e32 v20, s13
	s_add_co_i32 s14, s14, -8
	s_add_co_i32 s12, s12, 16
	s_add_co_i32 s13, s13, 64
	s_cmp_lg_u32 s14, 0
	ds_load_2addr_b32 v[6:7], v20 offset1:1
	ds_load_2addr_b32 v[8:9], v20 offset0:2 offset1:3
	ds_load_2addr_b32 v[10:11], v20 offset0:4 offset1:5
	;; [unrolled: 1-line block ×7, first 2 shown]
	s_wait_dscnt 0x7
	v_cmp_gt_i32_e32 vcc_lo, v1, v7
	s_wait_dscnt 0x5
	v_cmp_gt_i32_e64 s1, v1, v10
	v_cndmask_b32_e64 v7, 0, 1, vcc_lo
	v_cmp_gt_i32_e32 vcc_lo, v1, v6
	v_cndmask_b32_e64 v6, 0, 1, vcc_lo
	v_cmp_gt_i32_e32 vcc_lo, v1, v8
	v_cndmask_b32_e64 v8, 0, 1, s1
	v_cmp_gt_i32_e64 s1, v1, v11
	s_delay_alu instid0(VALU_DEP_4) | instskip(NEXT) | instid1(VALU_DEP_2)
	v_add_co_ci_u32_e64 v4, null, v4, v6, vcc_lo
	v_cndmask_b32_e64 v10, 0, 1, s1
	s_wait_dscnt 0x4
	v_cmp_gt_i32_e64 s1, v1, v13
	s_wait_dscnt 0x2
	v_cmp_gt_i32_e32 vcc_lo, v1, v16
	s_delay_alu instid0(VALU_DEP_2) | instskip(SKIP_4) | instid1(VALU_DEP_3)
	v_cndmask_b32_e64 v11, 0, 1, s1
	v_cmp_gt_i32_e64 s1, v1, v12
	v_add_co_ci_u32_e64 v4, null, v4, v8, vcc_lo
	s_wait_dscnt 0x1
	v_cmp_gt_i32_e32 vcc_lo, v1, v18
	v_cndmask_b32_e64 v12, 0, 1, s1
	v_cmp_gt_i32_e64 s1, v1, v14
	s_delay_alu instid0(VALU_DEP_2) | instskip(NEXT) | instid1(VALU_DEP_2)
	v_add_co_ci_u32_e64 v4, null, v4, v12, vcc_lo
	v_cndmask_b32_e64 v13, 0, 1, s1
	v_cmp_gt_i32_e64 s1, v1, v15
	s_wait_dscnt 0x0
	v_cmp_gt_i32_e32 vcc_lo, v1, v20
	s_delay_alu instid0(VALU_DEP_2) | instskip(SKIP_2) | instid1(VALU_DEP_2)
	v_cndmask_b32_e64 v14, 0, 1, s1
	v_cmp_gt_i32_e64 s1, v1, v9
	v_add_co_ci_u32_e64 v4, null, v4, v13, vcc_lo
	v_add_co_ci_u32_e64 v5, null, v5, v7, s1
	v_cmp_gt_i32_e64 s1, v1, v17
	s_delay_alu instid0(VALU_DEP_1) | instskip(SKIP_1) | instid1(VALU_DEP_1)
	v_add_co_ci_u32_e64 v5, null, v5, v10, s1
	v_cmp_gt_i32_e64 s1, v1, v19
	v_add_co_ci_u32_e64 v5, null, v5, v11, s1
	v_cmp_gt_i32_e64 s1, v1, v21
	s_delay_alu instid0(VALU_DEP_1)
	v_add_co_ci_u32_e64 v5, null, v5, v14, s1
	s_cbranch_scc1 .LBB42_66
.LBB42_67:                              ;   in Loop: Header=BB42_63 Depth=1
	s_and_not1_b32 vcc_lo, exec_lo, s8
	s_cbranch_vccnz .LBB42_70
; %bb.68:                               ;   in Loop: Header=BB42_63 Depth=1
	s_lshl_b32 s1, s12, 2
	s_mov_b32 s12, s10
	s_add_co_i32 s1, s1, 0
.LBB42_69:                              ;   Parent Loop BB42_63 Depth=1
                                        ; =>  This Inner Loop Header: Depth=2
	s_delay_alu instid0(SALU_CYCLE_1)
	v_mov_b32_e32 v6, s1
	s_add_co_i32 s12, s12, -8
	s_add_co_i32 s1, s1, 8
	s_cmp_lg_u32 s12, 0
	ds_load_2addr_b32 v[6:7], v6 offset1:1
	s_wait_dscnt 0x0
	v_cmp_gt_i32_e32 vcc_lo, v1, v7
	v_add_co_ci_u32_e64 v5, null, 0, v5, vcc_lo
	v_cmp_gt_i32_e32 vcc_lo, v1, v6
	v_add_co_ci_u32_e64 v4, null, 0, v4, vcc_lo
	s_cbranch_scc1 .LBB42_69
.LBB42_70:                              ;   in Loop: Header=BB42_63 Depth=1
	s_delay_alu instid0(VALU_DEP_1)
	v_add_nc_u32_e32 v4, v4, v5
	s_mov_b32 s1, s5
	s_mov_b32 s12, s9
.LBB42_71:                              ;   in Loop: Header=BB42_63 Depth=1
	s_delay_alu instid0(SALU_CYCLE_1)
	s_and_b32 vcc_lo, exec_lo, s12
	s_cbranch_vccz .LBB42_62
; %bb.72:                               ;   in Loop: Header=BB42_63 Depth=1
	s_lshl_b32 s12, s1, 2
	s_delay_alu instid0(SALU_CYCLE_1)
	s_add_co_i32 s12, s12, 0
.LBB42_73:                              ;   Parent Loop BB42_63 Depth=1
                                        ; =>  This Inner Loop Header: Depth=2
	s_delay_alu instid0(SALU_CYCLE_1)
	v_mov_b32_e32 v5, s12
	s_add_co_i32 s1, s1, 1
	s_add_co_i32 s12, s12, 4
	s_cmp_ge_i32 s1, s4
	ds_load_b32 v5, v5
	s_wait_dscnt 0x0
	v_cmp_gt_i32_e32 vcc_lo, v1, v5
	v_add_co_ci_u32_e64 v4, null, 0, v4, vcc_lo
	s_cbranch_scc0 .LBB42_73
	s_branch .LBB42_62
.LBB42_74:
	s_endpgm
	.section	.rodata,"a",@progbits
	.p2align	6, 0x0
	.amdhsa_kernel _ZN9rocsparseL41csrgemm_numeric_fill_block_per_row_kernelILj128ELj16ELj256ELj137ELj32Eii21rocsparse_complex_numIfEEEvT5_PKS3_S5_NS_24const_host_device_scalarIT6_EEPKT4_S5_PKS7_SB_S5_SD_S8_SB_S5_SD_SB_S5_PS7_21rocsparse_index_base_SF_SF_SF_bbb
		.amdhsa_group_segment_fixed_size 0
		.amdhsa_private_segment_fixed_size 0
		.amdhsa_kernarg_size 156
		.amdhsa_user_sgpr_count 2
		.amdhsa_user_sgpr_dispatch_ptr 0
		.amdhsa_user_sgpr_queue_ptr 0
		.amdhsa_user_sgpr_kernarg_segment_ptr 1
		.amdhsa_user_sgpr_dispatch_id 0
		.amdhsa_user_sgpr_kernarg_preload_length 0
		.amdhsa_user_sgpr_kernarg_preload_offset 0
		.amdhsa_user_sgpr_private_segment_size 0
		.amdhsa_wavefront_size32 1
		.amdhsa_uses_dynamic_stack 0
		.amdhsa_enable_private_segment 0
		.amdhsa_system_sgpr_workgroup_id_x 1
		.amdhsa_system_sgpr_workgroup_id_y 0
		.amdhsa_system_sgpr_workgroup_id_z 0
		.amdhsa_system_sgpr_workgroup_info 0
		.amdhsa_system_vgpr_workitem_id 0
		.amdhsa_next_free_vgpr 22
		.amdhsa_next_free_sgpr 43
		.amdhsa_named_barrier_count 0
		.amdhsa_reserve_vcc 1
		.amdhsa_float_round_mode_32 0
		.amdhsa_float_round_mode_16_64 0
		.amdhsa_float_denorm_mode_32 3
		.amdhsa_float_denorm_mode_16_64 3
		.amdhsa_fp16_overflow 0
		.amdhsa_memory_ordered 1
		.amdhsa_forward_progress 1
		.amdhsa_inst_pref_size 24
		.amdhsa_round_robin_scheduling 0
		.amdhsa_exception_fp_ieee_invalid_op 0
		.amdhsa_exception_fp_denorm_src 0
		.amdhsa_exception_fp_ieee_div_zero 0
		.amdhsa_exception_fp_ieee_overflow 0
		.amdhsa_exception_fp_ieee_underflow 0
		.amdhsa_exception_fp_ieee_inexact 0
		.amdhsa_exception_int_div_zero 0
	.end_amdhsa_kernel
	.section	.text._ZN9rocsparseL41csrgemm_numeric_fill_block_per_row_kernelILj128ELj16ELj256ELj137ELj32Eii21rocsparse_complex_numIfEEEvT5_PKS3_S5_NS_24const_host_device_scalarIT6_EEPKT4_S5_PKS7_SB_S5_SD_S8_SB_S5_SD_SB_S5_PS7_21rocsparse_index_base_SF_SF_SF_bbb,"axG",@progbits,_ZN9rocsparseL41csrgemm_numeric_fill_block_per_row_kernelILj128ELj16ELj256ELj137ELj32Eii21rocsparse_complex_numIfEEEvT5_PKS3_S5_NS_24const_host_device_scalarIT6_EEPKT4_S5_PKS7_SB_S5_SD_S8_SB_S5_SD_SB_S5_PS7_21rocsparse_index_base_SF_SF_SF_bbb,comdat
.Lfunc_end42:
	.size	_ZN9rocsparseL41csrgemm_numeric_fill_block_per_row_kernelILj128ELj16ELj256ELj137ELj32Eii21rocsparse_complex_numIfEEEvT5_PKS3_S5_NS_24const_host_device_scalarIT6_EEPKT4_S5_PKS7_SB_S5_SD_S8_SB_S5_SD_SB_S5_PS7_21rocsparse_index_base_SF_SF_SF_bbb, .Lfunc_end42-_ZN9rocsparseL41csrgemm_numeric_fill_block_per_row_kernelILj128ELj16ELj256ELj137ELj32Eii21rocsparse_complex_numIfEEEvT5_PKS3_S5_NS_24const_host_device_scalarIT6_EEPKT4_S5_PKS7_SB_S5_SD_S8_SB_S5_SD_SB_S5_PS7_21rocsparse_index_base_SF_SF_SF_bbb
                                        ; -- End function
	.set _ZN9rocsparseL41csrgemm_numeric_fill_block_per_row_kernelILj128ELj16ELj256ELj137ELj32Eii21rocsparse_complex_numIfEEEvT5_PKS3_S5_NS_24const_host_device_scalarIT6_EEPKT4_S5_PKS7_SB_S5_SD_S8_SB_S5_SD_SB_S5_PS7_21rocsparse_index_base_SF_SF_SF_bbb.num_vgpr, 22
	.set _ZN9rocsparseL41csrgemm_numeric_fill_block_per_row_kernelILj128ELj16ELj256ELj137ELj32Eii21rocsparse_complex_numIfEEEvT5_PKS3_S5_NS_24const_host_device_scalarIT6_EEPKT4_S5_PKS7_SB_S5_SD_S8_SB_S5_SD_SB_S5_PS7_21rocsparse_index_base_SF_SF_SF_bbb.num_agpr, 0
	.set _ZN9rocsparseL41csrgemm_numeric_fill_block_per_row_kernelILj128ELj16ELj256ELj137ELj32Eii21rocsparse_complex_numIfEEEvT5_PKS3_S5_NS_24const_host_device_scalarIT6_EEPKT4_S5_PKS7_SB_S5_SD_S8_SB_S5_SD_SB_S5_PS7_21rocsparse_index_base_SF_SF_SF_bbb.numbered_sgpr, 43
	.set _ZN9rocsparseL41csrgemm_numeric_fill_block_per_row_kernelILj128ELj16ELj256ELj137ELj32Eii21rocsparse_complex_numIfEEEvT5_PKS3_S5_NS_24const_host_device_scalarIT6_EEPKT4_S5_PKS7_SB_S5_SD_S8_SB_S5_SD_SB_S5_PS7_21rocsparse_index_base_SF_SF_SF_bbb.num_named_barrier, 0
	.set _ZN9rocsparseL41csrgemm_numeric_fill_block_per_row_kernelILj128ELj16ELj256ELj137ELj32Eii21rocsparse_complex_numIfEEEvT5_PKS3_S5_NS_24const_host_device_scalarIT6_EEPKT4_S5_PKS7_SB_S5_SD_S8_SB_S5_SD_SB_S5_PS7_21rocsparse_index_base_SF_SF_SF_bbb.private_seg_size, 0
	.set _ZN9rocsparseL41csrgemm_numeric_fill_block_per_row_kernelILj128ELj16ELj256ELj137ELj32Eii21rocsparse_complex_numIfEEEvT5_PKS3_S5_NS_24const_host_device_scalarIT6_EEPKT4_S5_PKS7_SB_S5_SD_S8_SB_S5_SD_SB_S5_PS7_21rocsparse_index_base_SF_SF_SF_bbb.uses_vcc, 1
	.set _ZN9rocsparseL41csrgemm_numeric_fill_block_per_row_kernelILj128ELj16ELj256ELj137ELj32Eii21rocsparse_complex_numIfEEEvT5_PKS3_S5_NS_24const_host_device_scalarIT6_EEPKT4_S5_PKS7_SB_S5_SD_S8_SB_S5_SD_SB_S5_PS7_21rocsparse_index_base_SF_SF_SF_bbb.uses_flat_scratch, 0
	.set _ZN9rocsparseL41csrgemm_numeric_fill_block_per_row_kernelILj128ELj16ELj256ELj137ELj32Eii21rocsparse_complex_numIfEEEvT5_PKS3_S5_NS_24const_host_device_scalarIT6_EEPKT4_S5_PKS7_SB_S5_SD_S8_SB_S5_SD_SB_S5_PS7_21rocsparse_index_base_SF_SF_SF_bbb.has_dyn_sized_stack, 0
	.set _ZN9rocsparseL41csrgemm_numeric_fill_block_per_row_kernelILj128ELj16ELj256ELj137ELj32Eii21rocsparse_complex_numIfEEEvT5_PKS3_S5_NS_24const_host_device_scalarIT6_EEPKT4_S5_PKS7_SB_S5_SD_S8_SB_S5_SD_SB_S5_PS7_21rocsparse_index_base_SF_SF_SF_bbb.has_recursion, 0
	.set _ZN9rocsparseL41csrgemm_numeric_fill_block_per_row_kernelILj128ELj16ELj256ELj137ELj32Eii21rocsparse_complex_numIfEEEvT5_PKS3_S5_NS_24const_host_device_scalarIT6_EEPKT4_S5_PKS7_SB_S5_SD_S8_SB_S5_SD_SB_S5_PS7_21rocsparse_index_base_SF_SF_SF_bbb.has_indirect_call, 0
	.section	.AMDGPU.csdata,"",@progbits
; Kernel info:
; codeLenInByte = 2996
; TotalNumSgprs: 45
; NumVgprs: 22
; ScratchSize: 0
; MemoryBound: 0
; FloatMode: 240
; IeeeMode: 1
; LDSByteSize: 0 bytes/workgroup (compile time only)
; SGPRBlocks: 0
; VGPRBlocks: 1
; NumSGPRsForWavesPerEU: 45
; NumVGPRsForWavesPerEU: 22
; NamedBarCnt: 0
; Occupancy: 16
; WaveLimiterHint : 1
; COMPUTE_PGM_RSRC2:SCRATCH_EN: 0
; COMPUTE_PGM_RSRC2:USER_SGPR: 2
; COMPUTE_PGM_RSRC2:TRAP_HANDLER: 0
; COMPUTE_PGM_RSRC2:TGID_X_EN: 1
; COMPUTE_PGM_RSRC2:TGID_Y_EN: 0
; COMPUTE_PGM_RSRC2:TGID_Z_EN: 0
; COMPUTE_PGM_RSRC2:TIDIG_COMP_CNT: 0
	.section	.text._ZN9rocsparseL41csrgemm_numeric_fill_block_per_row_kernelILj128ELj16ELj256ELj137ELj64Eii21rocsparse_complex_numIfEEEvT5_PKS3_S5_NS_24const_host_device_scalarIT6_EEPKT4_S5_PKS7_SB_S5_SD_S8_SB_S5_SD_SB_S5_PS7_21rocsparse_index_base_SF_SF_SF_bbb,"axG",@progbits,_ZN9rocsparseL41csrgemm_numeric_fill_block_per_row_kernelILj128ELj16ELj256ELj137ELj64Eii21rocsparse_complex_numIfEEEvT5_PKS3_S5_NS_24const_host_device_scalarIT6_EEPKT4_S5_PKS7_SB_S5_SD_S8_SB_S5_SD_SB_S5_PS7_21rocsparse_index_base_SF_SF_SF_bbb,comdat
	.globl	_ZN9rocsparseL41csrgemm_numeric_fill_block_per_row_kernelILj128ELj16ELj256ELj137ELj64Eii21rocsparse_complex_numIfEEEvT5_PKS3_S5_NS_24const_host_device_scalarIT6_EEPKT4_S5_PKS7_SB_S5_SD_S8_SB_S5_SD_SB_S5_PS7_21rocsparse_index_base_SF_SF_SF_bbb ; -- Begin function _ZN9rocsparseL41csrgemm_numeric_fill_block_per_row_kernelILj128ELj16ELj256ELj137ELj64Eii21rocsparse_complex_numIfEEEvT5_PKS3_S5_NS_24const_host_device_scalarIT6_EEPKT4_S5_PKS7_SB_S5_SD_S8_SB_S5_SD_SB_S5_PS7_21rocsparse_index_base_SF_SF_SF_bbb
	.p2align	8
	.type	_ZN9rocsparseL41csrgemm_numeric_fill_block_per_row_kernelILj128ELj16ELj256ELj137ELj64Eii21rocsparse_complex_numIfEEEvT5_PKS3_S5_NS_24const_host_device_scalarIT6_EEPKT4_S5_PKS7_SB_S5_SD_S8_SB_S5_SD_SB_S5_PS7_21rocsparse_index_base_SF_SF_SF_bbb,@function
_ZN9rocsparseL41csrgemm_numeric_fill_block_per_row_kernelILj128ELj16ELj256ELj137ELj64Eii21rocsparse_complex_numIfEEEvT5_PKS3_S5_NS_24const_host_device_scalarIT6_EEPKT4_S5_PKS7_SB_S5_SD_S8_SB_S5_SD_SB_S5_PS7_21rocsparse_index_base_SF_SF_SF_bbb: ; @_ZN9rocsparseL41csrgemm_numeric_fill_block_per_row_kernelILj128ELj16ELj256ELj137ELj64Eii21rocsparse_complex_numIfEEEvT5_PKS3_S5_NS_24const_host_device_scalarIT6_EEPKT4_S5_PKS7_SB_S5_SD_S8_SB_S5_SD_SB_S5_PS7_21rocsparse_index_base_SF_SF_SF_bbb
; %bb.0:
	s_clause 0x7
	s_load_b32 s33, s[0:1], 0x98
	s_load_b128 s[4:7], s[0:1], 0x88
	s_load_b64 s[2:3], s[0:1], 0x80
	s_load_b128 s[8:11], s[0:1], 0x60
	s_load_b128 s[20:23], s[0:1], 0x8
	s_load_b64 s[26:27], s[0:1], 0x28
	s_load_b128 s[12:15], s[0:1], 0x40
	s_load_b64 s[36:37], s[0:1], 0x50
	s_mov_b32 s29, 0
	s_mov_b32 s39, 0
	s_wait_kmcnt 0x0
	s_bitcmp1_b32 s33, 0
	s_cselect_b32 s41, -1, 0
	s_bitcmp1_b32 s33, 16
	s_cselect_b32 s16, -1, 0
	s_delay_alu instid0(SALU_CYCLE_1) | instskip(SKIP_2) | instid1(VALU_DEP_1)
	s_xor_b32 s16, s16, -1
	s_bitcmp0_b32 s33, 0
	v_cndmask_b32_e64 v1, 0, 1, s16
	v_cmp_ne_u32_e32 vcc_lo, 1, v1
	s_cbranch_scc1 .LBB43_5
; %bb.1:
	s_load_b64 s[28:29], s[0:1], 0x18
	s_and_b32 vcc_lo, exec_lo, vcc_lo
	s_wait_kmcnt 0x0
	s_mov_b32 s39, s28
	s_cbranch_vccnz .LBB43_3
; %bb.2:
	s_load_b32 s39, s[28:29], 0x0
.LBB43_3:
	s_and_not1_b32 vcc_lo, exec_lo, s16
	s_cbranch_vccnz .LBB43_5
; %bb.4:
	s_wait_xcnt 0x0
	s_load_b32 s29, s[28:29], 0x4
.LBB43_5:
	s_clause 0x3
	s_load_b64 s[24:25], s[0:1], 0x70
	s_load_b64 s[30:31], s[0:1], 0x58
	;; [unrolled: 1-line block ×3, first 2 shown]
	s_load_b128 s[16:19], s[0:1], 0x30
	s_bitcmp1_b32 s33, 8
	s_mov_b32 s38, 0
	s_cselect_b32 s40, -1, 0
	s_wait_xcnt 0x0
	s_bfe_u32 s28, s33, 0x10008
	s_mov_b32 s33, 0
	s_cmp_eq_u32 s28, 0
	s_cbranch_scc1 .LBB43_11
; %bb.6:
	v_cmp_ne_u32_e32 vcc_lo, 1, v1
	s_mov_b32 s33, s36
	s_cbranch_vccnz .LBB43_8
; %bb.7:
	s_load_b32 s33, s[36:37], 0x0
.LBB43_8:
	v_cmp_ne_u32_e32 vcc_lo, 1, v1
	s_cbranch_vccnz .LBB43_10
; %bb.9:
	s_wait_xcnt 0x0
	s_load_b32 s37, s[36:37], 0x4
.LBB43_10:
	s_wait_kmcnt 0x0
	s_mov_b32 s38, s37
.LBB43_11:
	s_load_b32 s28, s[0:1], 0x0
	s_wait_xcnt 0x0
	v_cmp_gt_u32_e64 s0, 0x100, v0
	v_lshlrev_b32_e32 v7, 3, v0
	v_or_b32_e32 v1, 0xffffff80, v0
	v_lshl_add_u32 v6, v0, 2, 0
	s_and_saveexec_b32 s1, s0
	s_cbranch_execz .LBB43_14
; %bb.12:
	v_add3_u32 v2, v7, 0, 0x400
	v_or_b32_e32 v3, 0xffffff80, v0
	v_lshl_add_u32 v4, v0, 2, 0
	s_wait_kmcnt 0x0
	v_dual_mov_b32 v5, s28 :: v_dual_mov_b32 v8, 0
	s_mov_b32 s36, 0
.LBB43_13:                              ; =>This Inner Loop Header: Depth=1
	v_add_co_u32 v3, s37, 0x80, v3
	s_xor_b32 s37, s37, -1
	ds_store_b32 v4, v5
	ds_store_2addr_b32 v2, v8, v8 offset1:1
	v_add_nc_u32_e32 v2, 0x400, v2
	v_add_nc_u32_e32 v4, 0x200, v4
	s_and_b32 s37, exec_lo, s37
	s_delay_alu instid0(SALU_CYCLE_1) | instskip(NEXT) | instid1(SALU_CYCLE_1)
	s_or_b32 s36, s37, s36
	s_and_not1_b32 exec_lo, exec_lo, s36
	s_cbranch_execnz .LBB43_13
.LBB43_14:
	s_or_b32 exec_lo, exec_lo, s1
	s_wait_dscnt 0x0
	s_barrier_signal -1
	s_barrier_wait -1
	s_load_b32 s1, s[20:21], 0x0
	s_wait_xcnt 0x0
	s_bfe_u32 s20, ttmp6, 0x4000c
	s_and_b32 s21, ttmp6, 15
	s_add_co_i32 s20, s20, 1
	s_getreg_b32 s36, hwreg(HW_REG_IB_STS2, 6, 4)
	s_mul_i32 s20, ttmp9, s20
	v_lshrrev_b32_e32 v8, 4, v0
	s_add_co_i32 s21, s21, s20
	s_cmp_eq_u32 s36, 0
	s_cselect_b32 s20, ttmp9, s21
	s_and_b32 vcc_lo, exec_lo, s41
	s_wait_kmcnt 0x0
	s_add_co_i32 s1, s1, s20
	s_load_b32 s20, s[22:23], s1 offset:0x0 scale_offset
	s_cbranch_vccz .LBB43_32
; %bb.15:
	s_wait_kmcnt 0x0
	s_ashr_i32 s21, s20, 31
	v_subrev_nc_u32_e32 v2, s4, v8
	s_lshl_b64 s[22:23], s[20:21], 2
	s_mov_b32 s21, exec_lo
	s_add_nc_u64 s[22:23], s[34:35], s[22:23]
	s_load_b64 s[34:35], s[22:23], 0x0
	s_wait_kmcnt 0x0
	v_add_nc_u32_e32 v2, s34, v2
	s_sub_co_i32 s1, s35, s4
	s_delay_alu instid0(VALU_DEP_1) | instid1(SALU_CYCLE_1)
	v_cmpx_gt_i32_e64 s1, v2
	s_cbranch_execz .LBB43_31
; %bb.16:
	v_and_b32_e32 v3, 15, v0
	s_mov_b32 s22, 0
	s_delay_alu instid0(VALU_DEP_1)
	v_subrev_nc_u32_e32 v9, s5, v3
	s_branch .LBB43_18
.LBB43_17:                              ;   in Loop: Header=BB43_18 Depth=1
	s_or_b32 exec_lo, exec_lo, s23
	v_add_nc_u32_e32 v2, 8, v2
	s_delay_alu instid0(VALU_DEP_1) | instskip(SKIP_1) | instid1(SALU_CYCLE_1)
	v_cmp_le_i32_e32 vcc_lo, s1, v2
	s_or_b32 s22, vcc_lo, s22
	s_and_not1_b32 exec_lo, exec_lo, s22
	s_cbranch_execz .LBB43_31
.LBB43_18:                              ; =>This Loop Header: Depth=1
                                        ;     Child Loop BB43_22 Depth 2
                                        ;       Child Loop BB43_25 Depth 3
	global_load_b32 v3, v2, s[26:27] scale_offset
	s_mov_b32 s23, exec_lo
	s_wait_loadcnt 0x0
	v_subrev_nc_u32_e32 v4, s4, v3
	s_delay_alu instid0(VALU_DEP_1) | instskip(NEXT) | instid1(VALU_DEP_1)
	v_ashrrev_i32_e32 v5, 31, v4
	v_lshl_add_u64 v[4:5], v[4:5], 2, s[18:19]
	global_load_b64 v[4:5], v[4:5], off
	s_wait_loadcnt 0x0
	v_subrev_nc_u32_e32 v10, s5, v5
	v_add_nc_u32_e32 v11, v4, v9
	s_wait_xcnt 0x0
	s_delay_alu instid0(VALU_DEP_1)
	v_cmpx_lt_i32_e64 v11, v10
	s_cbranch_execz .LBB43_17
; %bb.19:                               ;   in Loop: Header=BB43_18 Depth=1
	v_ashrrev_i32_e32 v3, 31, v2
	s_mov_b32 s34, 0
	s_delay_alu instid0(VALU_DEP_1) | instskip(SKIP_3) | instid1(VALU_DEP_1)
	v_lshl_add_u64 v[4:5], v[2:3], 3, s[16:17]
	global_load_b64 v[4:5], v[4:5], off
	s_wait_loadcnt 0x0
	v_mul_f32_e64 v3, v5, -s29
	v_dual_mul_f32 v12, s39, v5 :: v_dual_fmac_f32 v3, s39, v4
	s_delay_alu instid0(VALU_DEP_1)
	v_fmac_f32_e32 v12, s29, v4
	s_branch .LBB43_22
.LBB43_20:                              ;   in Loop: Header=BB43_22 Depth=2
	s_or_b32 exec_lo, exec_lo, s36
.LBB43_21:                              ;   in Loop: Header=BB43_22 Depth=2
	s_delay_alu instid0(SALU_CYCLE_1) | instskip(SKIP_3) | instid1(VALU_DEP_2)
	s_or_b32 exec_lo, exec_lo, s35
	s_wait_loadcnt 0x0
	v_dual_mul_f32 v14, v5, -v12 :: v_dual_mul_f32 v5, v3, v5
	v_lshl_add_u32 v13, v13, 3, 0
	v_dual_fmac_f32 v14, v3, v4 :: v_dual_add_nc_u32 v11, 16, v11
	s_delay_alu instid0(VALU_DEP_3) | instskip(SKIP_4) | instid1(SALU_CYCLE_1)
	v_fmac_f32_e32 v5, v12, v4
	ds_add_f32 v13, v14 offset:1024
	ds_add_f32 v13, v5 offset:1028
	v_cmp_ge_i32_e32 vcc_lo, v11, v10
	s_or_b32 s34, vcc_lo, s34
	s_and_not1_b32 exec_lo, exec_lo, s34
	s_cbranch_execz .LBB43_17
.LBB43_22:                              ;   Parent Loop BB43_18 Depth=1
                                        ; =>  This Loop Header: Depth=2
                                        ;       Child Loop BB43_25 Depth 3
	s_clause 0x1
	global_load_b32 v13, v11, s[12:13] scale_offset
	global_load_b64 v[4:5], v11, s[14:15] scale_offset
	s_mov_b32 s35, exec_lo
	s_wait_loadcnt 0x1
	v_subrev_nc_u32_e32 v14, s5, v13
	s_delay_alu instid0(VALU_DEP_1) | instskip(NEXT) | instid1(VALU_DEP_1)
	v_mul_lo_u32 v13, 0x89, v14
	v_and_b32_e32 v13, 0xff, v13
	s_delay_alu instid0(VALU_DEP_1)
	v_lshl_add_u32 v15, v13, 2, 0
	ds_load_b32 v16, v15
	s_wait_dscnt 0x0
	s_wait_xcnt 0x0
	v_cmpx_ne_u32_e64 v16, v14
	s_cbranch_execz .LBB43_21
; %bb.23:                               ;   in Loop: Header=BB43_22 Depth=2
	s_mov_b32 s36, 0
	s_branch .LBB43_25
.LBB43_24:                              ;   in Loop: Header=BB43_25 Depth=3
	s_or_b32 exec_lo, exec_lo, s42
	s_delay_alu instid0(SALU_CYCLE_1) | instskip(NEXT) | instid1(SALU_CYCLE_1)
	s_and_b32 s37, exec_lo, s41
	s_or_b32 s36, s37, s36
	s_delay_alu instid0(SALU_CYCLE_1)
	s_and_not1_b32 exec_lo, exec_lo, s36
	s_cbranch_execz .LBB43_20
.LBB43_25:                              ;   Parent Loop BB43_18 Depth=1
                                        ;     Parent Loop BB43_22 Depth=2
                                        ; =>    This Inner Loop Header: Depth=3
	s_mov_b32 s37, 0
	s_mov_b32 s41, exec_lo
	v_cmpx_ne_u32_e64 s28, v16
	s_xor_b32 s41, exec_lo, s41
	s_cbranch_execz .LBB43_27
; %bb.26:                               ;   in Loop: Header=BB43_25 Depth=3
	v_add_nc_u32_e32 v13, 1, v13
	s_mov_b32 s37, exec_lo
                                        ; implicit-def: $vgpr15
	s_delay_alu instid0(VALU_DEP_1)
	v_and_b32_e32 v13, 0xff, v13
	s_and_not1_saveexec_b32 s41, s41
	s_cbranch_execz .LBB43_29
	s_branch .LBB43_28
.LBB43_27:                              ;   in Loop: Header=BB43_25 Depth=3
	s_and_not1_saveexec_b32 s41, s41
	s_cbranch_execz .LBB43_29
.LBB43_28:                              ;   in Loop: Header=BB43_25 Depth=3
	v_mov_b32_e32 v16, s28
	s_and_not1_b32 s37, s37, exec_lo
	ds_cmpstore_rtn_b32 v15, v15, v14, v16
	s_wait_dscnt 0x0
	v_cmp_ne_u32_e32 vcc_lo, s28, v15
	s_and_b32 s42, vcc_lo, exec_lo
	s_delay_alu instid0(SALU_CYCLE_1)
	s_or_b32 s37, s37, s42
.LBB43_29:                              ;   in Loop: Header=BB43_25 Depth=3
	s_or_b32 exec_lo, exec_lo, s41
	s_mov_b32 s41, -1
                                        ; implicit-def: $vgpr15
                                        ; implicit-def: $vgpr16
	s_and_saveexec_b32 s42, s37
	s_cbranch_execz .LBB43_24
; %bb.30:                               ;   in Loop: Header=BB43_25 Depth=3
	v_lshl_add_u32 v15, v13, 2, 0
	ds_load_b32 v16, v15
	s_wait_dscnt 0x0
	v_cmp_eq_u32_e32 vcc_lo, v16, v14
	s_or_not1_b32 s41, vcc_lo, exec_lo
	s_branch .LBB43_24
.LBB43_31:
	s_or_b32 exec_lo, exec_lo, s21
.LBB43_32:
	s_delay_alu instid0(SALU_CYCLE_1)
	s_and_not1_b32 vcc_lo, exec_lo, s40
	s_cbranch_vccnz .LBB43_47
; %bb.33:
	s_wait_kmcnt 0x0
	s_ashr_i32 s21, s20, 31
	v_subrev_nc_u32_e32 v2, s7, v0
	s_lshl_b64 s[4:5], s[20:21], 2
	s_delay_alu instid0(SALU_CYCLE_1)
	s_add_nc_u64 s[4:5], s[30:31], s[4:5]
	s_load_b64 s[12:13], s[4:5], 0x0
	s_wait_xcnt 0x0
	s_mov_b32 s4, exec_lo
	s_wait_kmcnt 0x0
	v_add_nc_u32_e32 v4, s12, v2
	s_sub_co_i32 s1, s13, s7
	s_delay_alu instid0(VALU_DEP_1) | instid1(SALU_CYCLE_1)
	v_cmpx_gt_i32_e64 s1, v4
	s_cbranch_execz .LBB43_46
; %bb.34:
	s_mov_b32 s5, 0
	s_branch .LBB43_37
.LBB43_35:                              ;   in Loop: Header=BB43_37 Depth=1
	s_or_b32 exec_lo, exec_lo, s13
.LBB43_36:                              ;   in Loop: Header=BB43_37 Depth=1
	s_delay_alu instid0(SALU_CYCLE_1) | instskip(SKIP_4) | instid1(VALU_DEP_3)
	s_or_b32 exec_lo, exec_lo, s12
	s_wait_loadcnt 0x0
	v_mul_f32_e64 v9, v3, -s38
	v_mul_f32_e32 v3, s33, v3
	v_lshl_add_u32 v5, v5, 3, 0
	v_dual_fmac_f32 v9, s33, v2 :: v_dual_add_nc_u32 v4, 0x80, v4
	s_delay_alu instid0(VALU_DEP_3) | instskip(SKIP_4) | instid1(SALU_CYCLE_1)
	v_fmac_f32_e32 v3, s38, v2
	ds_add_f32 v5, v9 offset:1024
	ds_add_f32 v5, v3 offset:1028
	v_cmp_le_i32_e32 vcc_lo, s1, v4
	s_or_b32 s5, vcc_lo, s5
	s_and_not1_b32 exec_lo, exec_lo, s5
	s_cbranch_execz .LBB43_46
.LBB43_37:                              ; =>This Loop Header: Depth=1
                                        ;     Child Loop BB43_40 Depth 2
	s_clause 0x1
	global_load_b32 v5, v4, s[8:9] scale_offset
	global_load_b64 v[2:3], v4, s[10:11] scale_offset
	s_mov_b32 s12, exec_lo
	s_wait_loadcnt 0x1
	v_subrev_nc_u32_e32 v9, s7, v5
	s_delay_alu instid0(VALU_DEP_1) | instskip(NEXT) | instid1(VALU_DEP_1)
	v_mul_lo_u32 v5, 0x89, v9
	v_and_b32_e32 v5, 0xff, v5
	s_delay_alu instid0(VALU_DEP_1)
	v_lshl_add_u32 v10, v5, 2, 0
	ds_load_b32 v11, v10
	s_wait_dscnt 0x0
	s_wait_xcnt 0x0
	v_cmpx_ne_u32_e64 v11, v9
	s_cbranch_execz .LBB43_36
; %bb.38:                               ;   in Loop: Header=BB43_37 Depth=1
	s_mov_b32 s13, 0
	s_branch .LBB43_40
.LBB43_39:                              ;   in Loop: Header=BB43_40 Depth=2
	s_or_b32 exec_lo, exec_lo, s16
	s_delay_alu instid0(SALU_CYCLE_1) | instskip(NEXT) | instid1(SALU_CYCLE_1)
	s_and_b32 s14, exec_lo, s15
	s_or_b32 s13, s14, s13
	s_delay_alu instid0(SALU_CYCLE_1)
	s_and_not1_b32 exec_lo, exec_lo, s13
	s_cbranch_execz .LBB43_35
.LBB43_40:                              ;   Parent Loop BB43_37 Depth=1
                                        ; =>  This Inner Loop Header: Depth=2
	s_mov_b32 s14, 0
	s_mov_b32 s15, exec_lo
	v_cmpx_ne_u32_e64 s28, v11
	s_xor_b32 s15, exec_lo, s15
	s_cbranch_execz .LBB43_42
; %bb.41:                               ;   in Loop: Header=BB43_40 Depth=2
	v_add_nc_u32_e32 v5, 1, v5
	s_mov_b32 s14, exec_lo
                                        ; implicit-def: $vgpr10
	s_delay_alu instid0(VALU_DEP_1)
	v_and_b32_e32 v5, 0xff, v5
	s_and_not1_saveexec_b32 s15, s15
	s_cbranch_execz .LBB43_44
	s_branch .LBB43_43
.LBB43_42:                              ;   in Loop: Header=BB43_40 Depth=2
	s_and_not1_saveexec_b32 s15, s15
	s_cbranch_execz .LBB43_44
.LBB43_43:                              ;   in Loop: Header=BB43_40 Depth=2
	v_mov_b32_e32 v11, s28
	s_and_not1_b32 s14, s14, exec_lo
	ds_cmpstore_rtn_b32 v10, v10, v9, v11
	s_wait_dscnt 0x0
	v_cmp_ne_u32_e32 vcc_lo, s28, v10
	s_and_b32 s16, vcc_lo, exec_lo
	s_delay_alu instid0(SALU_CYCLE_1)
	s_or_b32 s14, s14, s16
.LBB43_44:                              ;   in Loop: Header=BB43_40 Depth=2
	s_or_b32 exec_lo, exec_lo, s15
	s_mov_b32 s15, -1
                                        ; implicit-def: $vgpr10
                                        ; implicit-def: $vgpr11
	s_and_saveexec_b32 s16, s14
	s_cbranch_execz .LBB43_39
; %bb.45:                               ;   in Loop: Header=BB43_40 Depth=2
	v_lshl_add_u32 v10, v5, 2, 0
	ds_load_b32 v11, v10
	s_wait_dscnt 0x0
	v_cmp_eq_u32_e32 vcc_lo, v11, v9
	s_or_not1_b32 s15, vcc_lo, exec_lo
	s_branch .LBB43_39
.LBB43_46:
	s_or_b32 exec_lo, exec_lo, s4
.LBB43_47:
	s_wait_dscnt 0x0
	s_barrier_signal -1
	s_barrier_wait -1
	s_and_saveexec_b32 s4, s0
	s_cbranch_execz .LBB43_56
; %bb.48:
	v_mbcnt_lo_u32_b32 v2, -1, 0
	v_dual_mov_b32 v3, 0 :: v_dual_bitop2_b32 v4, 4, v8 bitop3:0x40
	v_cmp_eq_u32_e64 s0, 0x7f, v0
	v_add3_u32 v7, v7, 0, 0x400
	s_delay_alu instid0(VALU_DEP_4) | instskip(NEXT) | instid1(VALU_DEP_4)
	v_dual_mov_b32 v9, 0 :: v_dual_bitop2_b32 v2, 31, v2 bitop3:0x14
	v_add_nc_u32_e32 v8, 0, v4
	s_mov_b32 s5, 0
	v_cmp_lt_u32_e32 vcc_lo, 63, v0
	s_delay_alu instid0(VALU_DEP_3)
	v_lshrrev_b32_e64 v2, v2, -1
	s_branch .LBB43_50
.LBB43_49:                              ;   in Loop: Header=BB43_50 Depth=1
	s_or_b32 exec_lo, exec_lo, s1
	s_wait_dscnt 0x0
	s_barrier_signal -1
	s_barrier_wait -1
	ds_load_b32 v4, v3 offset:3076
	v_add_co_u32 v1, s1, 0x80, v1
	s_xor_b32 s1, s1, -1
	v_add_nc_u32_e32 v7, 0x400, v7
	v_add_nc_u32_e32 v6, 0x200, v6
	s_and_b32 s1, exec_lo, s1
	s_delay_alu instid0(SALU_CYCLE_1)
	s_or_b32 s5, s1, s5
	s_wait_dscnt 0x0
	v_add_nc_u32_e32 v9, v4, v9
	s_and_not1_b32 exec_lo, exec_lo, s5
	s_cbranch_execz .LBB43_56
.LBB43_50:                              ; =>This Inner Loop Header: Depth=1
	ds_load_b32 v10, v6
	ds_load_2addr_b32 v[4:5], v7 offset1:1
	s_wait_dscnt 0x0
	s_barrier_signal -1
	s_barrier_wait -1
	s_wait_xcnt 0x0
	v_cmp_gt_i32_e64 s1, s28, v10
	s_bcnt1_i32_b32 s7, s1
	s_delay_alu instid0(SALU_CYCLE_1) | instskip(NEXT) | instid1(VALU_DEP_1)
	v_dual_mov_b32 v12, s7 :: v_dual_bitop2_b32 v11, s1, v2 bitop3:0x40
	v_bcnt_u32_b32 v11, v11, 0
	ds_store_b32 v8, v12 offset:3072
	s_wait_dscnt 0x0
	s_barrier_signal -1
	s_barrier_wait -1
	s_and_saveexec_b32 s7, vcc_lo
	s_cbranch_execz .LBB43_53
; %bb.51:                               ;   in Loop: Header=BB43_50 Depth=1
	ds_load_b32 v12, v3 offset:3072
	s_wait_dscnt 0x0
	v_add_nc_u32_e32 v11, v12, v11
	s_or_b32 exec_lo, exec_lo, s7
	s_and_saveexec_b32 s7, s1
	s_cbranch_execnz .LBB43_54
.LBB43_52:                              ;   in Loop: Header=BB43_50 Depth=1
	s_or_b32 exec_lo, exec_lo, s7
	s_and_saveexec_b32 s1, s0
	s_cbranch_execz .LBB43_49
	s_branch .LBB43_55
.LBB43_53:                              ;   in Loop: Header=BB43_50 Depth=1
	s_or_b32 exec_lo, exec_lo, s7
	s_and_saveexec_b32 s7, s1
	s_cbranch_execz .LBB43_52
.LBB43_54:                              ;   in Loop: Header=BB43_50 Depth=1
	s_delay_alu instid0(VALU_DEP_1) | instskip(SKIP_1) | instid1(VALU_DEP_2)
	v_add3_u32 v12, v9, -1, v11
	v_add_nc_u32_e32 v13, v9, v11
	v_lshl_add_u32 v12, v12, 2, 0
	s_delay_alu instid0(VALU_DEP_2)
	v_lshl_add_u32 v13, v13, 3, 0
	ds_store_b32 v12, v10
	ds_store_2addr_b32 v13, v4, v5 offset0:254 offset1:255
	s_or_b32 exec_lo, exec_lo, s7
	s_and_saveexec_b32 s1, s0
	s_cbranch_execz .LBB43_49
.LBB43_55:                              ;   in Loop: Header=BB43_50 Depth=1
	ds_store_b32 v3, v11 offset:3076
	s_branch .LBB43_49
.LBB43_56:
	s_or_b32 exec_lo, exec_lo, s4
	s_wait_kmcnt 0x0
	s_ashr_i32 s21, s20, 31
	s_delay_alu instid0(SALU_CYCLE_1) | instskip(NEXT) | instid1(SALU_CYCLE_1)
	s_lshl_b64 s[0:1], s[20:21], 2
	s_add_nc_u64 s[4:5], s[24:25], s[0:1]
	s_load_b64 s[0:1], s[4:5], 0x0
	s_wait_kmcnt 0x0
	s_sub_co_i32 s7, s1, s0
	s_mov_b32 s1, exec_lo
	v_cmpx_gt_i32_e64 s7, v0
	s_cbranch_execz .LBB43_70
; %bb.57:
	v_sub_co_u32 v1, s1, s7, 2
	s_sub_co_i32 s4, s0, s6
	s_xor_b32 s8, s1, -1
	s_and_b32 s6, s7, -2
	v_readfirstlane_b32 s5, v1
	s_lshr_b32 s0, s5, 1
	s_mov_b32 s5, 0
	s_add_co_i32 s0, s0, 1
	s_mov_b32 s13, s5
	s_and_b32 s1, s0, 7
	s_and_b32 s9, s0, -8
	s_cmp_lg_u32 s1, 0
	v_cmp_lt_u32_e64 s0, 13, v1
	s_cselect_b32 s10, -1, 0
	s_cmp_lg_u32 s7, s6
	s_cselect_b32 s11, -1, 0
	s_lshl_b32 s12, s1, 3
	s_branch .LBB43_59
.LBB43_58:                              ;   in Loop: Header=BB43_59 Depth=1
	v_add_nc_u32_e32 v0, 0x80, v0
	s_wait_dscnt 0x0
	global_store_b64 v4, v[2:3], s[2:3] scale_offset
	v_cmp_le_i32_e32 vcc_lo, s7, v0
	s_or_b32 s13, vcc_lo, s13
	s_wait_xcnt 0x0
	s_and_not1_b32 exec_lo, exec_lo, s13
	s_cbranch_execz .LBB43_70
.LBB43_59:                              ; =>This Loop Header: Depth=1
                                        ;     Child Loop BB43_62 Depth 2
                                        ;     Child Loop BB43_65 Depth 2
	;; [unrolled: 1-line block ×3, first 2 shown]
	v_dual_mov_b32 v4, s4 :: v_dual_lshlrev_b32 v1, 2, v0
	s_and_not1_b32 vcc_lo, exec_lo, s8
	s_mov_b32 s1, 0
	s_mov_b32 s14, -1
	s_delay_alu instid0(VALU_DEP_1) | instskip(NEXT) | instid1(VALU_DEP_1)
	v_add_nc_u32_e32 v2, 0, v1
	v_add3_u32 v3, v2, v1, 0x400
	ds_load_b32 v1, v2
	ds_load_2addr_b32 v[2:3], v3 offset1:1
	s_cbranch_vccnz .LBB43_67
; %bb.60:                               ;   in Loop: Header=BB43_59 Depth=1
	v_mov_b64_e32 v[4:5], s[4:5]
	s_and_not1_b32 vcc_lo, exec_lo, s0
	s_mov_b32 s14, 0
	s_cbranch_vccnz .LBB43_63
; %bb.61:                               ;   in Loop: Header=BB43_59 Depth=1
	v_dual_mov_b32 v4, s4 :: v_dual_mov_b32 v5, 0
	s_mov_b32 s15, 0
	s_mov_b32 s16, s9
.LBB43_62:                              ;   Parent Loop BB43_59 Depth=1
                                        ; =>  This Inner Loop Header: Depth=2
	v_mov_b32_e32 v20, s15
	s_add_co_i32 s16, s16, -8
	s_add_co_i32 s14, s14, 16
	s_add_co_i32 s15, s15, 64
	s_cmp_lg_u32 s16, 0
	ds_load_2addr_b32 v[6:7], v20 offset1:1
	ds_load_2addr_b32 v[8:9], v20 offset0:2 offset1:3
	ds_load_2addr_b32 v[10:11], v20 offset0:4 offset1:5
	ds_load_2addr_b32 v[12:13], v20 offset0:8 offset1:9
	ds_load_2addr_b32 v[14:15], v20 offset0:12 offset1:13
	ds_load_2addr_b32 v[16:17], v20 offset0:6 offset1:7
	ds_load_2addr_b32 v[18:19], v20 offset0:10 offset1:11
	ds_load_2addr_b32 v[20:21], v20 offset0:14 offset1:15
	s_wait_dscnt 0x7
	v_cmp_gt_i32_e32 vcc_lo, v1, v7
	s_wait_dscnt 0x5
	v_cmp_gt_i32_e64 s1, v1, v10
	v_cndmask_b32_e64 v7, 0, 1, vcc_lo
	v_cmp_gt_i32_e32 vcc_lo, v1, v6
	v_cndmask_b32_e64 v6, 0, 1, vcc_lo
	v_cmp_gt_i32_e32 vcc_lo, v1, v8
	v_cndmask_b32_e64 v8, 0, 1, s1
	v_cmp_gt_i32_e64 s1, v1, v11
	s_delay_alu instid0(VALU_DEP_4) | instskip(NEXT) | instid1(VALU_DEP_2)
	v_add_co_ci_u32_e64 v4, null, v4, v6, vcc_lo
	v_cndmask_b32_e64 v10, 0, 1, s1
	s_wait_dscnt 0x4
	v_cmp_gt_i32_e64 s1, v1, v13
	s_wait_dscnt 0x2
	v_cmp_gt_i32_e32 vcc_lo, v1, v16
	s_delay_alu instid0(VALU_DEP_2) | instskip(SKIP_4) | instid1(VALU_DEP_3)
	v_cndmask_b32_e64 v11, 0, 1, s1
	v_cmp_gt_i32_e64 s1, v1, v12
	v_add_co_ci_u32_e64 v4, null, v4, v8, vcc_lo
	s_wait_dscnt 0x1
	v_cmp_gt_i32_e32 vcc_lo, v1, v18
	v_cndmask_b32_e64 v12, 0, 1, s1
	v_cmp_gt_i32_e64 s1, v1, v14
	s_delay_alu instid0(VALU_DEP_2) | instskip(NEXT) | instid1(VALU_DEP_2)
	v_add_co_ci_u32_e64 v4, null, v4, v12, vcc_lo
	v_cndmask_b32_e64 v13, 0, 1, s1
	v_cmp_gt_i32_e64 s1, v1, v15
	s_wait_dscnt 0x0
	v_cmp_gt_i32_e32 vcc_lo, v1, v20
	s_delay_alu instid0(VALU_DEP_2) | instskip(SKIP_2) | instid1(VALU_DEP_2)
	v_cndmask_b32_e64 v14, 0, 1, s1
	v_cmp_gt_i32_e64 s1, v1, v9
	v_add_co_ci_u32_e64 v4, null, v4, v13, vcc_lo
	v_add_co_ci_u32_e64 v5, null, v5, v7, s1
	v_cmp_gt_i32_e64 s1, v1, v17
	s_delay_alu instid0(VALU_DEP_1) | instskip(SKIP_1) | instid1(VALU_DEP_1)
	v_add_co_ci_u32_e64 v5, null, v5, v10, s1
	v_cmp_gt_i32_e64 s1, v1, v19
	v_add_co_ci_u32_e64 v5, null, v5, v11, s1
	v_cmp_gt_i32_e64 s1, v1, v21
	s_delay_alu instid0(VALU_DEP_1)
	v_add_co_ci_u32_e64 v5, null, v5, v14, s1
	s_cbranch_scc1 .LBB43_62
.LBB43_63:                              ;   in Loop: Header=BB43_59 Depth=1
	s_and_not1_b32 vcc_lo, exec_lo, s10
	s_cbranch_vccnz .LBB43_66
; %bb.64:                               ;   in Loop: Header=BB43_59 Depth=1
	s_lshl_b32 s1, s14, 2
	s_mov_b32 s14, s12
	s_add_co_i32 s1, s1, 0
.LBB43_65:                              ;   Parent Loop BB43_59 Depth=1
                                        ; =>  This Inner Loop Header: Depth=2
	s_delay_alu instid0(SALU_CYCLE_1)
	v_mov_b32_e32 v6, s1
	s_add_co_i32 s14, s14, -8
	s_add_co_i32 s1, s1, 8
	s_cmp_lg_u32 s14, 0
	ds_load_2addr_b32 v[6:7], v6 offset1:1
	s_wait_dscnt 0x0
	v_cmp_gt_i32_e32 vcc_lo, v1, v7
	v_add_co_ci_u32_e64 v5, null, 0, v5, vcc_lo
	v_cmp_gt_i32_e32 vcc_lo, v1, v6
	v_add_co_ci_u32_e64 v4, null, 0, v4, vcc_lo
	s_cbranch_scc1 .LBB43_65
.LBB43_66:                              ;   in Loop: Header=BB43_59 Depth=1
	s_delay_alu instid0(VALU_DEP_1)
	v_add_nc_u32_e32 v4, v4, v5
	s_mov_b32 s1, s6
	s_mov_b32 s14, s11
.LBB43_67:                              ;   in Loop: Header=BB43_59 Depth=1
	s_delay_alu instid0(SALU_CYCLE_1)
	s_and_b32 vcc_lo, exec_lo, s14
	s_cbranch_vccz .LBB43_58
; %bb.68:                               ;   in Loop: Header=BB43_59 Depth=1
	s_lshl_b32 s14, s1, 2
	s_delay_alu instid0(SALU_CYCLE_1)
	s_add_co_i32 s14, s14, 0
.LBB43_69:                              ;   Parent Loop BB43_59 Depth=1
                                        ; =>  This Inner Loop Header: Depth=2
	s_delay_alu instid0(SALU_CYCLE_1)
	v_mov_b32_e32 v5, s14
	s_add_co_i32 s1, s1, 1
	s_add_co_i32 s14, s14, 4
	s_cmp_ge_i32 s1, s7
	ds_load_b32 v5, v5
	s_wait_dscnt 0x0
	v_cmp_gt_i32_e32 vcc_lo, v1, v5
	v_add_co_ci_u32_e64 v4, null, 0, v4, vcc_lo
	s_cbranch_scc0 .LBB43_69
	s_branch .LBB43_58
.LBB43_70:
	s_endpgm
	.section	.rodata,"a",@progbits
	.p2align	6, 0x0
	.amdhsa_kernel _ZN9rocsparseL41csrgemm_numeric_fill_block_per_row_kernelILj128ELj16ELj256ELj137ELj64Eii21rocsparse_complex_numIfEEEvT5_PKS3_S5_NS_24const_host_device_scalarIT6_EEPKT4_S5_PKS7_SB_S5_SD_S8_SB_S5_SD_SB_S5_PS7_21rocsparse_index_base_SF_SF_SF_bbb
		.amdhsa_group_segment_fixed_size 0
		.amdhsa_private_segment_fixed_size 0
		.amdhsa_kernarg_size 156
		.amdhsa_user_sgpr_count 2
		.amdhsa_user_sgpr_dispatch_ptr 0
		.amdhsa_user_sgpr_queue_ptr 0
		.amdhsa_user_sgpr_kernarg_segment_ptr 1
		.amdhsa_user_sgpr_dispatch_id 0
		.amdhsa_user_sgpr_kernarg_preload_length 0
		.amdhsa_user_sgpr_kernarg_preload_offset 0
		.amdhsa_user_sgpr_private_segment_size 0
		.amdhsa_wavefront_size32 1
		.amdhsa_uses_dynamic_stack 0
		.amdhsa_enable_private_segment 0
		.amdhsa_system_sgpr_workgroup_id_x 1
		.amdhsa_system_sgpr_workgroup_id_y 0
		.amdhsa_system_sgpr_workgroup_id_z 0
		.amdhsa_system_sgpr_workgroup_info 0
		.amdhsa_system_vgpr_workitem_id 0
		.amdhsa_next_free_vgpr 22
		.amdhsa_next_free_sgpr 43
		.amdhsa_named_barrier_count 0
		.amdhsa_reserve_vcc 1
		.amdhsa_float_round_mode_32 0
		.amdhsa_float_round_mode_16_64 0
		.amdhsa_float_denorm_mode_32 3
		.amdhsa_float_denorm_mode_16_64 3
		.amdhsa_fp16_overflow 0
		.amdhsa_memory_ordered 1
		.amdhsa_forward_progress 1
		.amdhsa_inst_pref_size 23
		.amdhsa_round_robin_scheduling 0
		.amdhsa_exception_fp_ieee_invalid_op 0
		.amdhsa_exception_fp_denorm_src 0
		.amdhsa_exception_fp_ieee_div_zero 0
		.amdhsa_exception_fp_ieee_overflow 0
		.amdhsa_exception_fp_ieee_underflow 0
		.amdhsa_exception_fp_ieee_inexact 0
		.amdhsa_exception_int_div_zero 0
	.end_amdhsa_kernel
	.section	.text._ZN9rocsparseL41csrgemm_numeric_fill_block_per_row_kernelILj128ELj16ELj256ELj137ELj64Eii21rocsparse_complex_numIfEEEvT5_PKS3_S5_NS_24const_host_device_scalarIT6_EEPKT4_S5_PKS7_SB_S5_SD_S8_SB_S5_SD_SB_S5_PS7_21rocsparse_index_base_SF_SF_SF_bbb,"axG",@progbits,_ZN9rocsparseL41csrgemm_numeric_fill_block_per_row_kernelILj128ELj16ELj256ELj137ELj64Eii21rocsparse_complex_numIfEEEvT5_PKS3_S5_NS_24const_host_device_scalarIT6_EEPKT4_S5_PKS7_SB_S5_SD_S8_SB_S5_SD_SB_S5_PS7_21rocsparse_index_base_SF_SF_SF_bbb,comdat
.Lfunc_end43:
	.size	_ZN9rocsparseL41csrgemm_numeric_fill_block_per_row_kernelILj128ELj16ELj256ELj137ELj64Eii21rocsparse_complex_numIfEEEvT5_PKS3_S5_NS_24const_host_device_scalarIT6_EEPKT4_S5_PKS7_SB_S5_SD_S8_SB_S5_SD_SB_S5_PS7_21rocsparse_index_base_SF_SF_SF_bbb, .Lfunc_end43-_ZN9rocsparseL41csrgemm_numeric_fill_block_per_row_kernelILj128ELj16ELj256ELj137ELj64Eii21rocsparse_complex_numIfEEEvT5_PKS3_S5_NS_24const_host_device_scalarIT6_EEPKT4_S5_PKS7_SB_S5_SD_S8_SB_S5_SD_SB_S5_PS7_21rocsparse_index_base_SF_SF_SF_bbb
                                        ; -- End function
	.set _ZN9rocsparseL41csrgemm_numeric_fill_block_per_row_kernelILj128ELj16ELj256ELj137ELj64Eii21rocsparse_complex_numIfEEEvT5_PKS3_S5_NS_24const_host_device_scalarIT6_EEPKT4_S5_PKS7_SB_S5_SD_S8_SB_S5_SD_SB_S5_PS7_21rocsparse_index_base_SF_SF_SF_bbb.num_vgpr, 22
	.set _ZN9rocsparseL41csrgemm_numeric_fill_block_per_row_kernelILj128ELj16ELj256ELj137ELj64Eii21rocsparse_complex_numIfEEEvT5_PKS3_S5_NS_24const_host_device_scalarIT6_EEPKT4_S5_PKS7_SB_S5_SD_S8_SB_S5_SD_SB_S5_PS7_21rocsparse_index_base_SF_SF_SF_bbb.num_agpr, 0
	.set _ZN9rocsparseL41csrgemm_numeric_fill_block_per_row_kernelILj128ELj16ELj256ELj137ELj64Eii21rocsparse_complex_numIfEEEvT5_PKS3_S5_NS_24const_host_device_scalarIT6_EEPKT4_S5_PKS7_SB_S5_SD_S8_SB_S5_SD_SB_S5_PS7_21rocsparse_index_base_SF_SF_SF_bbb.numbered_sgpr, 43
	.set _ZN9rocsparseL41csrgemm_numeric_fill_block_per_row_kernelILj128ELj16ELj256ELj137ELj64Eii21rocsparse_complex_numIfEEEvT5_PKS3_S5_NS_24const_host_device_scalarIT6_EEPKT4_S5_PKS7_SB_S5_SD_S8_SB_S5_SD_SB_S5_PS7_21rocsparse_index_base_SF_SF_SF_bbb.num_named_barrier, 0
	.set _ZN9rocsparseL41csrgemm_numeric_fill_block_per_row_kernelILj128ELj16ELj256ELj137ELj64Eii21rocsparse_complex_numIfEEEvT5_PKS3_S5_NS_24const_host_device_scalarIT6_EEPKT4_S5_PKS7_SB_S5_SD_S8_SB_S5_SD_SB_S5_PS7_21rocsparse_index_base_SF_SF_SF_bbb.private_seg_size, 0
	.set _ZN9rocsparseL41csrgemm_numeric_fill_block_per_row_kernelILj128ELj16ELj256ELj137ELj64Eii21rocsparse_complex_numIfEEEvT5_PKS3_S5_NS_24const_host_device_scalarIT6_EEPKT4_S5_PKS7_SB_S5_SD_S8_SB_S5_SD_SB_S5_PS7_21rocsparse_index_base_SF_SF_SF_bbb.uses_vcc, 1
	.set _ZN9rocsparseL41csrgemm_numeric_fill_block_per_row_kernelILj128ELj16ELj256ELj137ELj64Eii21rocsparse_complex_numIfEEEvT5_PKS3_S5_NS_24const_host_device_scalarIT6_EEPKT4_S5_PKS7_SB_S5_SD_S8_SB_S5_SD_SB_S5_PS7_21rocsparse_index_base_SF_SF_SF_bbb.uses_flat_scratch, 0
	.set _ZN9rocsparseL41csrgemm_numeric_fill_block_per_row_kernelILj128ELj16ELj256ELj137ELj64Eii21rocsparse_complex_numIfEEEvT5_PKS3_S5_NS_24const_host_device_scalarIT6_EEPKT4_S5_PKS7_SB_S5_SD_S8_SB_S5_SD_SB_S5_PS7_21rocsparse_index_base_SF_SF_SF_bbb.has_dyn_sized_stack, 0
	.set _ZN9rocsparseL41csrgemm_numeric_fill_block_per_row_kernelILj128ELj16ELj256ELj137ELj64Eii21rocsparse_complex_numIfEEEvT5_PKS3_S5_NS_24const_host_device_scalarIT6_EEPKT4_S5_PKS7_SB_S5_SD_S8_SB_S5_SD_SB_S5_PS7_21rocsparse_index_base_SF_SF_SF_bbb.has_recursion, 0
	.set _ZN9rocsparseL41csrgemm_numeric_fill_block_per_row_kernelILj128ELj16ELj256ELj137ELj64Eii21rocsparse_complex_numIfEEEvT5_PKS3_S5_NS_24const_host_device_scalarIT6_EEPKT4_S5_PKS7_SB_S5_SD_S8_SB_S5_SD_SB_S5_PS7_21rocsparse_index_base_SF_SF_SF_bbb.has_indirect_call, 0
	.section	.AMDGPU.csdata,"",@progbits
; Kernel info:
; codeLenInByte = 2888
; TotalNumSgprs: 45
; NumVgprs: 22
; ScratchSize: 0
; MemoryBound: 0
; FloatMode: 240
; IeeeMode: 1
; LDSByteSize: 0 bytes/workgroup (compile time only)
; SGPRBlocks: 0
; VGPRBlocks: 1
; NumSGPRsForWavesPerEU: 45
; NumVGPRsForWavesPerEU: 22
; NamedBarCnt: 0
; Occupancy: 16
; WaveLimiterHint : 1
; COMPUTE_PGM_RSRC2:SCRATCH_EN: 0
; COMPUTE_PGM_RSRC2:USER_SGPR: 2
; COMPUTE_PGM_RSRC2:TRAP_HANDLER: 0
; COMPUTE_PGM_RSRC2:TGID_X_EN: 1
; COMPUTE_PGM_RSRC2:TGID_Y_EN: 0
; COMPUTE_PGM_RSRC2:TGID_Z_EN: 0
; COMPUTE_PGM_RSRC2:TIDIG_COMP_CNT: 0
	.section	.text._ZN9rocsparseL41csrgemm_numeric_fill_block_per_row_kernelILj256ELj32ELj512ELj137ELj32Eii21rocsparse_complex_numIfEEEvT5_PKS3_S5_NS_24const_host_device_scalarIT6_EEPKT4_S5_PKS7_SB_S5_SD_S8_SB_S5_SD_SB_S5_PS7_21rocsparse_index_base_SF_SF_SF_bbb,"axG",@progbits,_ZN9rocsparseL41csrgemm_numeric_fill_block_per_row_kernelILj256ELj32ELj512ELj137ELj32Eii21rocsparse_complex_numIfEEEvT5_PKS3_S5_NS_24const_host_device_scalarIT6_EEPKT4_S5_PKS7_SB_S5_SD_S8_SB_S5_SD_SB_S5_PS7_21rocsparse_index_base_SF_SF_SF_bbb,comdat
	.globl	_ZN9rocsparseL41csrgemm_numeric_fill_block_per_row_kernelILj256ELj32ELj512ELj137ELj32Eii21rocsparse_complex_numIfEEEvT5_PKS3_S5_NS_24const_host_device_scalarIT6_EEPKT4_S5_PKS7_SB_S5_SD_S8_SB_S5_SD_SB_S5_PS7_21rocsparse_index_base_SF_SF_SF_bbb ; -- Begin function _ZN9rocsparseL41csrgemm_numeric_fill_block_per_row_kernelILj256ELj32ELj512ELj137ELj32Eii21rocsparse_complex_numIfEEEvT5_PKS3_S5_NS_24const_host_device_scalarIT6_EEPKT4_S5_PKS7_SB_S5_SD_S8_SB_S5_SD_SB_S5_PS7_21rocsparse_index_base_SF_SF_SF_bbb
	.p2align	8
	.type	_ZN9rocsparseL41csrgemm_numeric_fill_block_per_row_kernelILj256ELj32ELj512ELj137ELj32Eii21rocsparse_complex_numIfEEEvT5_PKS3_S5_NS_24const_host_device_scalarIT6_EEPKT4_S5_PKS7_SB_S5_SD_S8_SB_S5_SD_SB_S5_PS7_21rocsparse_index_base_SF_SF_SF_bbb,@function
_ZN9rocsparseL41csrgemm_numeric_fill_block_per_row_kernelILj256ELj32ELj512ELj137ELj32Eii21rocsparse_complex_numIfEEEvT5_PKS3_S5_NS_24const_host_device_scalarIT6_EEPKT4_S5_PKS7_SB_S5_SD_S8_SB_S5_SD_SB_S5_PS7_21rocsparse_index_base_SF_SF_SF_bbb: ; @_ZN9rocsparseL41csrgemm_numeric_fill_block_per_row_kernelILj256ELj32ELj512ELj137ELj32Eii21rocsparse_complex_numIfEEEvT5_PKS3_S5_NS_24const_host_device_scalarIT6_EEPKT4_S5_PKS7_SB_S5_SD_S8_SB_S5_SD_SB_S5_PS7_21rocsparse_index_base_SF_SF_SF_bbb
; %bb.0:
	s_clause 0x7
	s_load_b32 s33, s[0:1], 0x98
	s_load_b128 s[8:11], s[0:1], 0x88
	s_load_b64 s[24:25], s[0:1], 0x80
	s_load_b128 s[4:7], s[0:1], 0x60
	s_load_b128 s[20:23], s[0:1], 0x8
	s_load_b64 s[2:3], s[0:1], 0x28
	s_load_b128 s[12:15], s[0:1], 0x40
	s_load_b64 s[36:37], s[0:1], 0x50
	s_mov_b32 s29, 0
	s_mov_b32 s39, 0
	s_wait_kmcnt 0x0
	s_bitcmp1_b32 s33, 0
	s_cselect_b32 s41, -1, 0
	s_bitcmp1_b32 s33, 16
	s_cselect_b32 s16, -1, 0
	s_delay_alu instid0(SALU_CYCLE_1) | instskip(SKIP_2) | instid1(VALU_DEP_1)
	s_xor_b32 s16, s16, -1
	s_bitcmp0_b32 s33, 0
	v_cndmask_b32_e64 v1, 0, 1, s16
	v_cmp_ne_u32_e32 vcc_lo, 1, v1
	s_cbranch_scc1 .LBB44_5
; %bb.1:
	s_load_b64 s[28:29], s[0:1], 0x18
	s_and_b32 vcc_lo, exec_lo, vcc_lo
	s_wait_kmcnt 0x0
	s_mov_b32 s39, s28
	s_cbranch_vccnz .LBB44_3
; %bb.2:
	s_load_b32 s39, s[28:29], 0x0
.LBB44_3:
	s_and_not1_b32 vcc_lo, exec_lo, s16
	s_cbranch_vccnz .LBB44_5
; %bb.4:
	s_wait_xcnt 0x0
	s_load_b32 s29, s[28:29], 0x4
.LBB44_5:
	s_clause 0x3
	s_load_b64 s[26:27], s[0:1], 0x70
	s_load_b64 s[30:31], s[0:1], 0x58
	;; [unrolled: 1-line block ×3, first 2 shown]
	s_load_b128 s[16:19], s[0:1], 0x30
	s_bitcmp1_b32 s33, 8
	s_mov_b32 s38, 0
	s_cselect_b32 s40, -1, 0
	s_wait_xcnt 0x0
	s_bfe_u32 s28, s33, 0x10008
	s_mov_b32 s33, 0
	s_cmp_eq_u32 s28, 0
	s_cbranch_scc1 .LBB44_11
; %bb.6:
	v_cmp_ne_u32_e32 vcc_lo, 1, v1
	s_mov_b32 s33, s36
	s_cbranch_vccnz .LBB44_8
; %bb.7:
	s_load_b32 s33, s[36:37], 0x0
.LBB44_8:
	v_cmp_ne_u32_e32 vcc_lo, 1, v1
	s_cbranch_vccnz .LBB44_10
; %bb.9:
	s_wait_xcnt 0x0
	s_load_b32 s37, s[36:37], 0x4
.LBB44_10:
	s_wait_kmcnt 0x0
	s_mov_b32 s38, s37
.LBB44_11:
	s_load_b32 s28, s[0:1], 0x0
	s_wait_xcnt 0x0
	v_cmp_gt_u32_e64 s0, 0x200, v0
	v_lshlrev_b32_e32 v7, 3, v0
	v_or_b32_e32 v1, 0xffffff00, v0
	v_lshl_add_u32 v6, v0, 2, 0
	s_and_saveexec_b32 s1, s0
	s_cbranch_execz .LBB44_14
; %bb.12:
	v_add3_u32 v2, v7, 0, 0x800
	v_or_b32_e32 v3, 0xffffff00, v0
	v_lshl_add_u32 v4, v0, 2, 0
	s_wait_kmcnt 0x0
	v_dual_mov_b32 v5, s28 :: v_dual_mov_b32 v8, 0
	s_mov_b32 s36, 0
.LBB44_13:                              ; =>This Inner Loop Header: Depth=1
	v_add_co_u32 v3, s37, 0x100, v3
	s_xor_b32 s37, s37, -1
	ds_store_b32 v4, v5
	ds_store_2addr_b32 v2, v8, v8 offset1:1
	v_add_nc_u32_e32 v2, 0x800, v2
	v_add_nc_u32_e32 v4, 0x400, v4
	s_and_b32 s37, exec_lo, s37
	s_delay_alu instid0(SALU_CYCLE_1) | instskip(NEXT) | instid1(SALU_CYCLE_1)
	s_or_b32 s36, s37, s36
	s_and_not1_b32 exec_lo, exec_lo, s36
	s_cbranch_execnz .LBB44_13
.LBB44_14:
	s_or_b32 exec_lo, exec_lo, s1
	s_wait_dscnt 0x0
	s_barrier_signal -1
	s_barrier_wait -1
	s_load_b32 s1, s[20:21], 0x0
	s_wait_xcnt 0x0
	s_bfe_u32 s20, ttmp6, 0x4000c
	s_and_b32 s21, ttmp6, 15
	s_add_co_i32 s20, s20, 1
	s_getreg_b32 s36, hwreg(HW_REG_IB_STS2, 6, 4)
	s_mul_i32 s20, ttmp9, s20
	v_lshrrev_b32_e32 v8, 5, v0
	s_add_co_i32 s21, s21, s20
	s_cmp_eq_u32 s36, 0
	s_cselect_b32 s20, ttmp9, s21
	s_and_b32 vcc_lo, exec_lo, s41
	s_wait_kmcnt 0x0
	s_add_co_i32 s1, s1, s20
	s_load_b32 s20, s[22:23], s1 offset:0x0 scale_offset
	s_cbranch_vccz .LBB44_32
; %bb.15:
	s_wait_kmcnt 0x0
	s_ashr_i32 s21, s20, 31
	v_subrev_nc_u32_e32 v2, s8, v8
	s_lshl_b64 s[22:23], s[20:21], 2
	s_mov_b32 s21, exec_lo
	s_add_nc_u64 s[22:23], s[34:35], s[22:23]
	s_load_b64 s[34:35], s[22:23], 0x0
	s_wait_kmcnt 0x0
	v_add_nc_u32_e32 v2, s34, v2
	s_sub_co_i32 s1, s35, s8
	s_delay_alu instid0(VALU_DEP_1) | instid1(SALU_CYCLE_1)
	v_cmpx_gt_i32_e64 s1, v2
	s_cbranch_execz .LBB44_31
; %bb.16:
	v_and_b32_e32 v3, 31, v0
	s_mov_b32 s22, 0
	s_delay_alu instid0(VALU_DEP_1)
	v_subrev_nc_u32_e32 v9, s9, v3
	s_branch .LBB44_18
.LBB44_17:                              ;   in Loop: Header=BB44_18 Depth=1
	s_or_b32 exec_lo, exec_lo, s23
	v_add_nc_u32_e32 v2, 8, v2
	s_delay_alu instid0(VALU_DEP_1) | instskip(SKIP_1) | instid1(SALU_CYCLE_1)
	v_cmp_le_i32_e32 vcc_lo, s1, v2
	s_or_b32 s22, vcc_lo, s22
	s_and_not1_b32 exec_lo, exec_lo, s22
	s_cbranch_execz .LBB44_31
.LBB44_18:                              ; =>This Loop Header: Depth=1
                                        ;     Child Loop BB44_22 Depth 2
                                        ;       Child Loop BB44_25 Depth 3
	global_load_b32 v3, v2, s[2:3] scale_offset
	s_mov_b32 s23, exec_lo
	s_wait_loadcnt 0x0
	v_subrev_nc_u32_e32 v4, s8, v3
	s_delay_alu instid0(VALU_DEP_1) | instskip(NEXT) | instid1(VALU_DEP_1)
	v_ashrrev_i32_e32 v5, 31, v4
	v_lshl_add_u64 v[4:5], v[4:5], 2, s[18:19]
	global_load_b64 v[4:5], v[4:5], off
	s_wait_loadcnt 0x0
	v_subrev_nc_u32_e32 v10, s9, v5
	v_add_nc_u32_e32 v11, v4, v9
	s_wait_xcnt 0x0
	s_delay_alu instid0(VALU_DEP_1)
	v_cmpx_lt_i32_e64 v11, v10
	s_cbranch_execz .LBB44_17
; %bb.19:                               ;   in Loop: Header=BB44_18 Depth=1
	v_ashrrev_i32_e32 v3, 31, v2
	s_mov_b32 s34, 0
	s_delay_alu instid0(VALU_DEP_1) | instskip(SKIP_3) | instid1(VALU_DEP_1)
	v_lshl_add_u64 v[4:5], v[2:3], 3, s[16:17]
	global_load_b64 v[4:5], v[4:5], off
	s_wait_loadcnt 0x0
	v_mul_f32_e64 v3, v5, -s29
	v_dual_mul_f32 v12, s39, v5 :: v_dual_fmac_f32 v3, s39, v4
	s_delay_alu instid0(VALU_DEP_1)
	v_fmac_f32_e32 v12, s29, v4
	s_branch .LBB44_22
.LBB44_20:                              ;   in Loop: Header=BB44_22 Depth=2
	s_or_b32 exec_lo, exec_lo, s36
.LBB44_21:                              ;   in Loop: Header=BB44_22 Depth=2
	s_delay_alu instid0(SALU_CYCLE_1) | instskip(SKIP_3) | instid1(VALU_DEP_2)
	s_or_b32 exec_lo, exec_lo, s35
	s_wait_loadcnt 0x0
	v_dual_mul_f32 v14, v5, -v12 :: v_dual_mul_f32 v5, v3, v5
	v_lshl_add_u32 v13, v13, 3, 0
	v_dual_fmac_f32 v14, v3, v4 :: v_dual_add_nc_u32 v11, 32, v11
	s_delay_alu instid0(VALU_DEP_3) | instskip(SKIP_4) | instid1(SALU_CYCLE_1)
	v_fmac_f32_e32 v5, v12, v4
	ds_add_f32 v13, v14 offset:2048
	ds_add_f32 v13, v5 offset:2052
	v_cmp_ge_i32_e32 vcc_lo, v11, v10
	s_or_b32 s34, vcc_lo, s34
	s_and_not1_b32 exec_lo, exec_lo, s34
	s_cbranch_execz .LBB44_17
.LBB44_22:                              ;   Parent Loop BB44_18 Depth=1
                                        ; =>  This Loop Header: Depth=2
                                        ;       Child Loop BB44_25 Depth 3
	s_clause 0x1
	global_load_b32 v13, v11, s[12:13] scale_offset
	global_load_b64 v[4:5], v11, s[14:15] scale_offset
	s_mov_b32 s35, exec_lo
	s_wait_loadcnt 0x1
	v_subrev_nc_u32_e32 v14, s9, v13
	s_delay_alu instid0(VALU_DEP_1) | instskip(NEXT) | instid1(VALU_DEP_1)
	v_mul_lo_u32 v13, 0x89, v14
	v_and_b32_e32 v13, 0x1ff, v13
	s_delay_alu instid0(VALU_DEP_1)
	v_lshl_add_u32 v15, v13, 2, 0
	ds_load_b32 v16, v15
	s_wait_dscnt 0x0
	s_wait_xcnt 0x0
	v_cmpx_ne_u32_e64 v16, v14
	s_cbranch_execz .LBB44_21
; %bb.23:                               ;   in Loop: Header=BB44_22 Depth=2
	s_mov_b32 s36, 0
	s_branch .LBB44_25
.LBB44_24:                              ;   in Loop: Header=BB44_25 Depth=3
	s_or_b32 exec_lo, exec_lo, s42
	s_delay_alu instid0(SALU_CYCLE_1) | instskip(NEXT) | instid1(SALU_CYCLE_1)
	s_and_b32 s37, exec_lo, s41
	s_or_b32 s36, s37, s36
	s_delay_alu instid0(SALU_CYCLE_1)
	s_and_not1_b32 exec_lo, exec_lo, s36
	s_cbranch_execz .LBB44_20
.LBB44_25:                              ;   Parent Loop BB44_18 Depth=1
                                        ;     Parent Loop BB44_22 Depth=2
                                        ; =>    This Inner Loop Header: Depth=3
	s_mov_b32 s37, 0
	s_mov_b32 s41, exec_lo
	v_cmpx_ne_u32_e64 s28, v16
	s_xor_b32 s41, exec_lo, s41
	s_cbranch_execz .LBB44_27
; %bb.26:                               ;   in Loop: Header=BB44_25 Depth=3
	v_add_nc_u32_e32 v13, 1, v13
	s_mov_b32 s37, exec_lo
                                        ; implicit-def: $vgpr15
	s_delay_alu instid0(VALU_DEP_1)
	v_and_b32_e32 v13, 0x1ff, v13
	s_and_not1_saveexec_b32 s41, s41
	s_cbranch_execz .LBB44_29
	s_branch .LBB44_28
.LBB44_27:                              ;   in Loop: Header=BB44_25 Depth=3
	s_and_not1_saveexec_b32 s41, s41
	s_cbranch_execz .LBB44_29
.LBB44_28:                              ;   in Loop: Header=BB44_25 Depth=3
	v_mov_b32_e32 v16, s28
	s_and_not1_b32 s37, s37, exec_lo
	ds_cmpstore_rtn_b32 v15, v15, v14, v16
	s_wait_dscnt 0x0
	v_cmp_ne_u32_e32 vcc_lo, s28, v15
	s_and_b32 s42, vcc_lo, exec_lo
	s_delay_alu instid0(SALU_CYCLE_1)
	s_or_b32 s37, s37, s42
.LBB44_29:                              ;   in Loop: Header=BB44_25 Depth=3
	s_or_b32 exec_lo, exec_lo, s41
	s_mov_b32 s41, -1
                                        ; implicit-def: $vgpr15
                                        ; implicit-def: $vgpr16
	s_and_saveexec_b32 s42, s37
	s_cbranch_execz .LBB44_24
; %bb.30:                               ;   in Loop: Header=BB44_25 Depth=3
	v_lshl_add_u32 v15, v13, 2, 0
	ds_load_b32 v16, v15
	s_wait_dscnt 0x0
	v_cmp_eq_u32_e32 vcc_lo, v16, v14
	s_or_not1_b32 s41, vcc_lo, exec_lo
	s_branch .LBB44_24
.LBB44_31:
	s_or_b32 exec_lo, exec_lo, s21
.LBB44_32:
	s_delay_alu instid0(SALU_CYCLE_1)
	s_and_not1_b32 vcc_lo, exec_lo, s40
	s_cbranch_vccnz .LBB44_47
; %bb.33:
	s_wait_kmcnt 0x0
	s_ashr_i32 s21, s20, 31
	v_subrev_nc_u32_e32 v2, s11, v0
	s_lshl_b64 s[2:3], s[20:21], 2
	s_delay_alu instid0(SALU_CYCLE_1)
	s_add_nc_u64 s[2:3], s[30:31], s[2:3]
	s_load_b64 s[8:9], s[2:3], 0x0
	s_wait_xcnt 0x0
	s_mov_b32 s2, exec_lo
	s_wait_kmcnt 0x0
	v_add_nc_u32_e32 v4, s8, v2
	s_sub_co_i32 s1, s9, s11
	s_delay_alu instid0(VALU_DEP_1) | instid1(SALU_CYCLE_1)
	v_cmpx_gt_i32_e64 s1, v4
	s_cbranch_execz .LBB44_46
; %bb.34:
	s_mov_b32 s3, 0
	s_branch .LBB44_37
.LBB44_35:                              ;   in Loop: Header=BB44_37 Depth=1
	s_or_b32 exec_lo, exec_lo, s9
.LBB44_36:                              ;   in Loop: Header=BB44_37 Depth=1
	s_delay_alu instid0(SALU_CYCLE_1) | instskip(SKIP_4) | instid1(VALU_DEP_3)
	s_or_b32 exec_lo, exec_lo, s8
	s_wait_loadcnt 0x0
	v_mul_f32_e64 v9, v3, -s38
	v_mul_f32_e32 v3, s33, v3
	v_lshl_add_u32 v5, v5, 3, 0
	v_dual_fmac_f32 v9, s33, v2 :: v_dual_add_nc_u32 v4, 0x100, v4
	s_delay_alu instid0(VALU_DEP_3) | instskip(SKIP_4) | instid1(SALU_CYCLE_1)
	v_fmac_f32_e32 v3, s38, v2
	ds_add_f32 v5, v9 offset:2048
	ds_add_f32 v5, v3 offset:2052
	v_cmp_le_i32_e32 vcc_lo, s1, v4
	s_or_b32 s3, vcc_lo, s3
	s_and_not1_b32 exec_lo, exec_lo, s3
	s_cbranch_execz .LBB44_46
.LBB44_37:                              ; =>This Loop Header: Depth=1
                                        ;     Child Loop BB44_40 Depth 2
	s_clause 0x1
	global_load_b32 v5, v4, s[4:5] scale_offset
	global_load_b64 v[2:3], v4, s[6:7] scale_offset
	s_mov_b32 s8, exec_lo
	s_wait_loadcnt 0x1
	v_subrev_nc_u32_e32 v9, s11, v5
	s_delay_alu instid0(VALU_DEP_1) | instskip(NEXT) | instid1(VALU_DEP_1)
	v_mul_lo_u32 v5, 0x89, v9
	v_and_b32_e32 v5, 0x1ff, v5
	s_delay_alu instid0(VALU_DEP_1)
	v_lshl_add_u32 v10, v5, 2, 0
	ds_load_b32 v11, v10
	s_wait_dscnt 0x0
	s_wait_xcnt 0x0
	v_cmpx_ne_u32_e64 v11, v9
	s_cbranch_execz .LBB44_36
; %bb.38:                               ;   in Loop: Header=BB44_37 Depth=1
	s_mov_b32 s9, 0
	s_branch .LBB44_40
.LBB44_39:                              ;   in Loop: Header=BB44_40 Depth=2
	s_or_b32 exec_lo, exec_lo, s14
	s_delay_alu instid0(SALU_CYCLE_1) | instskip(NEXT) | instid1(SALU_CYCLE_1)
	s_and_b32 s12, exec_lo, s13
	s_or_b32 s9, s12, s9
	s_delay_alu instid0(SALU_CYCLE_1)
	s_and_not1_b32 exec_lo, exec_lo, s9
	s_cbranch_execz .LBB44_35
.LBB44_40:                              ;   Parent Loop BB44_37 Depth=1
                                        ; =>  This Inner Loop Header: Depth=2
	s_mov_b32 s12, 0
	s_mov_b32 s13, exec_lo
	v_cmpx_ne_u32_e64 s28, v11
	s_xor_b32 s13, exec_lo, s13
	s_cbranch_execz .LBB44_42
; %bb.41:                               ;   in Loop: Header=BB44_40 Depth=2
	v_add_nc_u32_e32 v5, 1, v5
	s_mov_b32 s12, exec_lo
                                        ; implicit-def: $vgpr10
	s_delay_alu instid0(VALU_DEP_1)
	v_and_b32_e32 v5, 0x1ff, v5
	s_and_not1_saveexec_b32 s13, s13
	s_cbranch_execz .LBB44_44
	s_branch .LBB44_43
.LBB44_42:                              ;   in Loop: Header=BB44_40 Depth=2
	s_and_not1_saveexec_b32 s13, s13
	s_cbranch_execz .LBB44_44
.LBB44_43:                              ;   in Loop: Header=BB44_40 Depth=2
	v_mov_b32_e32 v11, s28
	s_and_not1_b32 s12, s12, exec_lo
	ds_cmpstore_rtn_b32 v10, v10, v9, v11
	s_wait_dscnt 0x0
	v_cmp_ne_u32_e32 vcc_lo, s28, v10
	s_and_b32 s14, vcc_lo, exec_lo
	s_delay_alu instid0(SALU_CYCLE_1)
	s_or_b32 s12, s12, s14
.LBB44_44:                              ;   in Loop: Header=BB44_40 Depth=2
	s_or_b32 exec_lo, exec_lo, s13
	s_mov_b32 s13, -1
                                        ; implicit-def: $vgpr10
                                        ; implicit-def: $vgpr11
	s_and_saveexec_b32 s14, s12
	s_cbranch_execz .LBB44_39
; %bb.45:                               ;   in Loop: Header=BB44_40 Depth=2
	v_lshl_add_u32 v10, v5, 2, 0
	ds_load_b32 v11, v10
	s_wait_dscnt 0x0
	v_cmp_eq_u32_e32 vcc_lo, v11, v9
	s_or_not1_b32 s13, vcc_lo, exec_lo
	s_branch .LBB44_39
.LBB44_46:
	s_or_b32 exec_lo, exec_lo, s2
.LBB44_47:
	s_wait_dscnt 0x0
	s_barrier_signal -1
	s_barrier_wait -1
	s_and_saveexec_b32 s8, s0
	s_cbranch_execz .LBB44_68
; %bb.48:
	v_mbcnt_lo_u32_b32 v2, -1, 0
	v_mov_b32_e32 v3, 0
	v_lshl_add_u32 v8, v8, 2, 0
	v_cmp_lt_u32_e64 s0, 31, v0
	s_wait_xcnt 0x0
	v_cmp_lt_u32_e64 s1, 63, v0
	v_xor_b32_e32 v2, 31, v2
	v_cmp_lt_u32_e64 s2, 0x5f, v0
	v_cmp_lt_u32_e64 s3, 0x7f, v0
	;; [unrolled: 1-line block ×4, first 2 shown]
	v_lshrrev_b32_e64 v2, v2, -1
	v_cmp_lt_u32_e64 s6, 0xdf, v0
	v_add3_u32 v7, v7, 0, 0x800
	v_mov_b32_e32 v9, 0
	s_mov_b32 s9, 0
	v_cmp_eq_u32_e32 vcc_lo, 0xff, v0
	s_branch .LBB44_50
.LBB44_49:                              ;   in Loop: Header=BB44_50 Depth=1
	s_or_b32 exec_lo, exec_lo, s7
	s_wait_dscnt 0x0
	s_barrier_signal -1
	s_barrier_wait -1
	ds_load_b32 v4, v3 offset:6172
	v_add_co_u32 v1, s7, 0x100, v1
	s_xor_b32 s7, s7, -1
	v_add_nc_u32_e32 v7, 0x800, v7
	v_add_nc_u32_e32 v6, 0x400, v6
	s_and_b32 s7, exec_lo, s7
	s_delay_alu instid0(SALU_CYCLE_1)
	s_or_b32 s9, s7, s9
	s_wait_dscnt 0x0
	v_add_nc_u32_e32 v9, v4, v9
	s_and_not1_b32 exec_lo, exec_lo, s9
	s_cbranch_execz .LBB44_68
.LBB44_50:                              ; =>This Inner Loop Header: Depth=1
	ds_load_b32 v10, v6
	ds_load_2addr_b32 v[4:5], v7 offset1:1
	s_wait_dscnt 0x0
	s_barrier_signal -1
	s_barrier_wait -1
	v_cmp_gt_i32_e64 s7, s28, v10
	s_bcnt1_i32_b32 s11, s7
	s_delay_alu instid0(SALU_CYCLE_1) | instskip(NEXT) | instid1(VALU_DEP_1)
	v_dual_mov_b32 v12, s11 :: v_dual_bitop2_b32 v11, s7, v2 bitop3:0x40
	v_bcnt_u32_b32 v11, v11, 0
	ds_store_b32 v8, v12 offset:6144
	s_wait_dscnt 0x0
	s_barrier_signal -1
	s_barrier_wait -1
	s_and_saveexec_b32 s11, s0
	s_cbranch_execz .LBB44_59
; %bb.51:                               ;   in Loop: Header=BB44_50 Depth=1
	ds_load_b32 v12, v3 offset:6144
	s_wait_dscnt 0x0
	v_add_nc_u32_e32 v11, v12, v11
	s_or_b32 exec_lo, exec_lo, s11
	s_and_saveexec_b32 s11, s1
	s_cbranch_execnz .LBB44_60
.LBB44_52:                              ;   in Loop: Header=BB44_50 Depth=1
	s_or_b32 exec_lo, exec_lo, s11
	s_and_saveexec_b32 s11, s2
	s_cbranch_execz .LBB44_61
.LBB44_53:                              ;   in Loop: Header=BB44_50 Depth=1
	ds_load_b32 v12, v3 offset:6152
	s_wait_dscnt 0x0
	v_add_nc_u32_e32 v11, v12, v11
	s_or_b32 exec_lo, exec_lo, s11
	s_and_saveexec_b32 s11, s3
	s_cbranch_execnz .LBB44_62
.LBB44_54:                              ;   in Loop: Header=BB44_50 Depth=1
	s_or_b32 exec_lo, exec_lo, s11
	s_and_saveexec_b32 s11, s4
	s_cbranch_execz .LBB44_63
.LBB44_55:                              ;   in Loop: Header=BB44_50 Depth=1
	ds_load_b32 v12, v3 offset:6160
	s_wait_dscnt 0x0
	v_add_nc_u32_e32 v11, v12, v11
	s_or_b32 exec_lo, exec_lo, s11
	s_and_saveexec_b32 s11, s5
	s_cbranch_execnz .LBB44_64
.LBB44_56:                              ;   in Loop: Header=BB44_50 Depth=1
	s_or_b32 exec_lo, exec_lo, s11
	s_and_saveexec_b32 s11, s6
	s_cbranch_execz .LBB44_65
.LBB44_57:                              ;   in Loop: Header=BB44_50 Depth=1
	ds_load_b32 v12, v3 offset:6168
	s_wait_dscnt 0x0
	v_add_nc_u32_e32 v11, v12, v11
	s_or_b32 exec_lo, exec_lo, s11
	s_and_saveexec_b32 s11, s7
	s_cbranch_execnz .LBB44_66
.LBB44_58:                              ;   in Loop: Header=BB44_50 Depth=1
	s_or_b32 exec_lo, exec_lo, s11
	s_and_saveexec_b32 s7, vcc_lo
	s_cbranch_execz .LBB44_49
	s_branch .LBB44_67
.LBB44_59:                              ;   in Loop: Header=BB44_50 Depth=1
	s_or_b32 exec_lo, exec_lo, s11
	s_and_saveexec_b32 s11, s1
	s_cbranch_execz .LBB44_52
.LBB44_60:                              ;   in Loop: Header=BB44_50 Depth=1
	ds_load_b32 v12, v3 offset:6148
	s_wait_dscnt 0x0
	v_add_nc_u32_e32 v11, v12, v11
	s_or_b32 exec_lo, exec_lo, s11
	s_and_saveexec_b32 s11, s2
	s_cbranch_execnz .LBB44_53
.LBB44_61:                              ;   in Loop: Header=BB44_50 Depth=1
	s_or_b32 exec_lo, exec_lo, s11
	s_and_saveexec_b32 s11, s3
	s_cbranch_execz .LBB44_54
.LBB44_62:                              ;   in Loop: Header=BB44_50 Depth=1
	ds_load_b32 v12, v3 offset:6156
	s_wait_dscnt 0x0
	v_add_nc_u32_e32 v11, v12, v11
	s_or_b32 exec_lo, exec_lo, s11
	s_and_saveexec_b32 s11, s4
	s_cbranch_execnz .LBB44_55
.LBB44_63:                              ;   in Loop: Header=BB44_50 Depth=1
	s_or_b32 exec_lo, exec_lo, s11
	s_and_saveexec_b32 s11, s5
	s_cbranch_execz .LBB44_56
.LBB44_64:                              ;   in Loop: Header=BB44_50 Depth=1
	ds_load_b32 v12, v3 offset:6164
	s_wait_dscnt 0x0
	v_add_nc_u32_e32 v11, v12, v11
	s_or_b32 exec_lo, exec_lo, s11
	s_and_saveexec_b32 s11, s6
	s_cbranch_execnz .LBB44_57
.LBB44_65:                              ;   in Loop: Header=BB44_50 Depth=1
	s_or_b32 exec_lo, exec_lo, s11
	s_and_saveexec_b32 s11, s7
	s_cbranch_execz .LBB44_58
.LBB44_66:                              ;   in Loop: Header=BB44_50 Depth=1
	s_delay_alu instid0(VALU_DEP_1) | instskip(SKIP_1) | instid1(VALU_DEP_2)
	v_add3_u32 v12, v9, -1, v11
	v_add_lshl_u32 v13, v9, v11, 3
	v_lshl_add_u32 v12, v12, 2, 0
	s_delay_alu instid0(VALU_DEP_2)
	v_add3_u32 v13, 0, v13, 0x7f8
	ds_store_b32 v12, v10
	ds_store_2addr_b32 v13, v4, v5 offset1:1
	s_or_b32 exec_lo, exec_lo, s11
	s_and_saveexec_b32 s7, vcc_lo
	s_cbranch_execz .LBB44_49
.LBB44_67:                              ;   in Loop: Header=BB44_50 Depth=1
	ds_store_b32 v3, v11 offset:6172
	s_branch .LBB44_49
.LBB44_68:
	s_or_b32 exec_lo, exec_lo, s8
	s_wait_kmcnt 0x0
	s_ashr_i32 s21, s20, 31
	s_delay_alu instid0(SALU_CYCLE_1) | instskip(NEXT) | instid1(SALU_CYCLE_1)
	s_lshl_b64 s[0:1], s[20:21], 2
	s_add_nc_u64 s[2:3], s[26:27], s[0:1]
	s_load_b64 s[0:1], s[2:3], 0x0
	s_wait_kmcnt 0x0
	s_sub_co_i32 s4, s1, s0
	s_mov_b32 s1, exec_lo
	v_cmpx_gt_i32_e64 s4, v0
	s_cbranch_execz .LBB44_82
; %bb.69:
	v_sub_co_u32 v1, s1, s4, 2
	s_sub_co_i32 s2, s0, s10
	s_xor_b32 s6, s1, -1
	s_and_b32 s5, s4, -2
	v_readfirstlane_b32 s3, v1
	s_lshr_b32 s0, s3, 1
	s_mov_b32 s3, 0
	s_add_co_i32 s0, s0, 1
	s_mov_b32 s11, s3
	s_and_b32 s1, s0, 7
	s_and_b32 s7, s0, -8
	s_cmp_lg_u32 s1, 0
	v_cmp_lt_u32_e64 s0, 13, v1
	s_cselect_b32 s8, -1, 0
	s_cmp_lg_u32 s4, s5
	s_cselect_b32 s9, -1, 0
	s_lshl_b32 s10, s1, 3
	s_branch .LBB44_71
.LBB44_70:                              ;   in Loop: Header=BB44_71 Depth=1
	v_add_nc_u32_e32 v0, 0x100, v0
	s_wait_dscnt 0x0
	global_store_b64 v4, v[2:3], s[24:25] scale_offset
	v_cmp_le_i32_e32 vcc_lo, s4, v0
	s_or_b32 s11, vcc_lo, s11
	s_wait_xcnt 0x0
	s_and_not1_b32 exec_lo, exec_lo, s11
	s_cbranch_execz .LBB44_82
.LBB44_71:                              ; =>This Loop Header: Depth=1
                                        ;     Child Loop BB44_74 Depth 2
                                        ;     Child Loop BB44_77 Depth 2
	;; [unrolled: 1-line block ×3, first 2 shown]
	v_dual_mov_b32 v4, s2 :: v_dual_lshlrev_b32 v1, 2, v0
	s_and_not1_b32 vcc_lo, exec_lo, s6
	s_mov_b32 s1, 0
	s_mov_b32 s12, -1
	s_delay_alu instid0(VALU_DEP_1) | instskip(NEXT) | instid1(VALU_DEP_1)
	v_add_nc_u32_e32 v2, 0, v1
	v_add3_u32 v3, v2, v1, 0x800
	ds_load_b32 v1, v2
	ds_load_2addr_b32 v[2:3], v3 offset1:1
	s_cbranch_vccnz .LBB44_79
; %bb.72:                               ;   in Loop: Header=BB44_71 Depth=1
	v_mov_b64_e32 v[4:5], s[2:3]
	s_and_not1_b32 vcc_lo, exec_lo, s0
	s_mov_b32 s12, 0
	s_cbranch_vccnz .LBB44_75
; %bb.73:                               ;   in Loop: Header=BB44_71 Depth=1
	v_dual_mov_b32 v4, s2 :: v_dual_mov_b32 v5, 0
	s_mov_b32 s13, 0
	s_mov_b32 s14, s7
.LBB44_74:                              ;   Parent Loop BB44_71 Depth=1
                                        ; =>  This Inner Loop Header: Depth=2
	v_mov_b32_e32 v20, s13
	s_add_co_i32 s14, s14, -8
	s_add_co_i32 s12, s12, 16
	s_add_co_i32 s13, s13, 64
	s_cmp_lg_u32 s14, 0
	ds_load_2addr_b32 v[6:7], v20 offset1:1
	ds_load_2addr_b32 v[8:9], v20 offset0:2 offset1:3
	ds_load_2addr_b32 v[10:11], v20 offset0:4 offset1:5
	;; [unrolled: 1-line block ×7, first 2 shown]
	s_wait_dscnt 0x7
	v_cmp_gt_i32_e32 vcc_lo, v1, v7
	s_wait_dscnt 0x5
	v_cmp_gt_i32_e64 s1, v1, v10
	v_cndmask_b32_e64 v7, 0, 1, vcc_lo
	v_cmp_gt_i32_e32 vcc_lo, v1, v6
	v_cndmask_b32_e64 v6, 0, 1, vcc_lo
	v_cmp_gt_i32_e32 vcc_lo, v1, v8
	v_cndmask_b32_e64 v8, 0, 1, s1
	v_cmp_gt_i32_e64 s1, v1, v11
	s_delay_alu instid0(VALU_DEP_4) | instskip(NEXT) | instid1(VALU_DEP_2)
	v_add_co_ci_u32_e64 v4, null, v4, v6, vcc_lo
	v_cndmask_b32_e64 v10, 0, 1, s1
	s_wait_dscnt 0x4
	v_cmp_gt_i32_e64 s1, v1, v13
	s_wait_dscnt 0x2
	v_cmp_gt_i32_e32 vcc_lo, v1, v16
	s_delay_alu instid0(VALU_DEP_2) | instskip(SKIP_4) | instid1(VALU_DEP_3)
	v_cndmask_b32_e64 v11, 0, 1, s1
	v_cmp_gt_i32_e64 s1, v1, v12
	v_add_co_ci_u32_e64 v4, null, v4, v8, vcc_lo
	s_wait_dscnt 0x1
	v_cmp_gt_i32_e32 vcc_lo, v1, v18
	v_cndmask_b32_e64 v12, 0, 1, s1
	v_cmp_gt_i32_e64 s1, v1, v14
	s_delay_alu instid0(VALU_DEP_2) | instskip(NEXT) | instid1(VALU_DEP_2)
	v_add_co_ci_u32_e64 v4, null, v4, v12, vcc_lo
	v_cndmask_b32_e64 v13, 0, 1, s1
	v_cmp_gt_i32_e64 s1, v1, v15
	s_wait_dscnt 0x0
	v_cmp_gt_i32_e32 vcc_lo, v1, v20
	s_delay_alu instid0(VALU_DEP_2) | instskip(SKIP_2) | instid1(VALU_DEP_2)
	v_cndmask_b32_e64 v14, 0, 1, s1
	v_cmp_gt_i32_e64 s1, v1, v9
	v_add_co_ci_u32_e64 v4, null, v4, v13, vcc_lo
	v_add_co_ci_u32_e64 v5, null, v5, v7, s1
	v_cmp_gt_i32_e64 s1, v1, v17
	s_delay_alu instid0(VALU_DEP_1) | instskip(SKIP_1) | instid1(VALU_DEP_1)
	v_add_co_ci_u32_e64 v5, null, v5, v10, s1
	v_cmp_gt_i32_e64 s1, v1, v19
	v_add_co_ci_u32_e64 v5, null, v5, v11, s1
	v_cmp_gt_i32_e64 s1, v1, v21
	s_delay_alu instid0(VALU_DEP_1)
	v_add_co_ci_u32_e64 v5, null, v5, v14, s1
	s_cbranch_scc1 .LBB44_74
.LBB44_75:                              ;   in Loop: Header=BB44_71 Depth=1
	s_and_not1_b32 vcc_lo, exec_lo, s8
	s_cbranch_vccnz .LBB44_78
; %bb.76:                               ;   in Loop: Header=BB44_71 Depth=1
	s_lshl_b32 s1, s12, 2
	s_mov_b32 s12, s10
	s_add_co_i32 s1, s1, 0
.LBB44_77:                              ;   Parent Loop BB44_71 Depth=1
                                        ; =>  This Inner Loop Header: Depth=2
	s_delay_alu instid0(SALU_CYCLE_1)
	v_mov_b32_e32 v6, s1
	s_add_co_i32 s12, s12, -8
	s_add_co_i32 s1, s1, 8
	s_cmp_lg_u32 s12, 0
	ds_load_2addr_b32 v[6:7], v6 offset1:1
	s_wait_dscnt 0x0
	v_cmp_gt_i32_e32 vcc_lo, v1, v7
	v_add_co_ci_u32_e64 v5, null, 0, v5, vcc_lo
	v_cmp_gt_i32_e32 vcc_lo, v1, v6
	v_add_co_ci_u32_e64 v4, null, 0, v4, vcc_lo
	s_cbranch_scc1 .LBB44_77
.LBB44_78:                              ;   in Loop: Header=BB44_71 Depth=1
	s_delay_alu instid0(VALU_DEP_1)
	v_add_nc_u32_e32 v4, v4, v5
	s_mov_b32 s1, s5
	s_mov_b32 s12, s9
.LBB44_79:                              ;   in Loop: Header=BB44_71 Depth=1
	s_delay_alu instid0(SALU_CYCLE_1)
	s_and_b32 vcc_lo, exec_lo, s12
	s_cbranch_vccz .LBB44_70
; %bb.80:                               ;   in Loop: Header=BB44_71 Depth=1
	s_lshl_b32 s12, s1, 2
	s_delay_alu instid0(SALU_CYCLE_1)
	s_add_co_i32 s12, s12, 0
.LBB44_81:                              ;   Parent Loop BB44_71 Depth=1
                                        ; =>  This Inner Loop Header: Depth=2
	s_delay_alu instid0(SALU_CYCLE_1)
	v_mov_b32_e32 v5, s12
	s_add_co_i32 s1, s1, 1
	s_add_co_i32 s12, s12, 4
	s_cmp_ge_i32 s1, s4
	ds_load_b32 v5, v5
	s_wait_dscnt 0x0
	v_cmp_gt_i32_e32 vcc_lo, v1, v5
	v_add_co_ci_u32_e64 v4, null, 0, v4, vcc_lo
	s_cbranch_scc0 .LBB44_81
	s_branch .LBB44_70
.LBB44_82:
	s_endpgm
	.section	.rodata,"a",@progbits
	.p2align	6, 0x0
	.amdhsa_kernel _ZN9rocsparseL41csrgemm_numeric_fill_block_per_row_kernelILj256ELj32ELj512ELj137ELj32Eii21rocsparse_complex_numIfEEEvT5_PKS3_S5_NS_24const_host_device_scalarIT6_EEPKT4_S5_PKS7_SB_S5_SD_S8_SB_S5_SD_SB_S5_PS7_21rocsparse_index_base_SF_SF_SF_bbb
		.amdhsa_group_segment_fixed_size 0
		.amdhsa_private_segment_fixed_size 0
		.amdhsa_kernarg_size 156
		.amdhsa_user_sgpr_count 2
		.amdhsa_user_sgpr_dispatch_ptr 0
		.amdhsa_user_sgpr_queue_ptr 0
		.amdhsa_user_sgpr_kernarg_segment_ptr 1
		.amdhsa_user_sgpr_dispatch_id 0
		.amdhsa_user_sgpr_kernarg_preload_length 0
		.amdhsa_user_sgpr_kernarg_preload_offset 0
		.amdhsa_user_sgpr_private_segment_size 0
		.amdhsa_wavefront_size32 1
		.amdhsa_uses_dynamic_stack 0
		.amdhsa_enable_private_segment 0
		.amdhsa_system_sgpr_workgroup_id_x 1
		.amdhsa_system_sgpr_workgroup_id_y 0
		.amdhsa_system_sgpr_workgroup_id_z 0
		.amdhsa_system_sgpr_workgroup_info 0
		.amdhsa_system_vgpr_workitem_id 0
		.amdhsa_next_free_vgpr 22
		.amdhsa_next_free_sgpr 43
		.amdhsa_named_barrier_count 0
		.amdhsa_reserve_vcc 1
		.amdhsa_float_round_mode_32 0
		.amdhsa_float_round_mode_16_64 0
		.amdhsa_float_denorm_mode_32 3
		.amdhsa_float_denorm_mode_16_64 3
		.amdhsa_fp16_overflow 0
		.amdhsa_memory_ordered 1
		.amdhsa_forward_progress 1
		.amdhsa_inst_pref_size 25
		.amdhsa_round_robin_scheduling 0
		.amdhsa_exception_fp_ieee_invalid_op 0
		.amdhsa_exception_fp_denorm_src 0
		.amdhsa_exception_fp_ieee_div_zero 0
		.amdhsa_exception_fp_ieee_overflow 0
		.amdhsa_exception_fp_ieee_underflow 0
		.amdhsa_exception_fp_ieee_inexact 0
		.amdhsa_exception_int_div_zero 0
	.end_amdhsa_kernel
	.section	.text._ZN9rocsparseL41csrgemm_numeric_fill_block_per_row_kernelILj256ELj32ELj512ELj137ELj32Eii21rocsparse_complex_numIfEEEvT5_PKS3_S5_NS_24const_host_device_scalarIT6_EEPKT4_S5_PKS7_SB_S5_SD_S8_SB_S5_SD_SB_S5_PS7_21rocsparse_index_base_SF_SF_SF_bbb,"axG",@progbits,_ZN9rocsparseL41csrgemm_numeric_fill_block_per_row_kernelILj256ELj32ELj512ELj137ELj32Eii21rocsparse_complex_numIfEEEvT5_PKS3_S5_NS_24const_host_device_scalarIT6_EEPKT4_S5_PKS7_SB_S5_SD_S8_SB_S5_SD_SB_S5_PS7_21rocsparse_index_base_SF_SF_SF_bbb,comdat
.Lfunc_end44:
	.size	_ZN9rocsparseL41csrgemm_numeric_fill_block_per_row_kernelILj256ELj32ELj512ELj137ELj32Eii21rocsparse_complex_numIfEEEvT5_PKS3_S5_NS_24const_host_device_scalarIT6_EEPKT4_S5_PKS7_SB_S5_SD_S8_SB_S5_SD_SB_S5_PS7_21rocsparse_index_base_SF_SF_SF_bbb, .Lfunc_end44-_ZN9rocsparseL41csrgemm_numeric_fill_block_per_row_kernelILj256ELj32ELj512ELj137ELj32Eii21rocsparse_complex_numIfEEEvT5_PKS3_S5_NS_24const_host_device_scalarIT6_EEPKT4_S5_PKS7_SB_S5_SD_S8_SB_S5_SD_SB_S5_PS7_21rocsparse_index_base_SF_SF_SF_bbb
                                        ; -- End function
	.set _ZN9rocsparseL41csrgemm_numeric_fill_block_per_row_kernelILj256ELj32ELj512ELj137ELj32Eii21rocsparse_complex_numIfEEEvT5_PKS3_S5_NS_24const_host_device_scalarIT6_EEPKT4_S5_PKS7_SB_S5_SD_S8_SB_S5_SD_SB_S5_PS7_21rocsparse_index_base_SF_SF_SF_bbb.num_vgpr, 22
	.set _ZN9rocsparseL41csrgemm_numeric_fill_block_per_row_kernelILj256ELj32ELj512ELj137ELj32Eii21rocsparse_complex_numIfEEEvT5_PKS3_S5_NS_24const_host_device_scalarIT6_EEPKT4_S5_PKS7_SB_S5_SD_S8_SB_S5_SD_SB_S5_PS7_21rocsparse_index_base_SF_SF_SF_bbb.num_agpr, 0
	.set _ZN9rocsparseL41csrgemm_numeric_fill_block_per_row_kernelILj256ELj32ELj512ELj137ELj32Eii21rocsparse_complex_numIfEEEvT5_PKS3_S5_NS_24const_host_device_scalarIT6_EEPKT4_S5_PKS7_SB_S5_SD_S8_SB_S5_SD_SB_S5_PS7_21rocsparse_index_base_SF_SF_SF_bbb.numbered_sgpr, 43
	.set _ZN9rocsparseL41csrgemm_numeric_fill_block_per_row_kernelILj256ELj32ELj512ELj137ELj32Eii21rocsparse_complex_numIfEEEvT5_PKS3_S5_NS_24const_host_device_scalarIT6_EEPKT4_S5_PKS7_SB_S5_SD_S8_SB_S5_SD_SB_S5_PS7_21rocsparse_index_base_SF_SF_SF_bbb.num_named_barrier, 0
	.set _ZN9rocsparseL41csrgemm_numeric_fill_block_per_row_kernelILj256ELj32ELj512ELj137ELj32Eii21rocsparse_complex_numIfEEEvT5_PKS3_S5_NS_24const_host_device_scalarIT6_EEPKT4_S5_PKS7_SB_S5_SD_S8_SB_S5_SD_SB_S5_PS7_21rocsparse_index_base_SF_SF_SF_bbb.private_seg_size, 0
	.set _ZN9rocsparseL41csrgemm_numeric_fill_block_per_row_kernelILj256ELj32ELj512ELj137ELj32Eii21rocsparse_complex_numIfEEEvT5_PKS3_S5_NS_24const_host_device_scalarIT6_EEPKT4_S5_PKS7_SB_S5_SD_S8_SB_S5_SD_SB_S5_PS7_21rocsparse_index_base_SF_SF_SF_bbb.uses_vcc, 1
	.set _ZN9rocsparseL41csrgemm_numeric_fill_block_per_row_kernelILj256ELj32ELj512ELj137ELj32Eii21rocsparse_complex_numIfEEEvT5_PKS3_S5_NS_24const_host_device_scalarIT6_EEPKT4_S5_PKS7_SB_S5_SD_S8_SB_S5_SD_SB_S5_PS7_21rocsparse_index_base_SF_SF_SF_bbb.uses_flat_scratch, 0
	.set _ZN9rocsparseL41csrgemm_numeric_fill_block_per_row_kernelILj256ELj32ELj512ELj137ELj32Eii21rocsparse_complex_numIfEEEvT5_PKS3_S5_NS_24const_host_device_scalarIT6_EEPKT4_S5_PKS7_SB_S5_SD_S8_SB_S5_SD_SB_S5_PS7_21rocsparse_index_base_SF_SF_SF_bbb.has_dyn_sized_stack, 0
	.set _ZN9rocsparseL41csrgemm_numeric_fill_block_per_row_kernelILj256ELj32ELj512ELj137ELj32Eii21rocsparse_complex_numIfEEEvT5_PKS3_S5_NS_24const_host_device_scalarIT6_EEPKT4_S5_PKS7_SB_S5_SD_S8_SB_S5_SD_SB_S5_PS7_21rocsparse_index_base_SF_SF_SF_bbb.has_recursion, 0
	.set _ZN9rocsparseL41csrgemm_numeric_fill_block_per_row_kernelILj256ELj32ELj512ELj137ELj32Eii21rocsparse_complex_numIfEEEvT5_PKS3_S5_NS_24const_host_device_scalarIT6_EEPKT4_S5_PKS7_SB_S5_SD_S8_SB_S5_SD_SB_S5_PS7_21rocsparse_index_base_SF_SF_SF_bbb.has_indirect_call, 0
	.section	.AMDGPU.csdata,"",@progbits
; Kernel info:
; codeLenInByte = 3188
; TotalNumSgprs: 45
; NumVgprs: 22
; ScratchSize: 0
; MemoryBound: 0
; FloatMode: 240
; IeeeMode: 1
; LDSByteSize: 0 bytes/workgroup (compile time only)
; SGPRBlocks: 0
; VGPRBlocks: 1
; NumSGPRsForWavesPerEU: 45
; NumVGPRsForWavesPerEU: 22
; NamedBarCnt: 0
; Occupancy: 16
; WaveLimiterHint : 1
; COMPUTE_PGM_RSRC2:SCRATCH_EN: 0
; COMPUTE_PGM_RSRC2:USER_SGPR: 2
; COMPUTE_PGM_RSRC2:TRAP_HANDLER: 0
; COMPUTE_PGM_RSRC2:TGID_X_EN: 1
; COMPUTE_PGM_RSRC2:TGID_Y_EN: 0
; COMPUTE_PGM_RSRC2:TGID_Z_EN: 0
; COMPUTE_PGM_RSRC2:TIDIG_COMP_CNT: 0
	.section	.text._ZN9rocsparseL41csrgemm_numeric_fill_block_per_row_kernelILj256ELj32ELj512ELj137ELj64Eii21rocsparse_complex_numIfEEEvT5_PKS3_S5_NS_24const_host_device_scalarIT6_EEPKT4_S5_PKS7_SB_S5_SD_S8_SB_S5_SD_SB_S5_PS7_21rocsparse_index_base_SF_SF_SF_bbb,"axG",@progbits,_ZN9rocsparseL41csrgemm_numeric_fill_block_per_row_kernelILj256ELj32ELj512ELj137ELj64Eii21rocsparse_complex_numIfEEEvT5_PKS3_S5_NS_24const_host_device_scalarIT6_EEPKT4_S5_PKS7_SB_S5_SD_S8_SB_S5_SD_SB_S5_PS7_21rocsparse_index_base_SF_SF_SF_bbb,comdat
	.globl	_ZN9rocsparseL41csrgemm_numeric_fill_block_per_row_kernelILj256ELj32ELj512ELj137ELj64Eii21rocsparse_complex_numIfEEEvT5_PKS3_S5_NS_24const_host_device_scalarIT6_EEPKT4_S5_PKS7_SB_S5_SD_S8_SB_S5_SD_SB_S5_PS7_21rocsparse_index_base_SF_SF_SF_bbb ; -- Begin function _ZN9rocsparseL41csrgemm_numeric_fill_block_per_row_kernelILj256ELj32ELj512ELj137ELj64Eii21rocsparse_complex_numIfEEEvT5_PKS3_S5_NS_24const_host_device_scalarIT6_EEPKT4_S5_PKS7_SB_S5_SD_S8_SB_S5_SD_SB_S5_PS7_21rocsparse_index_base_SF_SF_SF_bbb
	.p2align	8
	.type	_ZN9rocsparseL41csrgemm_numeric_fill_block_per_row_kernelILj256ELj32ELj512ELj137ELj64Eii21rocsparse_complex_numIfEEEvT5_PKS3_S5_NS_24const_host_device_scalarIT6_EEPKT4_S5_PKS7_SB_S5_SD_S8_SB_S5_SD_SB_S5_PS7_21rocsparse_index_base_SF_SF_SF_bbb,@function
_ZN9rocsparseL41csrgemm_numeric_fill_block_per_row_kernelILj256ELj32ELj512ELj137ELj64Eii21rocsparse_complex_numIfEEEvT5_PKS3_S5_NS_24const_host_device_scalarIT6_EEPKT4_S5_PKS7_SB_S5_SD_S8_SB_S5_SD_SB_S5_PS7_21rocsparse_index_base_SF_SF_SF_bbb: ; @_ZN9rocsparseL41csrgemm_numeric_fill_block_per_row_kernelILj256ELj32ELj512ELj137ELj64Eii21rocsparse_complex_numIfEEEvT5_PKS3_S5_NS_24const_host_device_scalarIT6_EEPKT4_S5_PKS7_SB_S5_SD_S8_SB_S5_SD_SB_S5_PS7_21rocsparse_index_base_SF_SF_SF_bbb
; %bb.0:
	s_clause 0x7
	s_load_b32 s33, s[0:1], 0x98
	s_load_b128 s[4:7], s[0:1], 0x88
	s_load_b64 s[24:25], s[0:1], 0x80
	s_load_b128 s[8:11], s[0:1], 0x60
	s_load_b128 s[20:23], s[0:1], 0x8
	s_load_b64 s[2:3], s[0:1], 0x28
	s_load_b128 s[12:15], s[0:1], 0x40
	s_load_b64 s[36:37], s[0:1], 0x50
	s_mov_b32 s29, 0
	s_mov_b32 s39, 0
	s_wait_kmcnt 0x0
	s_bitcmp1_b32 s33, 0
	s_cselect_b32 s41, -1, 0
	s_bitcmp1_b32 s33, 16
	s_cselect_b32 s16, -1, 0
	s_delay_alu instid0(SALU_CYCLE_1) | instskip(SKIP_2) | instid1(VALU_DEP_1)
	s_xor_b32 s16, s16, -1
	s_bitcmp0_b32 s33, 0
	v_cndmask_b32_e64 v1, 0, 1, s16
	v_cmp_ne_u32_e32 vcc_lo, 1, v1
	s_cbranch_scc1 .LBB45_5
; %bb.1:
	s_load_b64 s[28:29], s[0:1], 0x18
	s_and_b32 vcc_lo, exec_lo, vcc_lo
	s_wait_kmcnt 0x0
	s_mov_b32 s39, s28
	s_cbranch_vccnz .LBB45_3
; %bb.2:
	s_load_b32 s39, s[28:29], 0x0
.LBB45_3:
	s_and_not1_b32 vcc_lo, exec_lo, s16
	s_cbranch_vccnz .LBB45_5
; %bb.4:
	s_wait_xcnt 0x0
	s_load_b32 s29, s[28:29], 0x4
.LBB45_5:
	s_clause 0x3
	s_load_b64 s[26:27], s[0:1], 0x70
	s_load_b64 s[30:31], s[0:1], 0x58
	s_load_b64 s[34:35], s[0:1], 0x20
	s_load_b128 s[16:19], s[0:1], 0x30
	s_bitcmp1_b32 s33, 8
	s_mov_b32 s38, 0
	s_cselect_b32 s40, -1, 0
	s_wait_xcnt 0x0
	s_bfe_u32 s28, s33, 0x10008
	s_mov_b32 s33, 0
	s_cmp_eq_u32 s28, 0
	s_cbranch_scc1 .LBB45_11
; %bb.6:
	v_cmp_ne_u32_e32 vcc_lo, 1, v1
	s_mov_b32 s33, s36
	s_cbranch_vccnz .LBB45_8
; %bb.7:
	s_load_b32 s33, s[36:37], 0x0
.LBB45_8:
	v_cmp_ne_u32_e32 vcc_lo, 1, v1
	s_cbranch_vccnz .LBB45_10
; %bb.9:
	s_wait_xcnt 0x0
	s_load_b32 s37, s[36:37], 0x4
.LBB45_10:
	s_wait_kmcnt 0x0
	s_mov_b32 s38, s37
.LBB45_11:
	s_load_b32 s28, s[0:1], 0x0
	s_wait_xcnt 0x0
	v_cmp_gt_u32_e64 s0, 0x200, v0
	v_lshlrev_b32_e32 v7, 3, v0
	v_or_b32_e32 v1, 0xffffff00, v0
	v_lshl_add_u32 v6, v0, 2, 0
	s_and_saveexec_b32 s1, s0
	s_cbranch_execz .LBB45_14
; %bb.12:
	v_add3_u32 v2, v7, 0, 0x800
	v_or_b32_e32 v3, 0xffffff00, v0
	v_lshl_add_u32 v4, v0, 2, 0
	s_wait_kmcnt 0x0
	v_dual_mov_b32 v5, s28 :: v_dual_mov_b32 v8, 0
	s_mov_b32 s36, 0
.LBB45_13:                              ; =>This Inner Loop Header: Depth=1
	v_add_co_u32 v3, s37, 0x100, v3
	s_xor_b32 s37, s37, -1
	ds_store_b32 v4, v5
	ds_store_2addr_b32 v2, v8, v8 offset1:1
	v_add_nc_u32_e32 v2, 0x800, v2
	v_add_nc_u32_e32 v4, 0x400, v4
	s_and_b32 s37, exec_lo, s37
	s_delay_alu instid0(SALU_CYCLE_1) | instskip(NEXT) | instid1(SALU_CYCLE_1)
	s_or_b32 s36, s37, s36
	s_and_not1_b32 exec_lo, exec_lo, s36
	s_cbranch_execnz .LBB45_13
.LBB45_14:
	s_or_b32 exec_lo, exec_lo, s1
	s_wait_dscnt 0x0
	s_barrier_signal -1
	s_barrier_wait -1
	s_load_b32 s1, s[20:21], 0x0
	s_wait_xcnt 0x0
	s_bfe_u32 s20, ttmp6, 0x4000c
	s_and_b32 s21, ttmp6, 15
	s_add_co_i32 s20, s20, 1
	s_getreg_b32 s36, hwreg(HW_REG_IB_STS2, 6, 4)
	s_mul_i32 s20, ttmp9, s20
	s_delay_alu instid0(SALU_CYCLE_1)
	s_add_co_i32 s21, s21, s20
	s_cmp_eq_u32 s36, 0
	s_cselect_b32 s20, ttmp9, s21
	s_and_b32 vcc_lo, exec_lo, s41
	s_wait_kmcnt 0x0
	s_add_co_i32 s1, s1, s20
	s_load_b32 s20, s[22:23], s1 offset:0x0 scale_offset
	s_cbranch_vccz .LBB45_32
; %bb.15:
	s_wait_kmcnt 0x0
	s_ashr_i32 s21, s20, 31
	v_lshrrev_b32_e32 v2, 5, v0
	s_lshl_b64 s[22:23], s[20:21], 2
	s_mov_b32 s21, exec_lo
	s_add_nc_u64 s[22:23], s[34:35], s[22:23]
	s_delay_alu instid0(VALU_DEP_1) | instskip(SKIP_2) | instid1(VALU_DEP_1)
	v_subrev_nc_u32_e32 v2, s4, v2
	s_load_b64 s[34:35], s[22:23], 0x0
	s_wait_kmcnt 0x0
	v_add_nc_u32_e32 v2, s34, v2
	s_sub_co_i32 s1, s35, s4
	s_delay_alu instid0(VALU_DEP_1) | instid1(SALU_CYCLE_1)
	v_cmpx_gt_i32_e64 s1, v2
	s_cbranch_execz .LBB45_31
; %bb.16:
	v_and_b32_e32 v3, 31, v0
	s_mov_b32 s22, 0
	s_delay_alu instid0(VALU_DEP_1)
	v_subrev_nc_u32_e32 v8, s5, v3
	s_branch .LBB45_18
.LBB45_17:                              ;   in Loop: Header=BB45_18 Depth=1
	s_or_b32 exec_lo, exec_lo, s23
	v_add_nc_u32_e32 v2, 8, v2
	s_delay_alu instid0(VALU_DEP_1) | instskip(SKIP_1) | instid1(SALU_CYCLE_1)
	v_cmp_le_i32_e32 vcc_lo, s1, v2
	s_or_b32 s22, vcc_lo, s22
	s_and_not1_b32 exec_lo, exec_lo, s22
	s_cbranch_execz .LBB45_31
.LBB45_18:                              ; =>This Loop Header: Depth=1
                                        ;     Child Loop BB45_22 Depth 2
                                        ;       Child Loop BB45_25 Depth 3
	global_load_b32 v3, v2, s[2:3] scale_offset
	s_mov_b32 s23, exec_lo
	s_wait_loadcnt 0x0
	v_subrev_nc_u32_e32 v4, s4, v3
	s_delay_alu instid0(VALU_DEP_1) | instskip(NEXT) | instid1(VALU_DEP_1)
	v_ashrrev_i32_e32 v5, 31, v4
	v_lshl_add_u64 v[4:5], v[4:5], 2, s[18:19]
	global_load_b64 v[4:5], v[4:5], off
	s_wait_loadcnt 0x0
	v_subrev_nc_u32_e32 v9, s5, v5
	v_add_nc_u32_e32 v10, v4, v8
	s_wait_xcnt 0x0
	s_delay_alu instid0(VALU_DEP_1)
	v_cmpx_lt_i32_e64 v10, v9
	s_cbranch_execz .LBB45_17
; %bb.19:                               ;   in Loop: Header=BB45_18 Depth=1
	v_ashrrev_i32_e32 v3, 31, v2
	s_mov_b32 s34, 0
	s_delay_alu instid0(VALU_DEP_1) | instskip(SKIP_3) | instid1(VALU_DEP_1)
	v_lshl_add_u64 v[4:5], v[2:3], 3, s[16:17]
	global_load_b64 v[4:5], v[4:5], off
	s_wait_loadcnt 0x0
	v_mul_f32_e64 v3, v5, -s29
	v_dual_mul_f32 v11, s39, v5 :: v_dual_fmac_f32 v3, s39, v4
	s_delay_alu instid0(VALU_DEP_1)
	v_fmac_f32_e32 v11, s29, v4
	s_branch .LBB45_22
.LBB45_20:                              ;   in Loop: Header=BB45_22 Depth=2
	s_or_b32 exec_lo, exec_lo, s36
.LBB45_21:                              ;   in Loop: Header=BB45_22 Depth=2
	s_delay_alu instid0(SALU_CYCLE_1) | instskip(SKIP_3) | instid1(VALU_DEP_2)
	s_or_b32 exec_lo, exec_lo, s35
	s_wait_loadcnt 0x0
	v_dual_mul_f32 v13, v5, -v11 :: v_dual_mul_f32 v5, v3, v5
	v_lshl_add_u32 v12, v12, 3, 0
	v_dual_fmac_f32 v13, v3, v4 :: v_dual_add_nc_u32 v10, 32, v10
	s_delay_alu instid0(VALU_DEP_3) | instskip(SKIP_4) | instid1(SALU_CYCLE_1)
	v_fmac_f32_e32 v5, v11, v4
	ds_add_f32 v12, v13 offset:2048
	ds_add_f32 v12, v5 offset:2052
	v_cmp_ge_i32_e32 vcc_lo, v10, v9
	s_or_b32 s34, vcc_lo, s34
	s_and_not1_b32 exec_lo, exec_lo, s34
	s_cbranch_execz .LBB45_17
.LBB45_22:                              ;   Parent Loop BB45_18 Depth=1
                                        ; =>  This Loop Header: Depth=2
                                        ;       Child Loop BB45_25 Depth 3
	s_clause 0x1
	global_load_b32 v12, v10, s[12:13] scale_offset
	global_load_b64 v[4:5], v10, s[14:15] scale_offset
	s_mov_b32 s35, exec_lo
	s_wait_loadcnt 0x1
	v_subrev_nc_u32_e32 v13, s5, v12
	s_delay_alu instid0(VALU_DEP_1) | instskip(NEXT) | instid1(VALU_DEP_1)
	v_mul_lo_u32 v12, 0x89, v13
	v_and_b32_e32 v12, 0x1ff, v12
	s_delay_alu instid0(VALU_DEP_1)
	v_lshl_add_u32 v14, v12, 2, 0
	ds_load_b32 v15, v14
	s_wait_dscnt 0x0
	s_wait_xcnt 0x0
	v_cmpx_ne_u32_e64 v15, v13
	s_cbranch_execz .LBB45_21
; %bb.23:                               ;   in Loop: Header=BB45_22 Depth=2
	s_mov_b32 s36, 0
	s_branch .LBB45_25
.LBB45_24:                              ;   in Loop: Header=BB45_25 Depth=3
	s_or_b32 exec_lo, exec_lo, s42
	s_delay_alu instid0(SALU_CYCLE_1) | instskip(NEXT) | instid1(SALU_CYCLE_1)
	s_and_b32 s37, exec_lo, s41
	s_or_b32 s36, s37, s36
	s_delay_alu instid0(SALU_CYCLE_1)
	s_and_not1_b32 exec_lo, exec_lo, s36
	s_cbranch_execz .LBB45_20
.LBB45_25:                              ;   Parent Loop BB45_18 Depth=1
                                        ;     Parent Loop BB45_22 Depth=2
                                        ; =>    This Inner Loop Header: Depth=3
	s_mov_b32 s37, 0
	s_mov_b32 s41, exec_lo
	v_cmpx_ne_u32_e64 s28, v15
	s_xor_b32 s41, exec_lo, s41
	s_cbranch_execz .LBB45_27
; %bb.26:                               ;   in Loop: Header=BB45_25 Depth=3
	v_add_nc_u32_e32 v12, 1, v12
	s_mov_b32 s37, exec_lo
                                        ; implicit-def: $vgpr14
	s_delay_alu instid0(VALU_DEP_1)
	v_and_b32_e32 v12, 0x1ff, v12
	s_and_not1_saveexec_b32 s41, s41
	s_cbranch_execz .LBB45_29
	s_branch .LBB45_28
.LBB45_27:                              ;   in Loop: Header=BB45_25 Depth=3
	s_and_not1_saveexec_b32 s41, s41
	s_cbranch_execz .LBB45_29
.LBB45_28:                              ;   in Loop: Header=BB45_25 Depth=3
	v_mov_b32_e32 v15, s28
	s_and_not1_b32 s37, s37, exec_lo
	ds_cmpstore_rtn_b32 v14, v14, v13, v15
	s_wait_dscnt 0x0
	v_cmp_ne_u32_e32 vcc_lo, s28, v14
	s_and_b32 s42, vcc_lo, exec_lo
	s_delay_alu instid0(SALU_CYCLE_1)
	s_or_b32 s37, s37, s42
.LBB45_29:                              ;   in Loop: Header=BB45_25 Depth=3
	s_or_b32 exec_lo, exec_lo, s41
	s_mov_b32 s41, -1
                                        ; implicit-def: $vgpr14
                                        ; implicit-def: $vgpr15
	s_and_saveexec_b32 s42, s37
	s_cbranch_execz .LBB45_24
; %bb.30:                               ;   in Loop: Header=BB45_25 Depth=3
	v_lshl_add_u32 v14, v12, 2, 0
	ds_load_b32 v15, v14
	s_wait_dscnt 0x0
	v_cmp_eq_u32_e32 vcc_lo, v15, v13
	s_or_not1_b32 s41, vcc_lo, exec_lo
	s_branch .LBB45_24
.LBB45_31:
	s_or_b32 exec_lo, exec_lo, s21
.LBB45_32:
	s_delay_alu instid0(SALU_CYCLE_1)
	s_and_not1_b32 vcc_lo, exec_lo, s40
	s_cbranch_vccnz .LBB45_47
; %bb.33:
	s_wait_kmcnt 0x0
	s_ashr_i32 s21, s20, 31
	v_subrev_nc_u32_e32 v2, s7, v0
	s_lshl_b64 s[2:3], s[20:21], 2
	s_delay_alu instid0(SALU_CYCLE_1)
	s_add_nc_u64 s[2:3], s[30:31], s[2:3]
	s_load_b64 s[4:5], s[2:3], 0x0
	s_wait_xcnt 0x0
	s_mov_b32 s2, exec_lo
	s_wait_kmcnt 0x0
	v_add_nc_u32_e32 v4, s4, v2
	s_sub_co_i32 s1, s5, s7
	s_delay_alu instid0(VALU_DEP_1) | instid1(SALU_CYCLE_1)
	v_cmpx_gt_i32_e64 s1, v4
	s_cbranch_execz .LBB45_46
; %bb.34:
	s_mov_b32 s3, 0
	s_branch .LBB45_37
.LBB45_35:                              ;   in Loop: Header=BB45_37 Depth=1
	s_or_b32 exec_lo, exec_lo, s5
.LBB45_36:                              ;   in Loop: Header=BB45_37 Depth=1
	s_delay_alu instid0(SALU_CYCLE_1)
	s_or_b32 exec_lo, exec_lo, s4
	s_wait_loadcnt 0x0
	v_mul_f32_e64 v8, v3, -s38
	v_mul_f32_e32 v3, s33, v3
	v_lshl_add_u32 v5, v5, 3, 0
	v_add_nc_u32_e32 v4, 0x100, v4
	s_delay_alu instid0(VALU_DEP_3) | instskip(SKIP_4) | instid1(SALU_CYCLE_1)
	v_dual_fmac_f32 v8, s33, v2 :: v_dual_fmac_f32 v3, s38, v2
	ds_add_f32 v5, v8 offset:2048
	ds_add_f32 v5, v3 offset:2052
	v_cmp_le_i32_e32 vcc_lo, s1, v4
	s_or_b32 s3, vcc_lo, s3
	s_and_not1_b32 exec_lo, exec_lo, s3
	s_cbranch_execz .LBB45_46
.LBB45_37:                              ; =>This Loop Header: Depth=1
                                        ;     Child Loop BB45_40 Depth 2
	s_clause 0x1
	global_load_b32 v5, v4, s[8:9] scale_offset
	global_load_b64 v[2:3], v4, s[10:11] scale_offset
	s_mov_b32 s4, exec_lo
	s_wait_loadcnt 0x1
	v_subrev_nc_u32_e32 v8, s7, v5
	s_delay_alu instid0(VALU_DEP_1) | instskip(NEXT) | instid1(VALU_DEP_1)
	v_mul_lo_u32 v5, 0x89, v8
	v_and_b32_e32 v5, 0x1ff, v5
	s_delay_alu instid0(VALU_DEP_1)
	v_lshl_add_u32 v9, v5, 2, 0
	ds_load_b32 v10, v9
	s_wait_dscnt 0x0
	s_wait_xcnt 0x0
	v_cmpx_ne_u32_e64 v10, v8
	s_cbranch_execz .LBB45_36
; %bb.38:                               ;   in Loop: Header=BB45_37 Depth=1
	s_mov_b32 s5, 0
	s_branch .LBB45_40
.LBB45_39:                              ;   in Loop: Header=BB45_40 Depth=2
	s_or_b32 exec_lo, exec_lo, s14
	s_delay_alu instid0(SALU_CYCLE_1) | instskip(NEXT) | instid1(SALU_CYCLE_1)
	s_and_b32 s12, exec_lo, s13
	s_or_b32 s5, s12, s5
	s_delay_alu instid0(SALU_CYCLE_1)
	s_and_not1_b32 exec_lo, exec_lo, s5
	s_cbranch_execz .LBB45_35
.LBB45_40:                              ;   Parent Loop BB45_37 Depth=1
                                        ; =>  This Inner Loop Header: Depth=2
	s_mov_b32 s12, 0
	s_mov_b32 s13, exec_lo
	v_cmpx_ne_u32_e64 s28, v10
	s_xor_b32 s13, exec_lo, s13
	s_cbranch_execz .LBB45_42
; %bb.41:                               ;   in Loop: Header=BB45_40 Depth=2
	v_add_nc_u32_e32 v5, 1, v5
	s_mov_b32 s12, exec_lo
                                        ; implicit-def: $vgpr9
	s_delay_alu instid0(VALU_DEP_1)
	v_and_b32_e32 v5, 0x1ff, v5
	s_and_not1_saveexec_b32 s13, s13
	s_cbranch_execz .LBB45_44
	s_branch .LBB45_43
.LBB45_42:                              ;   in Loop: Header=BB45_40 Depth=2
	s_and_not1_saveexec_b32 s13, s13
	s_cbranch_execz .LBB45_44
.LBB45_43:                              ;   in Loop: Header=BB45_40 Depth=2
	v_mov_b32_e32 v10, s28
	s_and_not1_b32 s12, s12, exec_lo
	ds_cmpstore_rtn_b32 v9, v9, v8, v10
	s_wait_dscnt 0x0
	v_cmp_ne_u32_e32 vcc_lo, s28, v9
	s_and_b32 s14, vcc_lo, exec_lo
	s_delay_alu instid0(SALU_CYCLE_1)
	s_or_b32 s12, s12, s14
.LBB45_44:                              ;   in Loop: Header=BB45_40 Depth=2
	s_or_b32 exec_lo, exec_lo, s13
	s_mov_b32 s13, -1
                                        ; implicit-def: $vgpr9
                                        ; implicit-def: $vgpr10
	s_and_saveexec_b32 s14, s12
	s_cbranch_execz .LBB45_39
; %bb.45:                               ;   in Loop: Header=BB45_40 Depth=2
	v_lshl_add_u32 v9, v5, 2, 0
	ds_load_b32 v10, v9
	s_wait_dscnt 0x0
	v_cmp_eq_u32_e32 vcc_lo, v10, v8
	s_or_not1_b32 s13, vcc_lo, exec_lo
	s_branch .LBB45_39
.LBB45_46:
	s_or_b32 exec_lo, exec_lo, s2
.LBB45_47:
	s_wait_dscnt 0x0
	s_barrier_signal -1
	s_barrier_wait -1
	s_and_saveexec_b32 s4, s0
	s_cbranch_execz .LBB45_60
; %bb.48:
	v_mbcnt_lo_u32_b32 v2, -1, 0
	v_dual_mov_b32 v3, 0 :: v_dual_lshrrev_b32 v4, 4, v0
	v_cmp_lt_u32_e64 s0, 63, v0
	s_wait_xcnt 0x0
	v_cmp_lt_u32_e64 s1, 0x7f, v0
	s_delay_alu instid0(VALU_DEP_3)
	v_dual_mov_b32 v9, 0 :: v_dual_bitop2_b32 v4, 12, v4 bitop3:0x40
	v_xor_b32_e32 v2, 31, v2
	v_cmp_lt_u32_e64 s2, 0xbf, v0
	v_add3_u32 v7, v7, 0, 0x800
	s_mov_b32 s5, 0
	v_add_nc_u32_e32 v8, 0, v4
	v_lshrrev_b32_e64 v2, v2, -1
	v_cmp_eq_u32_e32 vcc_lo, 0xff, v0
	s_branch .LBB45_50
.LBB45_49:                              ;   in Loop: Header=BB45_50 Depth=1
	s_or_b32 exec_lo, exec_lo, s3
	s_wait_dscnt 0x0
	s_barrier_signal -1
	s_barrier_wait -1
	ds_load_b32 v4, v3 offset:6156
	v_add_co_u32 v1, s3, 0x100, v1
	s_xor_b32 s3, s3, -1
	v_add_nc_u32_e32 v7, 0x800, v7
	v_add_nc_u32_e32 v6, 0x400, v6
	s_and_b32 s3, exec_lo, s3
	s_delay_alu instid0(SALU_CYCLE_1)
	s_or_b32 s5, s3, s5
	s_wait_dscnt 0x0
	v_add_nc_u32_e32 v9, v4, v9
	s_and_not1_b32 exec_lo, exec_lo, s5
	s_cbranch_execz .LBB45_60
.LBB45_50:                              ; =>This Inner Loop Header: Depth=1
	ds_load_b32 v10, v6
	ds_load_2addr_b32 v[4:5], v7 offset1:1
	s_wait_dscnt 0x0
	s_barrier_signal -1
	s_barrier_wait -1
	v_cmp_gt_i32_e64 s3, s28, v10
	s_bcnt1_i32_b32 s7, s3
	s_delay_alu instid0(SALU_CYCLE_1) | instskip(NEXT) | instid1(VALU_DEP_1)
	v_dual_mov_b32 v12, s7 :: v_dual_bitop2_b32 v11, s3, v2 bitop3:0x40
	v_bcnt_u32_b32 v11, v11, 0
	ds_store_b32 v8, v12 offset:6144
	s_wait_dscnt 0x0
	s_barrier_signal -1
	s_barrier_wait -1
	s_and_saveexec_b32 s7, s0
	s_cbranch_execz .LBB45_55
; %bb.51:                               ;   in Loop: Header=BB45_50 Depth=1
	ds_load_b32 v12, v3 offset:6144
	s_wait_dscnt 0x0
	v_add_nc_u32_e32 v11, v12, v11
	s_or_b32 exec_lo, exec_lo, s7
	s_and_saveexec_b32 s7, s1
	s_cbranch_execnz .LBB45_56
.LBB45_52:                              ;   in Loop: Header=BB45_50 Depth=1
	s_or_b32 exec_lo, exec_lo, s7
	s_and_saveexec_b32 s7, s2
	s_cbranch_execz .LBB45_57
.LBB45_53:                              ;   in Loop: Header=BB45_50 Depth=1
	ds_load_b32 v12, v3 offset:6152
	s_wait_dscnt 0x0
	v_add_nc_u32_e32 v11, v12, v11
	s_or_b32 exec_lo, exec_lo, s7
	s_and_saveexec_b32 s7, s3
	s_cbranch_execnz .LBB45_58
.LBB45_54:                              ;   in Loop: Header=BB45_50 Depth=1
	s_or_b32 exec_lo, exec_lo, s7
	s_and_saveexec_b32 s3, vcc_lo
	s_cbranch_execz .LBB45_49
	s_branch .LBB45_59
.LBB45_55:                              ;   in Loop: Header=BB45_50 Depth=1
	s_or_b32 exec_lo, exec_lo, s7
	s_and_saveexec_b32 s7, s1
	s_cbranch_execz .LBB45_52
.LBB45_56:                              ;   in Loop: Header=BB45_50 Depth=1
	ds_load_b32 v12, v3 offset:6148
	s_wait_dscnt 0x0
	v_add_nc_u32_e32 v11, v12, v11
	s_or_b32 exec_lo, exec_lo, s7
	s_and_saveexec_b32 s7, s2
	s_cbranch_execnz .LBB45_53
.LBB45_57:                              ;   in Loop: Header=BB45_50 Depth=1
	s_or_b32 exec_lo, exec_lo, s7
	s_and_saveexec_b32 s7, s3
	s_cbranch_execz .LBB45_54
.LBB45_58:                              ;   in Loop: Header=BB45_50 Depth=1
	s_delay_alu instid0(VALU_DEP_1) | instskip(SKIP_1) | instid1(VALU_DEP_2)
	v_add3_u32 v12, v9, -1, v11
	v_add_lshl_u32 v13, v9, v11, 3
	v_lshl_add_u32 v12, v12, 2, 0
	s_delay_alu instid0(VALU_DEP_2)
	v_add3_u32 v13, 0, v13, 0x7f8
	ds_store_b32 v12, v10
	ds_store_2addr_b32 v13, v4, v5 offset1:1
	s_or_b32 exec_lo, exec_lo, s7
	s_and_saveexec_b32 s3, vcc_lo
	s_cbranch_execz .LBB45_49
.LBB45_59:                              ;   in Loop: Header=BB45_50 Depth=1
	ds_store_b32 v3, v11 offset:6156
	s_branch .LBB45_49
.LBB45_60:
	s_or_b32 exec_lo, exec_lo, s4
	s_wait_kmcnt 0x0
	s_ashr_i32 s21, s20, 31
	s_delay_alu instid0(SALU_CYCLE_1) | instskip(NEXT) | instid1(SALU_CYCLE_1)
	s_lshl_b64 s[0:1], s[20:21], 2
	s_add_nc_u64 s[2:3], s[26:27], s[0:1]
	s_load_b64 s[0:1], s[2:3], 0x0
	s_wait_kmcnt 0x0
	s_sub_co_i32 s4, s1, s0
	s_mov_b32 s1, exec_lo
	v_cmpx_gt_i32_e64 s4, v0
	s_cbranch_execz .LBB45_74
; %bb.61:
	v_sub_co_u32 v1, s1, s4, 2
	s_sub_co_i32 s2, s0, s6
	s_xor_b32 s6, s1, -1
	s_and_b32 s5, s4, -2
	v_readfirstlane_b32 s3, v1
	s_lshr_b32 s0, s3, 1
	s_mov_b32 s3, 0
	s_add_co_i32 s0, s0, 1
	s_mov_b32 s11, s3
	s_and_b32 s1, s0, 7
	s_and_b32 s7, s0, -8
	s_cmp_lg_u32 s1, 0
	v_cmp_lt_u32_e64 s0, 13, v1
	s_cselect_b32 s8, -1, 0
	s_cmp_lg_u32 s4, s5
	s_cselect_b32 s9, -1, 0
	s_lshl_b32 s10, s1, 3
	s_branch .LBB45_63
.LBB45_62:                              ;   in Loop: Header=BB45_63 Depth=1
	v_add_nc_u32_e32 v0, 0x100, v0
	s_wait_dscnt 0x0
	global_store_b64 v4, v[2:3], s[24:25] scale_offset
	v_cmp_le_i32_e32 vcc_lo, s4, v0
	s_or_b32 s11, vcc_lo, s11
	s_wait_xcnt 0x0
	s_and_not1_b32 exec_lo, exec_lo, s11
	s_cbranch_execz .LBB45_74
.LBB45_63:                              ; =>This Loop Header: Depth=1
                                        ;     Child Loop BB45_66 Depth 2
                                        ;     Child Loop BB45_69 Depth 2
	;; [unrolled: 1-line block ×3, first 2 shown]
	v_dual_mov_b32 v4, s2 :: v_dual_lshlrev_b32 v1, 2, v0
	s_and_not1_b32 vcc_lo, exec_lo, s6
	s_mov_b32 s1, 0
	s_mov_b32 s12, -1
	s_delay_alu instid0(VALU_DEP_1) | instskip(NEXT) | instid1(VALU_DEP_1)
	v_add_nc_u32_e32 v2, 0, v1
	v_add3_u32 v3, v2, v1, 0x800
	ds_load_b32 v1, v2
	ds_load_2addr_b32 v[2:3], v3 offset1:1
	s_cbranch_vccnz .LBB45_71
; %bb.64:                               ;   in Loop: Header=BB45_63 Depth=1
	v_mov_b64_e32 v[4:5], s[2:3]
	s_and_not1_b32 vcc_lo, exec_lo, s0
	s_mov_b32 s12, 0
	s_cbranch_vccnz .LBB45_67
; %bb.65:                               ;   in Loop: Header=BB45_63 Depth=1
	v_dual_mov_b32 v4, s2 :: v_dual_mov_b32 v5, 0
	s_mov_b32 s13, 0
	s_mov_b32 s14, s7
.LBB45_66:                              ;   Parent Loop BB45_63 Depth=1
                                        ; =>  This Inner Loop Header: Depth=2
	v_mov_b32_e32 v20, s13
	s_add_co_i32 s14, s14, -8
	s_add_co_i32 s12, s12, 16
	s_add_co_i32 s13, s13, 64
	s_cmp_lg_u32 s14, 0
	ds_load_2addr_b32 v[6:7], v20 offset1:1
	ds_load_2addr_b32 v[8:9], v20 offset0:2 offset1:3
	ds_load_2addr_b32 v[10:11], v20 offset0:4 offset1:5
	;; [unrolled: 1-line block ×7, first 2 shown]
	s_wait_dscnt 0x7
	v_cmp_gt_i32_e32 vcc_lo, v1, v7
	s_wait_dscnt 0x5
	v_cmp_gt_i32_e64 s1, v1, v10
	v_cndmask_b32_e64 v7, 0, 1, vcc_lo
	v_cmp_gt_i32_e32 vcc_lo, v1, v6
	v_cndmask_b32_e64 v6, 0, 1, vcc_lo
	v_cmp_gt_i32_e32 vcc_lo, v1, v8
	v_cndmask_b32_e64 v8, 0, 1, s1
	v_cmp_gt_i32_e64 s1, v1, v11
	s_delay_alu instid0(VALU_DEP_4) | instskip(NEXT) | instid1(VALU_DEP_2)
	v_add_co_ci_u32_e64 v4, null, v4, v6, vcc_lo
	v_cndmask_b32_e64 v10, 0, 1, s1
	s_wait_dscnt 0x4
	v_cmp_gt_i32_e64 s1, v1, v13
	s_wait_dscnt 0x2
	v_cmp_gt_i32_e32 vcc_lo, v1, v16
	s_delay_alu instid0(VALU_DEP_2) | instskip(SKIP_4) | instid1(VALU_DEP_3)
	v_cndmask_b32_e64 v11, 0, 1, s1
	v_cmp_gt_i32_e64 s1, v1, v12
	v_add_co_ci_u32_e64 v4, null, v4, v8, vcc_lo
	s_wait_dscnt 0x1
	v_cmp_gt_i32_e32 vcc_lo, v1, v18
	v_cndmask_b32_e64 v12, 0, 1, s1
	v_cmp_gt_i32_e64 s1, v1, v14
	s_delay_alu instid0(VALU_DEP_2) | instskip(NEXT) | instid1(VALU_DEP_2)
	v_add_co_ci_u32_e64 v4, null, v4, v12, vcc_lo
	v_cndmask_b32_e64 v13, 0, 1, s1
	v_cmp_gt_i32_e64 s1, v1, v15
	s_wait_dscnt 0x0
	v_cmp_gt_i32_e32 vcc_lo, v1, v20
	s_delay_alu instid0(VALU_DEP_2) | instskip(SKIP_2) | instid1(VALU_DEP_2)
	v_cndmask_b32_e64 v14, 0, 1, s1
	v_cmp_gt_i32_e64 s1, v1, v9
	v_add_co_ci_u32_e64 v4, null, v4, v13, vcc_lo
	v_add_co_ci_u32_e64 v5, null, v5, v7, s1
	v_cmp_gt_i32_e64 s1, v1, v17
	s_delay_alu instid0(VALU_DEP_1) | instskip(SKIP_1) | instid1(VALU_DEP_1)
	v_add_co_ci_u32_e64 v5, null, v5, v10, s1
	v_cmp_gt_i32_e64 s1, v1, v19
	v_add_co_ci_u32_e64 v5, null, v5, v11, s1
	v_cmp_gt_i32_e64 s1, v1, v21
	s_delay_alu instid0(VALU_DEP_1)
	v_add_co_ci_u32_e64 v5, null, v5, v14, s1
	s_cbranch_scc1 .LBB45_66
.LBB45_67:                              ;   in Loop: Header=BB45_63 Depth=1
	s_and_not1_b32 vcc_lo, exec_lo, s8
	s_cbranch_vccnz .LBB45_70
; %bb.68:                               ;   in Loop: Header=BB45_63 Depth=1
	s_lshl_b32 s1, s12, 2
	s_mov_b32 s12, s10
	s_add_co_i32 s1, s1, 0
.LBB45_69:                              ;   Parent Loop BB45_63 Depth=1
                                        ; =>  This Inner Loop Header: Depth=2
	s_delay_alu instid0(SALU_CYCLE_1)
	v_mov_b32_e32 v6, s1
	s_add_co_i32 s12, s12, -8
	s_add_co_i32 s1, s1, 8
	s_cmp_lg_u32 s12, 0
	ds_load_2addr_b32 v[6:7], v6 offset1:1
	s_wait_dscnt 0x0
	v_cmp_gt_i32_e32 vcc_lo, v1, v7
	v_add_co_ci_u32_e64 v5, null, 0, v5, vcc_lo
	v_cmp_gt_i32_e32 vcc_lo, v1, v6
	v_add_co_ci_u32_e64 v4, null, 0, v4, vcc_lo
	s_cbranch_scc1 .LBB45_69
.LBB45_70:                              ;   in Loop: Header=BB45_63 Depth=1
	s_delay_alu instid0(VALU_DEP_1)
	v_add_nc_u32_e32 v4, v4, v5
	s_mov_b32 s1, s5
	s_mov_b32 s12, s9
.LBB45_71:                              ;   in Loop: Header=BB45_63 Depth=1
	s_delay_alu instid0(SALU_CYCLE_1)
	s_and_b32 vcc_lo, exec_lo, s12
	s_cbranch_vccz .LBB45_62
; %bb.72:                               ;   in Loop: Header=BB45_63 Depth=1
	s_lshl_b32 s12, s1, 2
	s_delay_alu instid0(SALU_CYCLE_1)
	s_add_co_i32 s12, s12, 0
.LBB45_73:                              ;   Parent Loop BB45_63 Depth=1
                                        ; =>  This Inner Loop Header: Depth=2
	s_delay_alu instid0(SALU_CYCLE_1)
	v_mov_b32_e32 v5, s12
	s_add_co_i32 s1, s1, 1
	s_add_co_i32 s12, s12, 4
	s_cmp_ge_i32 s1, s4
	ds_load_b32 v5, v5
	s_wait_dscnt 0x0
	v_cmp_gt_i32_e32 vcc_lo, v1, v5
	v_add_co_ci_u32_e64 v4, null, 0, v4, vcc_lo
	s_cbranch_scc0 .LBB45_73
	s_branch .LBB45_62
.LBB45_74:
	s_endpgm
	.section	.rodata,"a",@progbits
	.p2align	6, 0x0
	.amdhsa_kernel _ZN9rocsparseL41csrgemm_numeric_fill_block_per_row_kernelILj256ELj32ELj512ELj137ELj64Eii21rocsparse_complex_numIfEEEvT5_PKS3_S5_NS_24const_host_device_scalarIT6_EEPKT4_S5_PKS7_SB_S5_SD_S8_SB_S5_SD_SB_S5_PS7_21rocsparse_index_base_SF_SF_SF_bbb
		.amdhsa_group_segment_fixed_size 0
		.amdhsa_private_segment_fixed_size 0
		.amdhsa_kernarg_size 156
		.amdhsa_user_sgpr_count 2
		.amdhsa_user_sgpr_dispatch_ptr 0
		.amdhsa_user_sgpr_queue_ptr 0
		.amdhsa_user_sgpr_kernarg_segment_ptr 1
		.amdhsa_user_sgpr_dispatch_id 0
		.amdhsa_user_sgpr_kernarg_preload_length 0
		.amdhsa_user_sgpr_kernarg_preload_offset 0
		.amdhsa_user_sgpr_private_segment_size 0
		.amdhsa_wavefront_size32 1
		.amdhsa_uses_dynamic_stack 0
		.amdhsa_enable_private_segment 0
		.amdhsa_system_sgpr_workgroup_id_x 1
		.amdhsa_system_sgpr_workgroup_id_y 0
		.amdhsa_system_sgpr_workgroup_id_z 0
		.amdhsa_system_sgpr_workgroup_info 0
		.amdhsa_system_vgpr_workitem_id 0
		.amdhsa_next_free_vgpr 22
		.amdhsa_next_free_sgpr 43
		.amdhsa_named_barrier_count 0
		.amdhsa_reserve_vcc 1
		.amdhsa_float_round_mode_32 0
		.amdhsa_float_round_mode_16_64 0
		.amdhsa_float_denorm_mode_32 3
		.amdhsa_float_denorm_mode_16_64 3
		.amdhsa_fp16_overflow 0
		.amdhsa_memory_ordered 1
		.amdhsa_forward_progress 1
		.amdhsa_inst_pref_size 24
		.amdhsa_round_robin_scheduling 0
		.amdhsa_exception_fp_ieee_invalid_op 0
		.amdhsa_exception_fp_denorm_src 0
		.amdhsa_exception_fp_ieee_div_zero 0
		.amdhsa_exception_fp_ieee_overflow 0
		.amdhsa_exception_fp_ieee_underflow 0
		.amdhsa_exception_fp_ieee_inexact 0
		.amdhsa_exception_int_div_zero 0
	.end_amdhsa_kernel
	.section	.text._ZN9rocsparseL41csrgemm_numeric_fill_block_per_row_kernelILj256ELj32ELj512ELj137ELj64Eii21rocsparse_complex_numIfEEEvT5_PKS3_S5_NS_24const_host_device_scalarIT6_EEPKT4_S5_PKS7_SB_S5_SD_S8_SB_S5_SD_SB_S5_PS7_21rocsparse_index_base_SF_SF_SF_bbb,"axG",@progbits,_ZN9rocsparseL41csrgemm_numeric_fill_block_per_row_kernelILj256ELj32ELj512ELj137ELj64Eii21rocsparse_complex_numIfEEEvT5_PKS3_S5_NS_24const_host_device_scalarIT6_EEPKT4_S5_PKS7_SB_S5_SD_S8_SB_S5_SD_SB_S5_PS7_21rocsparse_index_base_SF_SF_SF_bbb,comdat
.Lfunc_end45:
	.size	_ZN9rocsparseL41csrgemm_numeric_fill_block_per_row_kernelILj256ELj32ELj512ELj137ELj64Eii21rocsparse_complex_numIfEEEvT5_PKS3_S5_NS_24const_host_device_scalarIT6_EEPKT4_S5_PKS7_SB_S5_SD_S8_SB_S5_SD_SB_S5_PS7_21rocsparse_index_base_SF_SF_SF_bbb, .Lfunc_end45-_ZN9rocsparseL41csrgemm_numeric_fill_block_per_row_kernelILj256ELj32ELj512ELj137ELj64Eii21rocsparse_complex_numIfEEEvT5_PKS3_S5_NS_24const_host_device_scalarIT6_EEPKT4_S5_PKS7_SB_S5_SD_S8_SB_S5_SD_SB_S5_PS7_21rocsparse_index_base_SF_SF_SF_bbb
                                        ; -- End function
	.set _ZN9rocsparseL41csrgemm_numeric_fill_block_per_row_kernelILj256ELj32ELj512ELj137ELj64Eii21rocsparse_complex_numIfEEEvT5_PKS3_S5_NS_24const_host_device_scalarIT6_EEPKT4_S5_PKS7_SB_S5_SD_S8_SB_S5_SD_SB_S5_PS7_21rocsparse_index_base_SF_SF_SF_bbb.num_vgpr, 22
	.set _ZN9rocsparseL41csrgemm_numeric_fill_block_per_row_kernelILj256ELj32ELj512ELj137ELj64Eii21rocsparse_complex_numIfEEEvT5_PKS3_S5_NS_24const_host_device_scalarIT6_EEPKT4_S5_PKS7_SB_S5_SD_S8_SB_S5_SD_SB_S5_PS7_21rocsparse_index_base_SF_SF_SF_bbb.num_agpr, 0
	.set _ZN9rocsparseL41csrgemm_numeric_fill_block_per_row_kernelILj256ELj32ELj512ELj137ELj64Eii21rocsparse_complex_numIfEEEvT5_PKS3_S5_NS_24const_host_device_scalarIT6_EEPKT4_S5_PKS7_SB_S5_SD_S8_SB_S5_SD_SB_S5_PS7_21rocsparse_index_base_SF_SF_SF_bbb.numbered_sgpr, 43
	.set _ZN9rocsparseL41csrgemm_numeric_fill_block_per_row_kernelILj256ELj32ELj512ELj137ELj64Eii21rocsparse_complex_numIfEEEvT5_PKS3_S5_NS_24const_host_device_scalarIT6_EEPKT4_S5_PKS7_SB_S5_SD_S8_SB_S5_SD_SB_S5_PS7_21rocsparse_index_base_SF_SF_SF_bbb.num_named_barrier, 0
	.set _ZN9rocsparseL41csrgemm_numeric_fill_block_per_row_kernelILj256ELj32ELj512ELj137ELj64Eii21rocsparse_complex_numIfEEEvT5_PKS3_S5_NS_24const_host_device_scalarIT6_EEPKT4_S5_PKS7_SB_S5_SD_S8_SB_S5_SD_SB_S5_PS7_21rocsparse_index_base_SF_SF_SF_bbb.private_seg_size, 0
	.set _ZN9rocsparseL41csrgemm_numeric_fill_block_per_row_kernelILj256ELj32ELj512ELj137ELj64Eii21rocsparse_complex_numIfEEEvT5_PKS3_S5_NS_24const_host_device_scalarIT6_EEPKT4_S5_PKS7_SB_S5_SD_S8_SB_S5_SD_SB_S5_PS7_21rocsparse_index_base_SF_SF_SF_bbb.uses_vcc, 1
	.set _ZN9rocsparseL41csrgemm_numeric_fill_block_per_row_kernelILj256ELj32ELj512ELj137ELj64Eii21rocsparse_complex_numIfEEEvT5_PKS3_S5_NS_24const_host_device_scalarIT6_EEPKT4_S5_PKS7_SB_S5_SD_S8_SB_S5_SD_SB_S5_PS7_21rocsparse_index_base_SF_SF_SF_bbb.uses_flat_scratch, 0
	.set _ZN9rocsparseL41csrgemm_numeric_fill_block_per_row_kernelILj256ELj32ELj512ELj137ELj64Eii21rocsparse_complex_numIfEEEvT5_PKS3_S5_NS_24const_host_device_scalarIT6_EEPKT4_S5_PKS7_SB_S5_SD_S8_SB_S5_SD_SB_S5_PS7_21rocsparse_index_base_SF_SF_SF_bbb.has_dyn_sized_stack, 0
	.set _ZN9rocsparseL41csrgemm_numeric_fill_block_per_row_kernelILj256ELj32ELj512ELj137ELj64Eii21rocsparse_complex_numIfEEEvT5_PKS3_S5_NS_24const_host_device_scalarIT6_EEPKT4_S5_PKS7_SB_S5_SD_S8_SB_S5_SD_SB_S5_PS7_21rocsparse_index_base_SF_SF_SF_bbb.has_recursion, 0
	.set _ZN9rocsparseL41csrgemm_numeric_fill_block_per_row_kernelILj256ELj32ELj512ELj137ELj64Eii21rocsparse_complex_numIfEEEvT5_PKS3_S5_NS_24const_host_device_scalarIT6_EEPKT4_S5_PKS7_SB_S5_SD_S8_SB_S5_SD_SB_S5_PS7_21rocsparse_index_base_SF_SF_SF_bbb.has_indirect_call, 0
	.section	.AMDGPU.csdata,"",@progbits
; Kernel info:
; codeLenInByte = 3008
; TotalNumSgprs: 45
; NumVgprs: 22
; ScratchSize: 0
; MemoryBound: 0
; FloatMode: 240
; IeeeMode: 1
; LDSByteSize: 0 bytes/workgroup (compile time only)
; SGPRBlocks: 0
; VGPRBlocks: 1
; NumSGPRsForWavesPerEU: 45
; NumVGPRsForWavesPerEU: 22
; NamedBarCnt: 0
; Occupancy: 16
; WaveLimiterHint : 1
; COMPUTE_PGM_RSRC2:SCRATCH_EN: 0
; COMPUTE_PGM_RSRC2:USER_SGPR: 2
; COMPUTE_PGM_RSRC2:TRAP_HANDLER: 0
; COMPUTE_PGM_RSRC2:TGID_X_EN: 1
; COMPUTE_PGM_RSRC2:TGID_Y_EN: 0
; COMPUTE_PGM_RSRC2:TGID_Z_EN: 0
; COMPUTE_PGM_RSRC2:TIDIG_COMP_CNT: 0
	.section	.text._ZN9rocsparseL41csrgemm_numeric_fill_block_per_row_kernelILj512ELj32ELj1024ELj137ELj32Eii21rocsparse_complex_numIfEEEvT5_PKS3_S5_NS_24const_host_device_scalarIT6_EEPKT4_S5_PKS7_SB_S5_SD_S8_SB_S5_SD_SB_S5_PS7_21rocsparse_index_base_SF_SF_SF_bbb,"axG",@progbits,_ZN9rocsparseL41csrgemm_numeric_fill_block_per_row_kernelILj512ELj32ELj1024ELj137ELj32Eii21rocsparse_complex_numIfEEEvT5_PKS3_S5_NS_24const_host_device_scalarIT6_EEPKT4_S5_PKS7_SB_S5_SD_S8_SB_S5_SD_SB_S5_PS7_21rocsparse_index_base_SF_SF_SF_bbb,comdat
	.globl	_ZN9rocsparseL41csrgemm_numeric_fill_block_per_row_kernelILj512ELj32ELj1024ELj137ELj32Eii21rocsparse_complex_numIfEEEvT5_PKS3_S5_NS_24const_host_device_scalarIT6_EEPKT4_S5_PKS7_SB_S5_SD_S8_SB_S5_SD_SB_S5_PS7_21rocsparse_index_base_SF_SF_SF_bbb ; -- Begin function _ZN9rocsparseL41csrgemm_numeric_fill_block_per_row_kernelILj512ELj32ELj1024ELj137ELj32Eii21rocsparse_complex_numIfEEEvT5_PKS3_S5_NS_24const_host_device_scalarIT6_EEPKT4_S5_PKS7_SB_S5_SD_S8_SB_S5_SD_SB_S5_PS7_21rocsparse_index_base_SF_SF_SF_bbb
	.p2align	8
	.type	_ZN9rocsparseL41csrgemm_numeric_fill_block_per_row_kernelILj512ELj32ELj1024ELj137ELj32Eii21rocsparse_complex_numIfEEEvT5_PKS3_S5_NS_24const_host_device_scalarIT6_EEPKT4_S5_PKS7_SB_S5_SD_S8_SB_S5_SD_SB_S5_PS7_21rocsparse_index_base_SF_SF_SF_bbb,@function
_ZN9rocsparseL41csrgemm_numeric_fill_block_per_row_kernelILj512ELj32ELj1024ELj137ELj32Eii21rocsparse_complex_numIfEEEvT5_PKS3_S5_NS_24const_host_device_scalarIT6_EEPKT4_S5_PKS7_SB_S5_SD_S8_SB_S5_SD_SB_S5_PS7_21rocsparse_index_base_SF_SF_SF_bbb: ; @_ZN9rocsparseL41csrgemm_numeric_fill_block_per_row_kernelILj512ELj32ELj1024ELj137ELj32Eii21rocsparse_complex_numIfEEEvT5_PKS3_S5_NS_24const_host_device_scalarIT6_EEPKT4_S5_PKS7_SB_S5_SD_S8_SB_S5_SD_SB_S5_PS7_21rocsparse_index_base_SF_SF_SF_bbb
; %bb.0:
	s_clause 0x7
	s_load_b32 s33, s[0:1], 0x98
	s_load_b128 s[16:19], s[0:1], 0x88
	s_load_b64 s[24:25], s[0:1], 0x80
	s_load_b128 s[4:7], s[0:1], 0x60
	s_load_b128 s[20:23], s[0:1], 0x8
	s_load_b64 s[2:3], s[0:1], 0x28
	s_load_b128 s[8:11], s[0:1], 0x40
	s_load_b64 s[36:37], s[0:1], 0x50
	s_mov_b32 s29, 0
	s_mov_b32 s39, 0
	s_wait_kmcnt 0x0
	s_bitcmp1_b32 s33, 0
	s_cselect_b32 s41, -1, 0
	s_bitcmp1_b32 s33, 16
	s_cselect_b32 s12, -1, 0
	s_delay_alu instid0(SALU_CYCLE_1) | instskip(SKIP_2) | instid1(VALU_DEP_1)
	s_xor_b32 s12, s12, -1
	s_bitcmp0_b32 s33, 0
	v_cndmask_b32_e64 v1, 0, 1, s12
	v_cmp_ne_u32_e32 vcc_lo, 1, v1
	s_cbranch_scc1 .LBB46_5
; %bb.1:
	s_load_b64 s[28:29], s[0:1], 0x18
	s_and_b32 vcc_lo, exec_lo, vcc_lo
	s_wait_kmcnt 0x0
	s_mov_b32 s39, s28
	s_cbranch_vccnz .LBB46_3
; %bb.2:
	s_load_b32 s39, s[28:29], 0x0
.LBB46_3:
	s_and_not1_b32 vcc_lo, exec_lo, s12
	s_cbranch_vccnz .LBB46_5
; %bb.4:
	s_wait_xcnt 0x0
	s_load_b32 s29, s[28:29], 0x4
.LBB46_5:
	s_clause 0x3
	s_load_b64 s[26:27], s[0:1], 0x70
	s_load_b64 s[30:31], s[0:1], 0x58
	;; [unrolled: 1-line block ×3, first 2 shown]
	s_load_b128 s[12:15], s[0:1], 0x30
	s_bitcmp1_b32 s33, 8
	s_mov_b32 s38, 0
	s_cselect_b32 s40, -1, 0
	s_wait_xcnt 0x0
	s_bfe_u32 s28, s33, 0x10008
	s_mov_b32 s33, 0
	s_cmp_eq_u32 s28, 0
	s_cbranch_scc1 .LBB46_11
; %bb.6:
	v_cmp_ne_u32_e32 vcc_lo, 1, v1
	s_mov_b32 s33, s36
	s_cbranch_vccnz .LBB46_8
; %bb.7:
	s_load_b32 s33, s[36:37], 0x0
.LBB46_8:
	v_cmp_ne_u32_e32 vcc_lo, 1, v1
	s_cbranch_vccnz .LBB46_10
; %bb.9:
	s_wait_xcnt 0x0
	s_load_b32 s37, s[36:37], 0x4
.LBB46_10:
	s_wait_kmcnt 0x0
	s_mov_b32 s38, s37
.LBB46_11:
	s_load_b32 s28, s[0:1], 0x0
	v_lshl_add_u32 v1, v0, 2, 0
	v_lshlrev_b32_e32 v2, 3, v0
	v_or_b32_e32 v6, 0xfffffe00, v0
	s_wait_xcnt 0x0
	s_mov_b32 s0, 0
	v_mov_b32_e32 v3, v1
	v_add3_u32 v7, v2, 0, 0x1000
	v_dual_mov_b32 v2, 0 :: v_dual_mov_b32 v4, v6
	s_wait_kmcnt 0x0
	s_delay_alu instid0(VALU_DEP_2)
	v_dual_mov_b32 v8, v7 :: v_dual_mov_b32 v5, s28
.LBB46_12:                              ; =>This Inner Loop Header: Depth=1
	s_delay_alu instid0(VALU_DEP_2)
	v_add_co_u32 v4, s1, 0x200, v4
	s_xor_b32 s1, s1, -1
	ds_store_b32 v3, v5
	ds_store_2addr_b32 v8, v2, v2 offset1:1
	v_add_nc_u32_e32 v8, 0x1000, v8
	v_add_nc_u32_e32 v3, 0x800, v3
	s_and_b32 s1, exec_lo, s1
	s_delay_alu instid0(SALU_CYCLE_1) | instskip(NEXT) | instid1(SALU_CYCLE_1)
	s_or_b32 s0, s1, s0
	s_and_not1_b32 exec_lo, exec_lo, s0
	s_cbranch_execnz .LBB46_12
; %bb.13:
	s_or_b32 exec_lo, exec_lo, s0
	s_wait_dscnt 0x0
	s_barrier_signal -1
	s_barrier_wait -1
	s_load_b32 s0, s[20:21], 0x0
	s_bfe_u32 s1, ttmp6, 0x4000c
	s_wait_xcnt 0x0
	s_and_b32 s20, ttmp6, 15
	s_add_co_i32 s1, s1, 1
	s_getreg_b32 s21, hwreg(HW_REG_IB_STS2, 6, 4)
	s_mul_i32 s1, ttmp9, s1
	v_lshrrev_b32_e32 v8, 5, v0
	s_add_co_i32 s20, s20, s1
	s_cmp_eq_u32 s21, 0
	s_cselect_b32 s1, ttmp9, s20
	s_and_b32 vcc_lo, exec_lo, s41
	s_wait_kmcnt 0x0
	s_add_co_i32 s0, s0, s1
	s_load_b32 s20, s[22:23], s0 offset:0x0 scale_offset
	s_cbranch_vccz .LBB46_31
; %bb.14:
	s_wait_kmcnt 0x0
	s_ashr_i32 s21, s20, 31
	v_subrev_nc_u32_e32 v2, s16, v8
	s_lshl_b64 s[0:1], s[20:21], 2
	s_delay_alu instid0(SALU_CYCLE_1)
	s_add_nc_u64 s[0:1], s[34:35], s[0:1]
	s_load_b64 s[22:23], s[0:1], 0x0
	s_wait_xcnt 0x0
	s_mov_b32 s1, exec_lo
	s_wait_kmcnt 0x0
	v_add_nc_u32_e32 v2, s22, v2
	s_sub_co_i32 s0, s23, s16
	s_delay_alu instid0(VALU_DEP_1) | instid1(SALU_CYCLE_1)
	v_cmpx_gt_i32_e64 s0, v2
	s_cbranch_execz .LBB46_30
; %bb.15:
	v_and_b32_e32 v3, 31, v0
	s_mov_b32 s21, 0
	s_delay_alu instid0(VALU_DEP_1)
	v_subrev_nc_u32_e32 v9, s17, v3
	s_branch .LBB46_17
.LBB46_16:                              ;   in Loop: Header=BB46_17 Depth=1
	s_or_b32 exec_lo, exec_lo, s22
	v_add_nc_u32_e32 v2, 16, v2
	s_delay_alu instid0(VALU_DEP_1) | instskip(SKIP_1) | instid1(SALU_CYCLE_1)
	v_cmp_le_i32_e32 vcc_lo, s0, v2
	s_or_b32 s21, vcc_lo, s21
	s_and_not1_b32 exec_lo, exec_lo, s21
	s_cbranch_execz .LBB46_30
.LBB46_17:                              ; =>This Loop Header: Depth=1
                                        ;     Child Loop BB46_21 Depth 2
                                        ;       Child Loop BB46_24 Depth 3
	global_load_b32 v3, v2, s[2:3] scale_offset
	s_mov_b32 s22, exec_lo
	s_wait_loadcnt 0x0
	v_subrev_nc_u32_e32 v4, s16, v3
	s_delay_alu instid0(VALU_DEP_1) | instskip(NEXT) | instid1(VALU_DEP_1)
	v_ashrrev_i32_e32 v5, 31, v4
	v_lshl_add_u64 v[4:5], v[4:5], 2, s[14:15]
	global_load_b64 v[4:5], v[4:5], off
	s_wait_loadcnt 0x0
	v_subrev_nc_u32_e32 v10, s17, v5
	v_add_nc_u32_e32 v11, v4, v9
	s_wait_xcnt 0x0
	s_delay_alu instid0(VALU_DEP_1)
	v_cmpx_lt_i32_e64 v11, v10
	s_cbranch_execz .LBB46_16
; %bb.18:                               ;   in Loop: Header=BB46_17 Depth=1
	v_ashrrev_i32_e32 v3, 31, v2
	s_mov_b32 s23, 0
	s_delay_alu instid0(VALU_DEP_1) | instskip(SKIP_3) | instid1(VALU_DEP_1)
	v_lshl_add_u64 v[4:5], v[2:3], 3, s[12:13]
	global_load_b64 v[4:5], v[4:5], off
	s_wait_loadcnt 0x0
	v_mul_f32_e64 v3, v5, -s29
	v_dual_mul_f32 v12, s39, v5 :: v_dual_fmac_f32 v3, s39, v4
	s_delay_alu instid0(VALU_DEP_1)
	v_fmac_f32_e32 v12, s29, v4
	s_branch .LBB46_21
.LBB46_19:                              ;   in Loop: Header=BB46_21 Depth=2
	s_or_b32 exec_lo, exec_lo, s35
.LBB46_20:                              ;   in Loop: Header=BB46_21 Depth=2
	s_delay_alu instid0(SALU_CYCLE_1) | instskip(SKIP_3) | instid1(VALU_DEP_2)
	s_or_b32 exec_lo, exec_lo, s34
	s_wait_loadcnt 0x0
	v_dual_mul_f32 v14, v5, -v12 :: v_dual_mul_f32 v5, v3, v5
	v_lshl_add_u32 v13, v13, 3, 0
	v_dual_fmac_f32 v14, v3, v4 :: v_dual_add_nc_u32 v11, 32, v11
	s_delay_alu instid0(VALU_DEP_3) | instskip(SKIP_4) | instid1(SALU_CYCLE_1)
	v_fmac_f32_e32 v5, v12, v4
	ds_add_f32 v13, v14 offset:4096
	ds_add_f32 v13, v5 offset:4100
	v_cmp_ge_i32_e32 vcc_lo, v11, v10
	s_or_b32 s23, vcc_lo, s23
	s_and_not1_b32 exec_lo, exec_lo, s23
	s_cbranch_execz .LBB46_16
.LBB46_21:                              ;   Parent Loop BB46_17 Depth=1
                                        ; =>  This Loop Header: Depth=2
                                        ;       Child Loop BB46_24 Depth 3
	s_clause 0x1
	global_load_b32 v13, v11, s[8:9] scale_offset
	global_load_b64 v[4:5], v11, s[10:11] scale_offset
	s_mov_b32 s34, exec_lo
	s_wait_loadcnt 0x1
	v_subrev_nc_u32_e32 v14, s17, v13
	s_delay_alu instid0(VALU_DEP_1) | instskip(NEXT) | instid1(VALU_DEP_1)
	v_mul_lo_u32 v13, 0x89, v14
	v_and_b32_e32 v13, 0x3ff, v13
	s_delay_alu instid0(VALU_DEP_1)
	v_lshl_add_u32 v15, v13, 2, 0
	ds_load_b32 v16, v15
	s_wait_dscnt 0x0
	s_wait_xcnt 0x0
	v_cmpx_ne_u32_e64 v16, v14
	s_cbranch_execz .LBB46_20
; %bb.22:                               ;   in Loop: Header=BB46_21 Depth=2
	s_mov_b32 s35, 0
	s_branch .LBB46_24
.LBB46_23:                              ;   in Loop: Header=BB46_24 Depth=3
	s_or_b32 exec_lo, exec_lo, s41
	s_delay_alu instid0(SALU_CYCLE_1) | instskip(NEXT) | instid1(SALU_CYCLE_1)
	s_and_b32 s36, exec_lo, s37
	s_or_b32 s35, s36, s35
	s_delay_alu instid0(SALU_CYCLE_1)
	s_and_not1_b32 exec_lo, exec_lo, s35
	s_cbranch_execz .LBB46_19
.LBB46_24:                              ;   Parent Loop BB46_17 Depth=1
                                        ;     Parent Loop BB46_21 Depth=2
                                        ; =>    This Inner Loop Header: Depth=3
	s_mov_b32 s36, 0
	s_mov_b32 s37, exec_lo
	v_cmpx_ne_u32_e64 s28, v16
	s_xor_b32 s37, exec_lo, s37
	s_cbranch_execz .LBB46_26
; %bb.25:                               ;   in Loop: Header=BB46_24 Depth=3
	v_add_nc_u32_e32 v13, 1, v13
	s_mov_b32 s36, exec_lo
                                        ; implicit-def: $vgpr15
	s_delay_alu instid0(VALU_DEP_1)
	v_and_b32_e32 v13, 0x3ff, v13
	s_and_not1_saveexec_b32 s37, s37
	s_cbranch_execz .LBB46_28
	s_branch .LBB46_27
.LBB46_26:                              ;   in Loop: Header=BB46_24 Depth=3
	s_and_not1_saveexec_b32 s37, s37
	s_cbranch_execz .LBB46_28
.LBB46_27:                              ;   in Loop: Header=BB46_24 Depth=3
	v_mov_b32_e32 v16, s28
	s_and_not1_b32 s36, s36, exec_lo
	ds_cmpstore_rtn_b32 v15, v15, v14, v16
	s_wait_dscnt 0x0
	v_cmp_ne_u32_e32 vcc_lo, s28, v15
	s_and_b32 s41, vcc_lo, exec_lo
	s_delay_alu instid0(SALU_CYCLE_1)
	s_or_b32 s36, s36, s41
.LBB46_28:                              ;   in Loop: Header=BB46_24 Depth=3
	s_or_b32 exec_lo, exec_lo, s37
	s_mov_b32 s37, -1
                                        ; implicit-def: $vgpr15
                                        ; implicit-def: $vgpr16
	s_and_saveexec_b32 s41, s36
	s_cbranch_execz .LBB46_23
; %bb.29:                               ;   in Loop: Header=BB46_24 Depth=3
	v_lshl_add_u32 v15, v13, 2, 0
	ds_load_b32 v16, v15
	s_wait_dscnt 0x0
	v_cmp_eq_u32_e32 vcc_lo, v16, v14
	s_or_not1_b32 s37, vcc_lo, exec_lo
	s_branch .LBB46_23
.LBB46_30:
	s_or_b32 exec_lo, exec_lo, s1
.LBB46_31:
	s_delay_alu instid0(SALU_CYCLE_1)
	s_and_not1_b32 vcc_lo, exec_lo, s40
	s_cbranch_vccnz .LBB46_46
; %bb.32:
	s_wait_kmcnt 0x0
	s_ashr_i32 s21, s20, 31
	v_subrev_nc_u32_e32 v2, s19, v0
	s_lshl_b64 s[0:1], s[20:21], 2
	s_delay_alu instid0(SALU_CYCLE_1)
	s_add_nc_u64 s[0:1], s[30:31], s[0:1]
	s_load_b64 s[2:3], s[0:1], 0x0
	s_wait_xcnt 0x0
	s_mov_b32 s1, exec_lo
	s_wait_kmcnt 0x0
	v_add_nc_u32_e32 v4, s2, v2
	s_sub_co_i32 s0, s3, s19
	s_delay_alu instid0(VALU_DEP_1) | instid1(SALU_CYCLE_1)
	v_cmpx_gt_i32_e64 s0, v4
	s_cbranch_execz .LBB46_45
; %bb.33:
	s_mov_b32 s2, 0
	s_branch .LBB46_36
.LBB46_34:                              ;   in Loop: Header=BB46_36 Depth=1
	s_or_b32 exec_lo, exec_lo, s8
.LBB46_35:                              ;   in Loop: Header=BB46_36 Depth=1
	s_delay_alu instid0(SALU_CYCLE_1) | instskip(SKIP_4) | instid1(VALU_DEP_3)
	s_or_b32 exec_lo, exec_lo, s3
	s_wait_loadcnt 0x0
	v_mul_f32_e64 v9, v3, -s38
	v_mul_f32_e32 v3, s33, v3
	v_lshl_add_u32 v5, v5, 3, 0
	v_dual_fmac_f32 v9, s33, v2 :: v_dual_add_nc_u32 v4, 0x200, v4
	s_delay_alu instid0(VALU_DEP_3) | instskip(SKIP_4) | instid1(SALU_CYCLE_1)
	v_fmac_f32_e32 v3, s38, v2
	ds_add_f32 v5, v9 offset:4096
	ds_add_f32 v5, v3 offset:4100
	v_cmp_le_i32_e32 vcc_lo, s0, v4
	s_or_b32 s2, vcc_lo, s2
	s_and_not1_b32 exec_lo, exec_lo, s2
	s_cbranch_execz .LBB46_45
.LBB46_36:                              ; =>This Loop Header: Depth=1
                                        ;     Child Loop BB46_39 Depth 2
	s_clause 0x1
	global_load_b32 v5, v4, s[4:5] scale_offset
	global_load_b64 v[2:3], v4, s[6:7] scale_offset
	s_mov_b32 s3, exec_lo
	s_wait_loadcnt 0x1
	v_subrev_nc_u32_e32 v9, s19, v5
	s_delay_alu instid0(VALU_DEP_1) | instskip(NEXT) | instid1(VALU_DEP_1)
	v_mul_lo_u32 v5, 0x89, v9
	v_and_b32_e32 v5, 0x3ff, v5
	s_delay_alu instid0(VALU_DEP_1)
	v_lshl_add_u32 v10, v5, 2, 0
	ds_load_b32 v11, v10
	s_wait_dscnt 0x0
	s_wait_xcnt 0x0
	v_cmpx_ne_u32_e64 v11, v9
	s_cbranch_execz .LBB46_35
; %bb.37:                               ;   in Loop: Header=BB46_36 Depth=1
	s_mov_b32 s8, 0
	s_branch .LBB46_39
.LBB46_38:                              ;   in Loop: Header=BB46_39 Depth=2
	s_or_b32 exec_lo, exec_lo, s11
	s_delay_alu instid0(SALU_CYCLE_1) | instskip(NEXT) | instid1(SALU_CYCLE_1)
	s_and_b32 s9, exec_lo, s10
	s_or_b32 s8, s9, s8
	s_delay_alu instid0(SALU_CYCLE_1)
	s_and_not1_b32 exec_lo, exec_lo, s8
	s_cbranch_execz .LBB46_34
.LBB46_39:                              ;   Parent Loop BB46_36 Depth=1
                                        ; =>  This Inner Loop Header: Depth=2
	s_mov_b32 s9, 0
	s_mov_b32 s10, exec_lo
	v_cmpx_ne_u32_e64 s28, v11
	s_xor_b32 s10, exec_lo, s10
	s_cbranch_execz .LBB46_41
; %bb.40:                               ;   in Loop: Header=BB46_39 Depth=2
	v_add_nc_u32_e32 v5, 1, v5
	s_mov_b32 s9, exec_lo
                                        ; implicit-def: $vgpr10
	s_delay_alu instid0(VALU_DEP_1)
	v_and_b32_e32 v5, 0x3ff, v5
	s_and_not1_saveexec_b32 s10, s10
	s_cbranch_execz .LBB46_43
	s_branch .LBB46_42
.LBB46_41:                              ;   in Loop: Header=BB46_39 Depth=2
	s_and_not1_saveexec_b32 s10, s10
	s_cbranch_execz .LBB46_43
.LBB46_42:                              ;   in Loop: Header=BB46_39 Depth=2
	v_mov_b32_e32 v11, s28
	s_and_not1_b32 s9, s9, exec_lo
	ds_cmpstore_rtn_b32 v10, v10, v9, v11
	s_wait_dscnt 0x0
	v_cmp_ne_u32_e32 vcc_lo, s28, v10
	s_and_b32 s11, vcc_lo, exec_lo
	s_delay_alu instid0(SALU_CYCLE_1)
	s_or_b32 s9, s9, s11
.LBB46_43:                              ;   in Loop: Header=BB46_39 Depth=2
	s_or_b32 exec_lo, exec_lo, s10
	s_mov_b32 s10, -1
                                        ; implicit-def: $vgpr10
                                        ; implicit-def: $vgpr11
	s_and_saveexec_b32 s11, s9
	s_cbranch_execz .LBB46_38
; %bb.44:                               ;   in Loop: Header=BB46_39 Depth=2
	v_lshl_add_u32 v10, v5, 2, 0
	ds_load_b32 v11, v10
	s_wait_dscnt 0x0
	v_cmp_eq_u32_e32 vcc_lo, v11, v9
	s_or_not1_b32 s10, vcc_lo, exec_lo
	s_branch .LBB46_38
.LBB46_45:
	s_or_b32 exec_lo, exec_lo, s1
.LBB46_46:
	v_mbcnt_lo_u32_b32 v2, -1, 0
	v_mov_b32_e32 v3, 0
	v_lshl_add_u32 v8, v8, 2, 0
	s_wait_xcnt 0x0
	v_cmp_lt_u32_e64 s0, 31, v0
	v_cmp_lt_u32_e64 s1, 63, v0
	v_xor_b32_e32 v2, 31, v2
	v_cmp_lt_u32_e64 s2, 0x5f, v0
	v_cmp_lt_u32_e64 s3, 0x7f, v0
	;; [unrolled: 1-line block ×4, first 2 shown]
	v_lshrrev_b32_e64 v2, v2, -1
	v_cmp_lt_u32_e64 s6, 0xdf, v0
	v_cmp_lt_u32_e64 s7, 0xff, v0
	;; [unrolled: 1-line block ×9, first 2 shown]
	v_mov_b32_e32 v9, 0
	s_mov_b32 s16, 0
	s_wait_dscnt 0x0
	v_cmp_eq_u32_e32 vcc_lo, 0x1ff, v0
	s_barrier_signal -1
	s_barrier_wait -1
	s_branch .LBB46_48
.LBB46_47:                              ;   in Loop: Header=BB46_48 Depth=1
	s_or_b32 exec_lo, exec_lo, s15
	s_wait_dscnt 0x0
	s_barrier_signal -1
	s_barrier_wait -1
	ds_load_b32 v4, v3 offset:12348
	v_add_co_u32 v6, s15, 0x200, v6
	s_xor_b32 s15, s15, -1
	v_add_nc_u32_e32 v7, 0x1000, v7
	v_add_nc_u32_e32 v1, 0x800, v1
	s_and_b32 s15, exec_lo, s15
	s_delay_alu instid0(SALU_CYCLE_1)
	s_or_b32 s16, s15, s16
	s_wait_dscnt 0x0
	v_add_nc_u32_e32 v9, v4, v9
	s_and_not1_b32 exec_lo, exec_lo, s16
	s_cbranch_execz .LBB46_82
.LBB46_48:                              ; =>This Inner Loop Header: Depth=1
	ds_load_b32 v10, v1
	ds_load_2addr_b32 v[4:5], v7 offset1:1
	s_wait_dscnt 0x0
	s_barrier_signal -1
	s_barrier_wait -1
	v_cmp_gt_i32_e64 s15, s28, v10
	s_bcnt1_i32_b32 s17, s15
	s_delay_alu instid0(SALU_CYCLE_1) | instskip(NEXT) | instid1(VALU_DEP_1)
	v_dual_mov_b32 v12, s17 :: v_dual_bitop2_b32 v11, s15, v2 bitop3:0x40
	v_bcnt_u32_b32 v11, v11, 0
	ds_store_b32 v8, v12 offset:12288
	s_wait_dscnt 0x0
	s_barrier_signal -1
	s_barrier_wait -1
	s_and_saveexec_b32 s17, s0
	s_cbranch_execz .LBB46_65
; %bb.49:                               ;   in Loop: Header=BB46_48 Depth=1
	ds_load_b32 v12, v3 offset:12288
	s_wait_dscnt 0x0
	v_add_nc_u32_e32 v11, v12, v11
	s_or_b32 exec_lo, exec_lo, s17
	s_and_saveexec_b32 s17, s1
	s_cbranch_execnz .LBB46_66
.LBB46_50:                              ;   in Loop: Header=BB46_48 Depth=1
	s_or_b32 exec_lo, exec_lo, s17
	s_and_saveexec_b32 s17, s2
	s_cbranch_execz .LBB46_67
.LBB46_51:                              ;   in Loop: Header=BB46_48 Depth=1
	ds_load_b32 v12, v3 offset:12296
	s_wait_dscnt 0x0
	v_add_nc_u32_e32 v11, v12, v11
	s_or_b32 exec_lo, exec_lo, s17
	s_and_saveexec_b32 s17, s3
	s_cbranch_execnz .LBB46_68
.LBB46_52:                              ;   in Loop: Header=BB46_48 Depth=1
	s_or_b32 exec_lo, exec_lo, s17
	s_and_saveexec_b32 s17, s4
	s_cbranch_execz .LBB46_69
.LBB46_53:                              ;   in Loop: Header=BB46_48 Depth=1
	ds_load_b32 v12, v3 offset:12304
	s_wait_dscnt 0x0
	v_add_nc_u32_e32 v11, v12, v11
	s_or_b32 exec_lo, exec_lo, s17
	s_and_saveexec_b32 s17, s5
	s_cbranch_execnz .LBB46_70
.LBB46_54:                              ;   in Loop: Header=BB46_48 Depth=1
	s_or_b32 exec_lo, exec_lo, s17
	s_and_saveexec_b32 s17, s6
	s_cbranch_execz .LBB46_71
.LBB46_55:                              ;   in Loop: Header=BB46_48 Depth=1
	ds_load_b32 v12, v3 offset:12312
	s_wait_dscnt 0x0
	v_add_nc_u32_e32 v11, v12, v11
	s_or_b32 exec_lo, exec_lo, s17
	s_and_saveexec_b32 s17, s7
	s_cbranch_execnz .LBB46_72
.LBB46_56:                              ;   in Loop: Header=BB46_48 Depth=1
	s_or_b32 exec_lo, exec_lo, s17
	s_and_saveexec_b32 s17, s8
	s_cbranch_execz .LBB46_73
.LBB46_57:                              ;   in Loop: Header=BB46_48 Depth=1
	ds_load_b32 v12, v3 offset:12320
	s_wait_dscnt 0x0
	v_add_nc_u32_e32 v11, v12, v11
	s_or_b32 exec_lo, exec_lo, s17
	s_and_saveexec_b32 s17, s9
	s_cbranch_execnz .LBB46_74
.LBB46_58:                              ;   in Loop: Header=BB46_48 Depth=1
	s_or_b32 exec_lo, exec_lo, s17
	s_and_saveexec_b32 s17, s10
	s_cbranch_execz .LBB46_75
.LBB46_59:                              ;   in Loop: Header=BB46_48 Depth=1
	ds_load_b32 v12, v3 offset:12328
	s_wait_dscnt 0x0
	v_add_nc_u32_e32 v11, v12, v11
	s_or_b32 exec_lo, exec_lo, s17
	s_and_saveexec_b32 s17, s11
	s_cbranch_execnz .LBB46_76
.LBB46_60:                              ;   in Loop: Header=BB46_48 Depth=1
	s_or_b32 exec_lo, exec_lo, s17
	s_and_saveexec_b32 s17, s12
	s_cbranch_execz .LBB46_77
.LBB46_61:                              ;   in Loop: Header=BB46_48 Depth=1
	ds_load_b32 v12, v3 offset:12336
	s_wait_dscnt 0x0
	v_add_nc_u32_e32 v11, v12, v11
	s_or_b32 exec_lo, exec_lo, s17
	s_and_saveexec_b32 s17, s13
	s_cbranch_execnz .LBB46_78
.LBB46_62:                              ;   in Loop: Header=BB46_48 Depth=1
	s_or_b32 exec_lo, exec_lo, s17
	s_and_saveexec_b32 s17, s14
	s_cbranch_execz .LBB46_79
.LBB46_63:                              ;   in Loop: Header=BB46_48 Depth=1
	ds_load_b32 v12, v3 offset:12344
	s_wait_dscnt 0x0
	v_add_nc_u32_e32 v11, v12, v11
	s_or_b32 exec_lo, exec_lo, s17
	s_and_saveexec_b32 s17, s15
	s_cbranch_execnz .LBB46_80
.LBB46_64:                              ;   in Loop: Header=BB46_48 Depth=1
	s_or_b32 exec_lo, exec_lo, s17
	s_and_saveexec_b32 s15, vcc_lo
	s_cbranch_execz .LBB46_47
	s_branch .LBB46_81
.LBB46_65:                              ;   in Loop: Header=BB46_48 Depth=1
	s_or_b32 exec_lo, exec_lo, s17
	s_and_saveexec_b32 s17, s1
	s_cbranch_execz .LBB46_50
.LBB46_66:                              ;   in Loop: Header=BB46_48 Depth=1
	ds_load_b32 v12, v3 offset:12292
	s_wait_dscnt 0x0
	v_add_nc_u32_e32 v11, v12, v11
	s_or_b32 exec_lo, exec_lo, s17
	s_and_saveexec_b32 s17, s2
	s_cbranch_execnz .LBB46_51
.LBB46_67:                              ;   in Loop: Header=BB46_48 Depth=1
	s_or_b32 exec_lo, exec_lo, s17
	s_and_saveexec_b32 s17, s3
	s_cbranch_execz .LBB46_52
.LBB46_68:                              ;   in Loop: Header=BB46_48 Depth=1
	ds_load_b32 v12, v3 offset:12300
	s_wait_dscnt 0x0
	v_add_nc_u32_e32 v11, v12, v11
	s_or_b32 exec_lo, exec_lo, s17
	s_and_saveexec_b32 s17, s4
	s_cbranch_execnz .LBB46_53
.LBB46_69:                              ;   in Loop: Header=BB46_48 Depth=1
	s_or_b32 exec_lo, exec_lo, s17
	s_and_saveexec_b32 s17, s5
	s_cbranch_execz .LBB46_54
.LBB46_70:                              ;   in Loop: Header=BB46_48 Depth=1
	ds_load_b32 v12, v3 offset:12308
	s_wait_dscnt 0x0
	v_add_nc_u32_e32 v11, v12, v11
	s_or_b32 exec_lo, exec_lo, s17
	s_and_saveexec_b32 s17, s6
	s_cbranch_execnz .LBB46_55
.LBB46_71:                              ;   in Loop: Header=BB46_48 Depth=1
	s_or_b32 exec_lo, exec_lo, s17
	s_and_saveexec_b32 s17, s7
	s_cbranch_execz .LBB46_56
.LBB46_72:                              ;   in Loop: Header=BB46_48 Depth=1
	ds_load_b32 v12, v3 offset:12316
	s_wait_dscnt 0x0
	v_add_nc_u32_e32 v11, v12, v11
	s_or_b32 exec_lo, exec_lo, s17
	s_and_saveexec_b32 s17, s8
	s_cbranch_execnz .LBB46_57
.LBB46_73:                              ;   in Loop: Header=BB46_48 Depth=1
	s_or_b32 exec_lo, exec_lo, s17
	s_and_saveexec_b32 s17, s9
	s_cbranch_execz .LBB46_58
.LBB46_74:                              ;   in Loop: Header=BB46_48 Depth=1
	ds_load_b32 v12, v3 offset:12324
	s_wait_dscnt 0x0
	v_add_nc_u32_e32 v11, v12, v11
	s_or_b32 exec_lo, exec_lo, s17
	s_and_saveexec_b32 s17, s10
	s_cbranch_execnz .LBB46_59
.LBB46_75:                              ;   in Loop: Header=BB46_48 Depth=1
	s_or_b32 exec_lo, exec_lo, s17
	s_and_saveexec_b32 s17, s11
	s_cbranch_execz .LBB46_60
.LBB46_76:                              ;   in Loop: Header=BB46_48 Depth=1
	ds_load_b32 v12, v3 offset:12332
	s_wait_dscnt 0x0
	v_add_nc_u32_e32 v11, v12, v11
	s_or_b32 exec_lo, exec_lo, s17
	s_and_saveexec_b32 s17, s12
	s_cbranch_execnz .LBB46_61
.LBB46_77:                              ;   in Loop: Header=BB46_48 Depth=1
	s_or_b32 exec_lo, exec_lo, s17
	s_and_saveexec_b32 s17, s13
	s_cbranch_execz .LBB46_62
.LBB46_78:                              ;   in Loop: Header=BB46_48 Depth=1
	ds_load_b32 v12, v3 offset:12340
	s_wait_dscnt 0x0
	v_add_nc_u32_e32 v11, v12, v11
	s_or_b32 exec_lo, exec_lo, s17
	s_and_saveexec_b32 s17, s14
	s_cbranch_execnz .LBB46_63
.LBB46_79:                              ;   in Loop: Header=BB46_48 Depth=1
	s_or_b32 exec_lo, exec_lo, s17
	s_and_saveexec_b32 s17, s15
	s_cbranch_execz .LBB46_64
.LBB46_80:                              ;   in Loop: Header=BB46_48 Depth=1
	s_delay_alu instid0(VALU_DEP_1) | instskip(SKIP_1) | instid1(VALU_DEP_2)
	v_add3_u32 v12, v9, -1, v11
	v_add_lshl_u32 v13, v9, v11, 3
	v_lshl_add_u32 v12, v12, 2, 0
	s_delay_alu instid0(VALU_DEP_2)
	v_add3_u32 v13, 0, v13, 0xff8
	ds_store_b32 v12, v10
	ds_store_2addr_b32 v13, v4, v5 offset1:1
	s_or_b32 exec_lo, exec_lo, s17
	s_and_saveexec_b32 s15, vcc_lo
	s_cbranch_execz .LBB46_47
.LBB46_81:                              ;   in Loop: Header=BB46_48 Depth=1
	ds_store_b32 v3, v11 offset:12348
	s_branch .LBB46_47
.LBB46_82:
	s_or_b32 exec_lo, exec_lo, s16
	s_wait_kmcnt 0x0
	s_ashr_i32 s21, s20, 31
	s_delay_alu instid0(SALU_CYCLE_1) | instskip(NEXT) | instid1(SALU_CYCLE_1)
	s_lshl_b64 s[0:1], s[20:21], 2
	s_add_nc_u64 s[2:3], s[26:27], s[0:1]
	s_load_b64 s[0:1], s[2:3], 0x0
	s_wait_kmcnt 0x0
	s_sub_co_i32 s4, s1, s0
	s_mov_b32 s1, exec_lo
	v_cmpx_gt_i32_e64 s4, v0
	s_cbranch_execz .LBB46_96
; %bb.83:
	v_sub_co_u32 v1, s1, s4, 2
	s_sub_co_i32 s2, s0, s18
	s_xor_b32 s6, s1, -1
	s_and_b32 s5, s4, -2
	v_readfirstlane_b32 s3, v1
	s_lshr_b32 s0, s3, 1
	s_mov_b32 s3, 0
	s_add_co_i32 s0, s0, 1
	s_mov_b32 s11, s3
	s_and_b32 s1, s0, 7
	s_and_b32 s7, s0, -8
	s_cmp_lg_u32 s1, 0
	v_cmp_lt_u32_e64 s0, 13, v1
	s_cselect_b32 s8, -1, 0
	s_cmp_lg_u32 s4, s5
	s_cselect_b32 s9, -1, 0
	s_lshl_b32 s10, s1, 3
	s_branch .LBB46_85
.LBB46_84:                              ;   in Loop: Header=BB46_85 Depth=1
	v_add_nc_u32_e32 v0, 0x200, v0
	s_wait_dscnt 0x0
	global_store_b64 v4, v[2:3], s[24:25] scale_offset
	v_cmp_le_i32_e32 vcc_lo, s4, v0
	s_or_b32 s11, vcc_lo, s11
	s_wait_xcnt 0x0
	s_and_not1_b32 exec_lo, exec_lo, s11
	s_cbranch_execz .LBB46_96
.LBB46_85:                              ; =>This Loop Header: Depth=1
                                        ;     Child Loop BB46_88 Depth 2
                                        ;     Child Loop BB46_91 Depth 2
                                        ;     Child Loop BB46_95 Depth 2
	v_dual_mov_b32 v4, s2 :: v_dual_lshlrev_b32 v1, 2, v0
	s_and_not1_b32 vcc_lo, exec_lo, s6
	s_mov_b32 s1, 0
	s_mov_b32 s12, -1
	s_delay_alu instid0(VALU_DEP_1) | instskip(NEXT) | instid1(VALU_DEP_1)
	v_add_nc_u32_e32 v2, 0, v1
	v_add3_u32 v3, v2, v1, 0x1000
	ds_load_b32 v1, v2
	ds_load_2addr_b32 v[2:3], v3 offset1:1
	s_cbranch_vccnz .LBB46_93
; %bb.86:                               ;   in Loop: Header=BB46_85 Depth=1
	v_mov_b64_e32 v[4:5], s[2:3]
	s_and_not1_b32 vcc_lo, exec_lo, s0
	s_mov_b32 s12, 0
	s_cbranch_vccnz .LBB46_89
; %bb.87:                               ;   in Loop: Header=BB46_85 Depth=1
	v_dual_mov_b32 v4, s2 :: v_dual_mov_b32 v5, 0
	s_mov_b32 s13, 0
	s_mov_b32 s14, s7
.LBB46_88:                              ;   Parent Loop BB46_85 Depth=1
                                        ; =>  This Inner Loop Header: Depth=2
	v_mov_b32_e32 v20, s13
	s_add_co_i32 s14, s14, -8
	s_add_co_i32 s12, s12, 16
	s_add_co_i32 s13, s13, 64
	s_cmp_lg_u32 s14, 0
	ds_load_2addr_b32 v[6:7], v20 offset1:1
	ds_load_2addr_b32 v[8:9], v20 offset0:2 offset1:3
	ds_load_2addr_b32 v[10:11], v20 offset0:4 offset1:5
	;; [unrolled: 1-line block ×7, first 2 shown]
	s_wait_dscnt 0x7
	v_cmp_gt_i32_e32 vcc_lo, v1, v7
	s_wait_dscnt 0x5
	v_cmp_gt_i32_e64 s1, v1, v10
	v_cndmask_b32_e64 v7, 0, 1, vcc_lo
	v_cmp_gt_i32_e32 vcc_lo, v1, v6
	v_cndmask_b32_e64 v6, 0, 1, vcc_lo
	v_cmp_gt_i32_e32 vcc_lo, v1, v8
	v_cndmask_b32_e64 v8, 0, 1, s1
	v_cmp_gt_i32_e64 s1, v1, v11
	s_delay_alu instid0(VALU_DEP_4) | instskip(NEXT) | instid1(VALU_DEP_2)
	v_add_co_ci_u32_e64 v4, null, v4, v6, vcc_lo
	v_cndmask_b32_e64 v10, 0, 1, s1
	s_wait_dscnt 0x4
	v_cmp_gt_i32_e64 s1, v1, v13
	s_wait_dscnt 0x2
	v_cmp_gt_i32_e32 vcc_lo, v1, v16
	s_delay_alu instid0(VALU_DEP_2) | instskip(SKIP_4) | instid1(VALU_DEP_3)
	v_cndmask_b32_e64 v11, 0, 1, s1
	v_cmp_gt_i32_e64 s1, v1, v12
	v_add_co_ci_u32_e64 v4, null, v4, v8, vcc_lo
	s_wait_dscnt 0x1
	v_cmp_gt_i32_e32 vcc_lo, v1, v18
	v_cndmask_b32_e64 v12, 0, 1, s1
	v_cmp_gt_i32_e64 s1, v1, v14
	s_delay_alu instid0(VALU_DEP_2) | instskip(NEXT) | instid1(VALU_DEP_2)
	v_add_co_ci_u32_e64 v4, null, v4, v12, vcc_lo
	v_cndmask_b32_e64 v13, 0, 1, s1
	v_cmp_gt_i32_e64 s1, v1, v15
	s_wait_dscnt 0x0
	v_cmp_gt_i32_e32 vcc_lo, v1, v20
	s_delay_alu instid0(VALU_DEP_2) | instskip(SKIP_2) | instid1(VALU_DEP_2)
	v_cndmask_b32_e64 v14, 0, 1, s1
	v_cmp_gt_i32_e64 s1, v1, v9
	v_add_co_ci_u32_e64 v4, null, v4, v13, vcc_lo
	v_add_co_ci_u32_e64 v5, null, v5, v7, s1
	v_cmp_gt_i32_e64 s1, v1, v17
	s_delay_alu instid0(VALU_DEP_1) | instskip(SKIP_1) | instid1(VALU_DEP_1)
	v_add_co_ci_u32_e64 v5, null, v5, v10, s1
	v_cmp_gt_i32_e64 s1, v1, v19
	v_add_co_ci_u32_e64 v5, null, v5, v11, s1
	v_cmp_gt_i32_e64 s1, v1, v21
	s_delay_alu instid0(VALU_DEP_1)
	v_add_co_ci_u32_e64 v5, null, v5, v14, s1
	s_cbranch_scc1 .LBB46_88
.LBB46_89:                              ;   in Loop: Header=BB46_85 Depth=1
	s_and_not1_b32 vcc_lo, exec_lo, s8
	s_cbranch_vccnz .LBB46_92
; %bb.90:                               ;   in Loop: Header=BB46_85 Depth=1
	s_lshl_b32 s1, s12, 2
	s_mov_b32 s12, s10
	s_add_co_i32 s1, s1, 0
.LBB46_91:                              ;   Parent Loop BB46_85 Depth=1
                                        ; =>  This Inner Loop Header: Depth=2
	s_delay_alu instid0(SALU_CYCLE_1)
	v_mov_b32_e32 v6, s1
	s_add_co_i32 s12, s12, -8
	s_add_co_i32 s1, s1, 8
	s_cmp_lg_u32 s12, 0
	ds_load_2addr_b32 v[6:7], v6 offset1:1
	s_wait_dscnt 0x0
	v_cmp_gt_i32_e32 vcc_lo, v1, v7
	v_add_co_ci_u32_e64 v5, null, 0, v5, vcc_lo
	v_cmp_gt_i32_e32 vcc_lo, v1, v6
	v_add_co_ci_u32_e64 v4, null, 0, v4, vcc_lo
	s_cbranch_scc1 .LBB46_91
.LBB46_92:                              ;   in Loop: Header=BB46_85 Depth=1
	s_delay_alu instid0(VALU_DEP_1)
	v_add_nc_u32_e32 v4, v4, v5
	s_mov_b32 s1, s5
	s_mov_b32 s12, s9
.LBB46_93:                              ;   in Loop: Header=BB46_85 Depth=1
	s_delay_alu instid0(SALU_CYCLE_1)
	s_and_b32 vcc_lo, exec_lo, s12
	s_cbranch_vccz .LBB46_84
; %bb.94:                               ;   in Loop: Header=BB46_85 Depth=1
	s_lshl_b32 s12, s1, 2
	s_delay_alu instid0(SALU_CYCLE_1)
	s_add_co_i32 s12, s12, 0
.LBB46_95:                              ;   Parent Loop BB46_85 Depth=1
                                        ; =>  This Inner Loop Header: Depth=2
	s_delay_alu instid0(SALU_CYCLE_1)
	v_mov_b32_e32 v5, s12
	s_add_co_i32 s1, s1, 1
	s_add_co_i32 s12, s12, 4
	s_cmp_ge_i32 s1, s4
	ds_load_b32 v5, v5
	s_wait_dscnt 0x0
	v_cmp_gt_i32_e32 vcc_lo, v1, v5
	v_add_co_ci_u32_e64 v4, null, 0, v4, vcc_lo
	s_cbranch_scc0 .LBB46_95
	s_branch .LBB46_84
.LBB46_96:
	s_endpgm
	.section	.rodata,"a",@progbits
	.p2align	6, 0x0
	.amdhsa_kernel _ZN9rocsparseL41csrgemm_numeric_fill_block_per_row_kernelILj512ELj32ELj1024ELj137ELj32Eii21rocsparse_complex_numIfEEEvT5_PKS3_S5_NS_24const_host_device_scalarIT6_EEPKT4_S5_PKS7_SB_S5_SD_S8_SB_S5_SD_SB_S5_PS7_21rocsparse_index_base_SF_SF_SF_bbb
		.amdhsa_group_segment_fixed_size 0
		.amdhsa_private_segment_fixed_size 0
		.amdhsa_kernarg_size 156
		.amdhsa_user_sgpr_count 2
		.amdhsa_user_sgpr_dispatch_ptr 0
		.amdhsa_user_sgpr_queue_ptr 0
		.amdhsa_user_sgpr_kernarg_segment_ptr 1
		.amdhsa_user_sgpr_dispatch_id 0
		.amdhsa_user_sgpr_kernarg_preload_length 0
		.amdhsa_user_sgpr_kernarg_preload_offset 0
		.amdhsa_user_sgpr_private_segment_size 0
		.amdhsa_wavefront_size32 1
		.amdhsa_uses_dynamic_stack 0
		.amdhsa_enable_private_segment 0
		.amdhsa_system_sgpr_workgroup_id_x 1
		.amdhsa_system_sgpr_workgroup_id_y 0
		.amdhsa_system_sgpr_workgroup_id_z 0
		.amdhsa_system_sgpr_workgroup_info 0
		.amdhsa_system_vgpr_workitem_id 0
		.amdhsa_next_free_vgpr 22
		.amdhsa_next_free_sgpr 42
		.amdhsa_named_barrier_count 0
		.amdhsa_reserve_vcc 1
		.amdhsa_float_round_mode_32 0
		.amdhsa_float_round_mode_16_64 0
		.amdhsa_float_denorm_mode_32 3
		.amdhsa_float_denorm_mode_16_64 3
		.amdhsa_fp16_overflow 0
		.amdhsa_memory_ordered 1
		.amdhsa_forward_progress 1
		.amdhsa_inst_pref_size 28
		.amdhsa_round_robin_scheduling 0
		.amdhsa_exception_fp_ieee_invalid_op 0
		.amdhsa_exception_fp_denorm_src 0
		.amdhsa_exception_fp_ieee_div_zero 0
		.amdhsa_exception_fp_ieee_overflow 0
		.amdhsa_exception_fp_ieee_underflow 0
		.amdhsa_exception_fp_ieee_inexact 0
		.amdhsa_exception_int_div_zero 0
	.end_amdhsa_kernel
	.section	.text._ZN9rocsparseL41csrgemm_numeric_fill_block_per_row_kernelILj512ELj32ELj1024ELj137ELj32Eii21rocsparse_complex_numIfEEEvT5_PKS3_S5_NS_24const_host_device_scalarIT6_EEPKT4_S5_PKS7_SB_S5_SD_S8_SB_S5_SD_SB_S5_PS7_21rocsparse_index_base_SF_SF_SF_bbb,"axG",@progbits,_ZN9rocsparseL41csrgemm_numeric_fill_block_per_row_kernelILj512ELj32ELj1024ELj137ELj32Eii21rocsparse_complex_numIfEEEvT5_PKS3_S5_NS_24const_host_device_scalarIT6_EEPKT4_S5_PKS7_SB_S5_SD_S8_SB_S5_SD_SB_S5_PS7_21rocsparse_index_base_SF_SF_SF_bbb,comdat
.Lfunc_end46:
	.size	_ZN9rocsparseL41csrgemm_numeric_fill_block_per_row_kernelILj512ELj32ELj1024ELj137ELj32Eii21rocsparse_complex_numIfEEEvT5_PKS3_S5_NS_24const_host_device_scalarIT6_EEPKT4_S5_PKS7_SB_S5_SD_S8_SB_S5_SD_SB_S5_PS7_21rocsparse_index_base_SF_SF_SF_bbb, .Lfunc_end46-_ZN9rocsparseL41csrgemm_numeric_fill_block_per_row_kernelILj512ELj32ELj1024ELj137ELj32Eii21rocsparse_complex_numIfEEEvT5_PKS3_S5_NS_24const_host_device_scalarIT6_EEPKT4_S5_PKS7_SB_S5_SD_S8_SB_S5_SD_SB_S5_PS7_21rocsparse_index_base_SF_SF_SF_bbb
                                        ; -- End function
	.set _ZN9rocsparseL41csrgemm_numeric_fill_block_per_row_kernelILj512ELj32ELj1024ELj137ELj32Eii21rocsparse_complex_numIfEEEvT5_PKS3_S5_NS_24const_host_device_scalarIT6_EEPKT4_S5_PKS7_SB_S5_SD_S8_SB_S5_SD_SB_S5_PS7_21rocsparse_index_base_SF_SF_SF_bbb.num_vgpr, 22
	.set _ZN9rocsparseL41csrgemm_numeric_fill_block_per_row_kernelILj512ELj32ELj1024ELj137ELj32Eii21rocsparse_complex_numIfEEEvT5_PKS3_S5_NS_24const_host_device_scalarIT6_EEPKT4_S5_PKS7_SB_S5_SD_S8_SB_S5_SD_SB_S5_PS7_21rocsparse_index_base_SF_SF_SF_bbb.num_agpr, 0
	.set _ZN9rocsparseL41csrgemm_numeric_fill_block_per_row_kernelILj512ELj32ELj1024ELj137ELj32Eii21rocsparse_complex_numIfEEEvT5_PKS3_S5_NS_24const_host_device_scalarIT6_EEPKT4_S5_PKS7_SB_S5_SD_S8_SB_S5_SD_SB_S5_PS7_21rocsparse_index_base_SF_SF_SF_bbb.numbered_sgpr, 42
	.set _ZN9rocsparseL41csrgemm_numeric_fill_block_per_row_kernelILj512ELj32ELj1024ELj137ELj32Eii21rocsparse_complex_numIfEEEvT5_PKS3_S5_NS_24const_host_device_scalarIT6_EEPKT4_S5_PKS7_SB_S5_SD_S8_SB_S5_SD_SB_S5_PS7_21rocsparse_index_base_SF_SF_SF_bbb.num_named_barrier, 0
	.set _ZN9rocsparseL41csrgemm_numeric_fill_block_per_row_kernelILj512ELj32ELj1024ELj137ELj32Eii21rocsparse_complex_numIfEEEvT5_PKS3_S5_NS_24const_host_device_scalarIT6_EEPKT4_S5_PKS7_SB_S5_SD_S8_SB_S5_SD_SB_S5_PS7_21rocsparse_index_base_SF_SF_SF_bbb.private_seg_size, 0
	.set _ZN9rocsparseL41csrgemm_numeric_fill_block_per_row_kernelILj512ELj32ELj1024ELj137ELj32Eii21rocsparse_complex_numIfEEEvT5_PKS3_S5_NS_24const_host_device_scalarIT6_EEPKT4_S5_PKS7_SB_S5_SD_S8_SB_S5_SD_SB_S5_PS7_21rocsparse_index_base_SF_SF_SF_bbb.uses_vcc, 1
	.set _ZN9rocsparseL41csrgemm_numeric_fill_block_per_row_kernelILj512ELj32ELj1024ELj137ELj32Eii21rocsparse_complex_numIfEEEvT5_PKS3_S5_NS_24const_host_device_scalarIT6_EEPKT4_S5_PKS7_SB_S5_SD_S8_SB_S5_SD_SB_S5_PS7_21rocsparse_index_base_SF_SF_SF_bbb.uses_flat_scratch, 0
	.set _ZN9rocsparseL41csrgemm_numeric_fill_block_per_row_kernelILj512ELj32ELj1024ELj137ELj32Eii21rocsparse_complex_numIfEEEvT5_PKS3_S5_NS_24const_host_device_scalarIT6_EEPKT4_S5_PKS7_SB_S5_SD_S8_SB_S5_SD_SB_S5_PS7_21rocsparse_index_base_SF_SF_SF_bbb.has_dyn_sized_stack, 0
	.set _ZN9rocsparseL41csrgemm_numeric_fill_block_per_row_kernelILj512ELj32ELj1024ELj137ELj32Eii21rocsparse_complex_numIfEEEvT5_PKS3_S5_NS_24const_host_device_scalarIT6_EEPKT4_S5_PKS7_SB_S5_SD_S8_SB_S5_SD_SB_S5_PS7_21rocsparse_index_base_SF_SF_SF_bbb.has_recursion, 0
	.set _ZN9rocsparseL41csrgemm_numeric_fill_block_per_row_kernelILj512ELj32ELj1024ELj137ELj32Eii21rocsparse_complex_numIfEEEvT5_PKS3_S5_NS_24const_host_device_scalarIT6_EEPKT4_S5_PKS7_SB_S5_SD_S8_SB_S5_SD_SB_S5_PS7_21rocsparse_index_base_SF_SF_SF_bbb.has_indirect_call, 0
	.section	.AMDGPU.csdata,"",@progbits
; Kernel info:
; codeLenInByte = 3580
; TotalNumSgprs: 44
; NumVgprs: 22
; ScratchSize: 0
; MemoryBound: 0
; FloatMode: 240
; IeeeMode: 1
; LDSByteSize: 0 bytes/workgroup (compile time only)
; SGPRBlocks: 0
; VGPRBlocks: 1
; NumSGPRsForWavesPerEU: 44
; NumVGPRsForWavesPerEU: 22
; NamedBarCnt: 0
; Occupancy: 16
; WaveLimiterHint : 1
; COMPUTE_PGM_RSRC2:SCRATCH_EN: 0
; COMPUTE_PGM_RSRC2:USER_SGPR: 2
; COMPUTE_PGM_RSRC2:TRAP_HANDLER: 0
; COMPUTE_PGM_RSRC2:TGID_X_EN: 1
; COMPUTE_PGM_RSRC2:TGID_Y_EN: 0
; COMPUTE_PGM_RSRC2:TGID_Z_EN: 0
; COMPUTE_PGM_RSRC2:TIDIG_COMP_CNT: 0
	.section	.text._ZN9rocsparseL41csrgemm_numeric_fill_block_per_row_kernelILj512ELj32ELj1024ELj137ELj64Eii21rocsparse_complex_numIfEEEvT5_PKS3_S5_NS_24const_host_device_scalarIT6_EEPKT4_S5_PKS7_SB_S5_SD_S8_SB_S5_SD_SB_S5_PS7_21rocsparse_index_base_SF_SF_SF_bbb,"axG",@progbits,_ZN9rocsparseL41csrgemm_numeric_fill_block_per_row_kernelILj512ELj32ELj1024ELj137ELj64Eii21rocsparse_complex_numIfEEEvT5_PKS3_S5_NS_24const_host_device_scalarIT6_EEPKT4_S5_PKS7_SB_S5_SD_S8_SB_S5_SD_SB_S5_PS7_21rocsparse_index_base_SF_SF_SF_bbb,comdat
	.globl	_ZN9rocsparseL41csrgemm_numeric_fill_block_per_row_kernelILj512ELj32ELj1024ELj137ELj64Eii21rocsparse_complex_numIfEEEvT5_PKS3_S5_NS_24const_host_device_scalarIT6_EEPKT4_S5_PKS7_SB_S5_SD_S8_SB_S5_SD_SB_S5_PS7_21rocsparse_index_base_SF_SF_SF_bbb ; -- Begin function _ZN9rocsparseL41csrgemm_numeric_fill_block_per_row_kernelILj512ELj32ELj1024ELj137ELj64Eii21rocsparse_complex_numIfEEEvT5_PKS3_S5_NS_24const_host_device_scalarIT6_EEPKT4_S5_PKS7_SB_S5_SD_S8_SB_S5_SD_SB_S5_PS7_21rocsparse_index_base_SF_SF_SF_bbb
	.p2align	8
	.type	_ZN9rocsparseL41csrgemm_numeric_fill_block_per_row_kernelILj512ELj32ELj1024ELj137ELj64Eii21rocsparse_complex_numIfEEEvT5_PKS3_S5_NS_24const_host_device_scalarIT6_EEPKT4_S5_PKS7_SB_S5_SD_S8_SB_S5_SD_SB_S5_PS7_21rocsparse_index_base_SF_SF_SF_bbb,@function
_ZN9rocsparseL41csrgemm_numeric_fill_block_per_row_kernelILj512ELj32ELj1024ELj137ELj64Eii21rocsparse_complex_numIfEEEvT5_PKS3_S5_NS_24const_host_device_scalarIT6_EEPKT4_S5_PKS7_SB_S5_SD_S8_SB_S5_SD_SB_S5_PS7_21rocsparse_index_base_SF_SF_SF_bbb: ; @_ZN9rocsparseL41csrgemm_numeric_fill_block_per_row_kernelILj512ELj32ELj1024ELj137ELj64Eii21rocsparse_complex_numIfEEEvT5_PKS3_S5_NS_24const_host_device_scalarIT6_EEPKT4_S5_PKS7_SB_S5_SD_S8_SB_S5_SD_SB_S5_PS7_21rocsparse_index_base_SF_SF_SF_bbb
; %bb.0:
	s_clause 0x7
	s_load_b32 s33, s[0:1], 0x98
	s_load_b128 s[8:11], s[0:1], 0x88
	s_load_b64 s[24:25], s[0:1], 0x80
	s_load_b128 s[4:7], s[0:1], 0x60
	s_load_b128 s[20:23], s[0:1], 0x8
	s_load_b64 s[2:3], s[0:1], 0x28
	s_load_b128 s[12:15], s[0:1], 0x40
	s_load_b64 s[36:37], s[0:1], 0x50
	s_mov_b32 s29, 0
	s_mov_b32 s39, 0
	s_wait_kmcnt 0x0
	s_bitcmp1_b32 s33, 0
	s_cselect_b32 s41, -1, 0
	s_bitcmp1_b32 s33, 16
	s_cselect_b32 s16, -1, 0
	s_delay_alu instid0(SALU_CYCLE_1) | instskip(SKIP_2) | instid1(VALU_DEP_1)
	s_xor_b32 s16, s16, -1
	s_bitcmp0_b32 s33, 0
	v_cndmask_b32_e64 v1, 0, 1, s16
	v_cmp_ne_u32_e32 vcc_lo, 1, v1
	s_cbranch_scc1 .LBB47_5
; %bb.1:
	s_load_b64 s[28:29], s[0:1], 0x18
	s_and_b32 vcc_lo, exec_lo, vcc_lo
	s_wait_kmcnt 0x0
	s_mov_b32 s39, s28
	s_cbranch_vccnz .LBB47_3
; %bb.2:
	s_load_b32 s39, s[28:29], 0x0
.LBB47_3:
	s_and_not1_b32 vcc_lo, exec_lo, s16
	s_cbranch_vccnz .LBB47_5
; %bb.4:
	s_wait_xcnt 0x0
	s_load_b32 s29, s[28:29], 0x4
.LBB47_5:
	s_clause 0x3
	s_load_b64 s[26:27], s[0:1], 0x70
	s_load_b64 s[30:31], s[0:1], 0x58
	;; [unrolled: 1-line block ×3, first 2 shown]
	s_load_b128 s[16:19], s[0:1], 0x30
	s_bitcmp1_b32 s33, 8
	s_mov_b32 s38, 0
	s_cselect_b32 s40, -1, 0
	s_wait_xcnt 0x0
	s_bfe_u32 s28, s33, 0x10008
	s_mov_b32 s33, 0
	s_cmp_eq_u32 s28, 0
	s_cbranch_scc1 .LBB47_11
; %bb.6:
	v_cmp_ne_u32_e32 vcc_lo, 1, v1
	s_mov_b32 s33, s36
	s_cbranch_vccnz .LBB47_8
; %bb.7:
	s_load_b32 s33, s[36:37], 0x0
.LBB47_8:
	v_cmp_ne_u32_e32 vcc_lo, 1, v1
	s_cbranch_vccnz .LBB47_10
; %bb.9:
	s_wait_xcnt 0x0
	s_load_b32 s37, s[36:37], 0x4
.LBB47_10:
	s_wait_kmcnt 0x0
	s_mov_b32 s38, s37
.LBB47_11:
	s_load_b32 s28, s[0:1], 0x0
	v_lshl_add_u32 v1, v0, 2, 0
	v_lshlrev_b32_e32 v2, 3, v0
	v_or_b32_e32 v6, 0xfffffe00, v0
	s_wait_xcnt 0x0
	s_mov_b32 s0, 0
	v_mov_b32_e32 v3, v1
	v_add3_u32 v7, v2, 0, 0x1000
	v_dual_mov_b32 v2, 0 :: v_dual_mov_b32 v4, v6
	s_wait_kmcnt 0x0
	s_delay_alu instid0(VALU_DEP_2)
	v_dual_mov_b32 v8, v7 :: v_dual_mov_b32 v5, s28
.LBB47_12:                              ; =>This Inner Loop Header: Depth=1
	s_delay_alu instid0(VALU_DEP_2)
	v_add_co_u32 v4, s1, 0x200, v4
	s_xor_b32 s1, s1, -1
	ds_store_b32 v3, v5
	ds_store_2addr_b32 v8, v2, v2 offset1:1
	v_add_nc_u32_e32 v8, 0x1000, v8
	v_add_nc_u32_e32 v3, 0x800, v3
	s_and_b32 s1, exec_lo, s1
	s_delay_alu instid0(SALU_CYCLE_1) | instskip(NEXT) | instid1(SALU_CYCLE_1)
	s_or_b32 s0, s1, s0
	s_and_not1_b32 exec_lo, exec_lo, s0
	s_cbranch_execnz .LBB47_12
; %bb.13:
	s_or_b32 exec_lo, exec_lo, s0
	s_wait_dscnt 0x0
	s_barrier_signal -1
	s_barrier_wait -1
	s_load_b32 s0, s[20:21], 0x0
	s_bfe_u32 s1, ttmp6, 0x4000c
	s_wait_xcnt 0x0
	s_and_b32 s20, ttmp6, 15
	s_add_co_i32 s1, s1, 1
	s_getreg_b32 s21, hwreg(HW_REG_IB_STS2, 6, 4)
	s_mul_i32 s1, ttmp9, s1
	s_delay_alu instid0(SALU_CYCLE_1)
	s_add_co_i32 s20, s20, s1
	s_cmp_eq_u32 s21, 0
	s_cselect_b32 s1, ttmp9, s20
	s_and_b32 vcc_lo, exec_lo, s41
	s_wait_kmcnt 0x0
	s_add_co_i32 s0, s0, s1
	s_load_b32 s20, s[22:23], s0 offset:0x0 scale_offset
	s_cbranch_vccz .LBB47_31
; %bb.14:
	s_wait_kmcnt 0x0
	s_ashr_i32 s21, s20, 31
	v_lshrrev_b32_e32 v2, 5, v0
	s_lshl_b64 s[0:1], s[20:21], 2
	s_delay_alu instid0(SALU_CYCLE_1) | instskip(NEXT) | instid1(VALU_DEP_1)
	s_add_nc_u64 s[0:1], s[34:35], s[0:1]
	v_subrev_nc_u32_e32 v2, s8, v2
	s_load_b64 s[22:23], s[0:1], 0x0
	s_wait_xcnt 0x0
	s_mov_b32 s1, exec_lo
	s_wait_kmcnt 0x0
	v_add_nc_u32_e32 v2, s22, v2
	s_sub_co_i32 s0, s23, s8
	s_delay_alu instid0(VALU_DEP_1) | instid1(SALU_CYCLE_1)
	v_cmpx_gt_i32_e64 s0, v2
	s_cbranch_execz .LBB47_30
; %bb.15:
	v_and_b32_e32 v3, 31, v0
	s_mov_b32 s21, 0
	s_delay_alu instid0(VALU_DEP_1)
	v_subrev_nc_u32_e32 v8, s9, v3
	s_branch .LBB47_17
.LBB47_16:                              ;   in Loop: Header=BB47_17 Depth=1
	s_or_b32 exec_lo, exec_lo, s22
	v_add_nc_u32_e32 v2, 16, v2
	s_delay_alu instid0(VALU_DEP_1) | instskip(SKIP_1) | instid1(SALU_CYCLE_1)
	v_cmp_le_i32_e32 vcc_lo, s0, v2
	s_or_b32 s21, vcc_lo, s21
	s_and_not1_b32 exec_lo, exec_lo, s21
	s_cbranch_execz .LBB47_30
.LBB47_17:                              ; =>This Loop Header: Depth=1
                                        ;     Child Loop BB47_21 Depth 2
                                        ;       Child Loop BB47_24 Depth 3
	global_load_b32 v3, v2, s[2:3] scale_offset
	s_mov_b32 s22, exec_lo
	s_wait_loadcnt 0x0
	v_subrev_nc_u32_e32 v4, s8, v3
	s_delay_alu instid0(VALU_DEP_1) | instskip(NEXT) | instid1(VALU_DEP_1)
	v_ashrrev_i32_e32 v5, 31, v4
	v_lshl_add_u64 v[4:5], v[4:5], 2, s[18:19]
	global_load_b64 v[4:5], v[4:5], off
	s_wait_loadcnt 0x0
	v_subrev_nc_u32_e32 v9, s9, v5
	v_add_nc_u32_e32 v10, v4, v8
	s_wait_xcnt 0x0
	s_delay_alu instid0(VALU_DEP_1)
	v_cmpx_lt_i32_e64 v10, v9
	s_cbranch_execz .LBB47_16
; %bb.18:                               ;   in Loop: Header=BB47_17 Depth=1
	v_ashrrev_i32_e32 v3, 31, v2
	s_mov_b32 s23, 0
	s_delay_alu instid0(VALU_DEP_1) | instskip(SKIP_3) | instid1(VALU_DEP_1)
	v_lshl_add_u64 v[4:5], v[2:3], 3, s[16:17]
	global_load_b64 v[4:5], v[4:5], off
	s_wait_loadcnt 0x0
	v_mul_f32_e64 v3, v5, -s29
	v_dual_mul_f32 v11, s39, v5 :: v_dual_fmac_f32 v3, s39, v4
	s_delay_alu instid0(VALU_DEP_1)
	v_fmac_f32_e32 v11, s29, v4
	s_branch .LBB47_21
.LBB47_19:                              ;   in Loop: Header=BB47_21 Depth=2
	s_or_b32 exec_lo, exec_lo, s35
.LBB47_20:                              ;   in Loop: Header=BB47_21 Depth=2
	s_delay_alu instid0(SALU_CYCLE_1) | instskip(SKIP_3) | instid1(VALU_DEP_2)
	s_or_b32 exec_lo, exec_lo, s34
	s_wait_loadcnt 0x0
	v_dual_mul_f32 v13, v5, -v11 :: v_dual_mul_f32 v5, v3, v5
	v_lshl_add_u32 v12, v12, 3, 0
	v_dual_fmac_f32 v13, v3, v4 :: v_dual_add_nc_u32 v10, 32, v10
	s_delay_alu instid0(VALU_DEP_3) | instskip(SKIP_4) | instid1(SALU_CYCLE_1)
	v_fmac_f32_e32 v5, v11, v4
	ds_add_f32 v12, v13 offset:4096
	ds_add_f32 v12, v5 offset:4100
	v_cmp_ge_i32_e32 vcc_lo, v10, v9
	s_or_b32 s23, vcc_lo, s23
	s_and_not1_b32 exec_lo, exec_lo, s23
	s_cbranch_execz .LBB47_16
.LBB47_21:                              ;   Parent Loop BB47_17 Depth=1
                                        ; =>  This Loop Header: Depth=2
                                        ;       Child Loop BB47_24 Depth 3
	s_clause 0x1
	global_load_b32 v12, v10, s[12:13] scale_offset
	global_load_b64 v[4:5], v10, s[14:15] scale_offset
	s_mov_b32 s34, exec_lo
	s_wait_loadcnt 0x1
	v_subrev_nc_u32_e32 v13, s9, v12
	s_delay_alu instid0(VALU_DEP_1) | instskip(NEXT) | instid1(VALU_DEP_1)
	v_mul_lo_u32 v12, 0x89, v13
	v_and_b32_e32 v12, 0x3ff, v12
	s_delay_alu instid0(VALU_DEP_1)
	v_lshl_add_u32 v14, v12, 2, 0
	ds_load_b32 v15, v14
	s_wait_dscnt 0x0
	s_wait_xcnt 0x0
	v_cmpx_ne_u32_e64 v15, v13
	s_cbranch_execz .LBB47_20
; %bb.22:                               ;   in Loop: Header=BB47_21 Depth=2
	s_mov_b32 s35, 0
	s_branch .LBB47_24
.LBB47_23:                              ;   in Loop: Header=BB47_24 Depth=3
	s_or_b32 exec_lo, exec_lo, s41
	s_delay_alu instid0(SALU_CYCLE_1) | instskip(NEXT) | instid1(SALU_CYCLE_1)
	s_and_b32 s36, exec_lo, s37
	s_or_b32 s35, s36, s35
	s_delay_alu instid0(SALU_CYCLE_1)
	s_and_not1_b32 exec_lo, exec_lo, s35
	s_cbranch_execz .LBB47_19
.LBB47_24:                              ;   Parent Loop BB47_17 Depth=1
                                        ;     Parent Loop BB47_21 Depth=2
                                        ; =>    This Inner Loop Header: Depth=3
	s_mov_b32 s36, 0
	s_mov_b32 s37, exec_lo
	v_cmpx_ne_u32_e64 s28, v15
	s_xor_b32 s37, exec_lo, s37
	s_cbranch_execz .LBB47_26
; %bb.25:                               ;   in Loop: Header=BB47_24 Depth=3
	v_add_nc_u32_e32 v12, 1, v12
	s_mov_b32 s36, exec_lo
                                        ; implicit-def: $vgpr14
	s_delay_alu instid0(VALU_DEP_1)
	v_and_b32_e32 v12, 0x3ff, v12
	s_and_not1_saveexec_b32 s37, s37
	s_cbranch_execz .LBB47_28
	s_branch .LBB47_27
.LBB47_26:                              ;   in Loop: Header=BB47_24 Depth=3
	s_and_not1_saveexec_b32 s37, s37
	s_cbranch_execz .LBB47_28
.LBB47_27:                              ;   in Loop: Header=BB47_24 Depth=3
	v_mov_b32_e32 v15, s28
	s_and_not1_b32 s36, s36, exec_lo
	ds_cmpstore_rtn_b32 v14, v14, v13, v15
	s_wait_dscnt 0x0
	v_cmp_ne_u32_e32 vcc_lo, s28, v14
	s_and_b32 s41, vcc_lo, exec_lo
	s_delay_alu instid0(SALU_CYCLE_1)
	s_or_b32 s36, s36, s41
.LBB47_28:                              ;   in Loop: Header=BB47_24 Depth=3
	s_or_b32 exec_lo, exec_lo, s37
	s_mov_b32 s37, -1
                                        ; implicit-def: $vgpr14
                                        ; implicit-def: $vgpr15
	s_and_saveexec_b32 s41, s36
	s_cbranch_execz .LBB47_23
; %bb.29:                               ;   in Loop: Header=BB47_24 Depth=3
	v_lshl_add_u32 v14, v12, 2, 0
	ds_load_b32 v15, v14
	s_wait_dscnt 0x0
	v_cmp_eq_u32_e32 vcc_lo, v15, v13
	s_or_not1_b32 s37, vcc_lo, exec_lo
	s_branch .LBB47_23
.LBB47_30:
	s_or_b32 exec_lo, exec_lo, s1
.LBB47_31:
	s_delay_alu instid0(SALU_CYCLE_1)
	s_and_not1_b32 vcc_lo, exec_lo, s40
	s_cbranch_vccnz .LBB47_46
; %bb.32:
	s_wait_kmcnt 0x0
	s_ashr_i32 s21, s20, 31
	v_subrev_nc_u32_e32 v2, s11, v0
	s_lshl_b64 s[0:1], s[20:21], 2
	s_delay_alu instid0(SALU_CYCLE_1)
	s_add_nc_u64 s[0:1], s[30:31], s[0:1]
	s_load_b64 s[2:3], s[0:1], 0x0
	s_wait_xcnt 0x0
	s_mov_b32 s1, exec_lo
	s_wait_kmcnt 0x0
	v_add_nc_u32_e32 v4, s2, v2
	s_sub_co_i32 s0, s3, s11
	s_delay_alu instid0(VALU_DEP_1) | instid1(SALU_CYCLE_1)
	v_cmpx_gt_i32_e64 s0, v4
	s_cbranch_execz .LBB47_45
; %bb.33:
	s_mov_b32 s2, 0
	s_branch .LBB47_36
.LBB47_34:                              ;   in Loop: Header=BB47_36 Depth=1
	s_or_b32 exec_lo, exec_lo, s8
.LBB47_35:                              ;   in Loop: Header=BB47_36 Depth=1
	s_delay_alu instid0(SALU_CYCLE_1)
	s_or_b32 exec_lo, exec_lo, s3
	s_wait_loadcnt 0x0
	v_mul_f32_e64 v8, v3, -s38
	v_mul_f32_e32 v3, s33, v3
	v_lshl_add_u32 v5, v5, 3, 0
	v_add_nc_u32_e32 v4, 0x200, v4
	s_delay_alu instid0(VALU_DEP_3) | instskip(SKIP_4) | instid1(SALU_CYCLE_1)
	v_dual_fmac_f32 v8, s33, v2 :: v_dual_fmac_f32 v3, s38, v2
	ds_add_f32 v5, v8 offset:4096
	ds_add_f32 v5, v3 offset:4100
	v_cmp_le_i32_e32 vcc_lo, s0, v4
	s_or_b32 s2, vcc_lo, s2
	s_and_not1_b32 exec_lo, exec_lo, s2
	s_cbranch_execz .LBB47_45
.LBB47_36:                              ; =>This Loop Header: Depth=1
                                        ;     Child Loop BB47_39 Depth 2
	s_clause 0x1
	global_load_b32 v5, v4, s[4:5] scale_offset
	global_load_b64 v[2:3], v4, s[6:7] scale_offset
	s_mov_b32 s3, exec_lo
	s_wait_loadcnt 0x1
	v_subrev_nc_u32_e32 v8, s11, v5
	s_delay_alu instid0(VALU_DEP_1) | instskip(NEXT) | instid1(VALU_DEP_1)
	v_mul_lo_u32 v5, 0x89, v8
	v_and_b32_e32 v5, 0x3ff, v5
	s_delay_alu instid0(VALU_DEP_1)
	v_lshl_add_u32 v9, v5, 2, 0
	ds_load_b32 v10, v9
	s_wait_dscnt 0x0
	s_wait_xcnt 0x0
	v_cmpx_ne_u32_e64 v10, v8
	s_cbranch_execz .LBB47_35
; %bb.37:                               ;   in Loop: Header=BB47_36 Depth=1
	s_mov_b32 s8, 0
	s_branch .LBB47_39
.LBB47_38:                              ;   in Loop: Header=BB47_39 Depth=2
	s_or_b32 exec_lo, exec_lo, s13
	s_delay_alu instid0(SALU_CYCLE_1) | instskip(NEXT) | instid1(SALU_CYCLE_1)
	s_and_b32 s9, exec_lo, s12
	s_or_b32 s8, s9, s8
	s_delay_alu instid0(SALU_CYCLE_1)
	s_and_not1_b32 exec_lo, exec_lo, s8
	s_cbranch_execz .LBB47_34
.LBB47_39:                              ;   Parent Loop BB47_36 Depth=1
                                        ; =>  This Inner Loop Header: Depth=2
	s_mov_b32 s9, 0
	s_mov_b32 s12, exec_lo
	v_cmpx_ne_u32_e64 s28, v10
	s_xor_b32 s12, exec_lo, s12
	s_cbranch_execz .LBB47_41
; %bb.40:                               ;   in Loop: Header=BB47_39 Depth=2
	v_add_nc_u32_e32 v5, 1, v5
	s_mov_b32 s9, exec_lo
                                        ; implicit-def: $vgpr9
	s_delay_alu instid0(VALU_DEP_1)
	v_and_b32_e32 v5, 0x3ff, v5
	s_and_not1_saveexec_b32 s12, s12
	s_cbranch_execz .LBB47_43
	s_branch .LBB47_42
.LBB47_41:                              ;   in Loop: Header=BB47_39 Depth=2
	s_and_not1_saveexec_b32 s12, s12
	s_cbranch_execz .LBB47_43
.LBB47_42:                              ;   in Loop: Header=BB47_39 Depth=2
	v_mov_b32_e32 v10, s28
	s_and_not1_b32 s9, s9, exec_lo
	ds_cmpstore_rtn_b32 v9, v9, v8, v10
	s_wait_dscnt 0x0
	v_cmp_ne_u32_e32 vcc_lo, s28, v9
	s_and_b32 s13, vcc_lo, exec_lo
	s_delay_alu instid0(SALU_CYCLE_1)
	s_or_b32 s9, s9, s13
.LBB47_43:                              ;   in Loop: Header=BB47_39 Depth=2
	s_or_b32 exec_lo, exec_lo, s12
	s_mov_b32 s12, -1
                                        ; implicit-def: $vgpr9
                                        ; implicit-def: $vgpr10
	s_and_saveexec_b32 s13, s9
	s_cbranch_execz .LBB47_38
; %bb.44:                               ;   in Loop: Header=BB47_39 Depth=2
	v_lshl_add_u32 v9, v5, 2, 0
	ds_load_b32 v10, v9
	s_wait_dscnt 0x0
	v_cmp_eq_u32_e32 vcc_lo, v10, v8
	s_or_not1_b32 s12, vcc_lo, exec_lo
	s_branch .LBB47_38
.LBB47_45:
	s_or_b32 exec_lo, exec_lo, s1
.LBB47_46:
	v_mbcnt_lo_u32_b32 v2, -1, 0
	v_dual_mov_b32 v3, 0 :: v_dual_lshrrev_b32 v4, 4, v0
	s_wait_xcnt 0x0
	v_cmp_lt_u32_e64 s0, 63, v0
	v_cmp_lt_u32_e64 s1, 0x7f, v0
	s_delay_alu instid0(VALU_DEP_3)
	v_dual_mov_b32 v9, 0 :: v_dual_bitop2_b32 v4, 28, v4 bitop3:0x40
	v_xor_b32_e32 v2, 31, v2
	v_cmp_lt_u32_e64 s2, 0xbf, v0
	v_cmp_lt_u32_e64 s3, 0xff, v0
	;; [unrolled: 1-line block ×3, first 2 shown]
	v_add_nc_u32_e32 v8, 0, v4
	v_lshrrev_b32_e64 v2, v2, -1
	v_cmp_lt_u32_e64 s5, 0x17f, v0
	v_cmp_lt_u32_e64 s6, 0x1bf, v0
	s_mov_b32 s8, 0
	s_wait_dscnt 0x0
	v_cmp_eq_u32_e32 vcc_lo, 0x1ff, v0
	s_barrier_signal -1
	s_barrier_wait -1
	s_branch .LBB47_48
.LBB47_47:                              ;   in Loop: Header=BB47_48 Depth=1
	s_or_b32 exec_lo, exec_lo, s7
	s_wait_dscnt 0x0
	s_barrier_signal -1
	s_barrier_wait -1
	ds_load_b32 v4, v3 offset:12316
	v_add_co_u32 v6, s7, 0x200, v6
	s_xor_b32 s7, s7, -1
	v_add_nc_u32_e32 v7, 0x1000, v7
	v_add_nc_u32_e32 v1, 0x800, v1
	s_and_b32 s7, exec_lo, s7
	s_delay_alu instid0(SALU_CYCLE_1)
	s_or_b32 s8, s7, s8
	s_wait_dscnt 0x0
	v_add_nc_u32_e32 v9, v4, v9
	s_and_not1_b32 exec_lo, exec_lo, s8
	s_cbranch_execz .LBB47_66
.LBB47_48:                              ; =>This Inner Loop Header: Depth=1
	ds_load_b32 v10, v1
	ds_load_2addr_b32 v[4:5], v7 offset1:1
	s_wait_dscnt 0x0
	s_barrier_signal -1
	s_barrier_wait -1
	v_cmp_gt_i32_e64 s7, s28, v10
	s_bcnt1_i32_b32 s9, s7
	s_delay_alu instid0(SALU_CYCLE_1) | instskip(NEXT) | instid1(VALU_DEP_1)
	v_dual_mov_b32 v12, s9 :: v_dual_bitop2_b32 v11, s7, v2 bitop3:0x40
	v_bcnt_u32_b32 v11, v11, 0
	ds_store_b32 v8, v12 offset:12288
	s_wait_dscnt 0x0
	s_barrier_signal -1
	s_barrier_wait -1
	s_and_saveexec_b32 s9, s0
	s_cbranch_execz .LBB47_57
; %bb.49:                               ;   in Loop: Header=BB47_48 Depth=1
	ds_load_b32 v12, v3 offset:12288
	s_wait_dscnt 0x0
	v_add_nc_u32_e32 v11, v12, v11
	s_or_b32 exec_lo, exec_lo, s9
	s_and_saveexec_b32 s9, s1
	s_cbranch_execnz .LBB47_58
.LBB47_50:                              ;   in Loop: Header=BB47_48 Depth=1
	s_or_b32 exec_lo, exec_lo, s9
	s_and_saveexec_b32 s9, s2
	s_cbranch_execz .LBB47_59
.LBB47_51:                              ;   in Loop: Header=BB47_48 Depth=1
	ds_load_b32 v12, v3 offset:12296
	s_wait_dscnt 0x0
	v_add_nc_u32_e32 v11, v12, v11
	s_or_b32 exec_lo, exec_lo, s9
	s_and_saveexec_b32 s9, s3
	s_cbranch_execnz .LBB47_60
.LBB47_52:                              ;   in Loop: Header=BB47_48 Depth=1
	s_or_b32 exec_lo, exec_lo, s9
	s_and_saveexec_b32 s9, s4
	s_cbranch_execz .LBB47_61
.LBB47_53:                              ;   in Loop: Header=BB47_48 Depth=1
	ds_load_b32 v12, v3 offset:12304
	s_wait_dscnt 0x0
	v_add_nc_u32_e32 v11, v12, v11
	s_or_b32 exec_lo, exec_lo, s9
	s_and_saveexec_b32 s9, s5
	s_cbranch_execnz .LBB47_62
.LBB47_54:                              ;   in Loop: Header=BB47_48 Depth=1
	s_or_b32 exec_lo, exec_lo, s9
	s_and_saveexec_b32 s9, s6
	s_cbranch_execz .LBB47_63
.LBB47_55:                              ;   in Loop: Header=BB47_48 Depth=1
	ds_load_b32 v12, v3 offset:12312
	s_wait_dscnt 0x0
	v_add_nc_u32_e32 v11, v12, v11
	s_or_b32 exec_lo, exec_lo, s9
	s_and_saveexec_b32 s9, s7
	s_cbranch_execnz .LBB47_64
.LBB47_56:                              ;   in Loop: Header=BB47_48 Depth=1
	s_or_b32 exec_lo, exec_lo, s9
	s_and_saveexec_b32 s7, vcc_lo
	s_cbranch_execz .LBB47_47
	s_branch .LBB47_65
.LBB47_57:                              ;   in Loop: Header=BB47_48 Depth=1
	s_or_b32 exec_lo, exec_lo, s9
	s_and_saveexec_b32 s9, s1
	s_cbranch_execz .LBB47_50
.LBB47_58:                              ;   in Loop: Header=BB47_48 Depth=1
	ds_load_b32 v12, v3 offset:12292
	s_wait_dscnt 0x0
	v_add_nc_u32_e32 v11, v12, v11
	s_or_b32 exec_lo, exec_lo, s9
	s_and_saveexec_b32 s9, s2
	s_cbranch_execnz .LBB47_51
.LBB47_59:                              ;   in Loop: Header=BB47_48 Depth=1
	s_or_b32 exec_lo, exec_lo, s9
	s_and_saveexec_b32 s9, s3
	s_cbranch_execz .LBB47_52
.LBB47_60:                              ;   in Loop: Header=BB47_48 Depth=1
	ds_load_b32 v12, v3 offset:12300
	s_wait_dscnt 0x0
	v_add_nc_u32_e32 v11, v12, v11
	s_or_b32 exec_lo, exec_lo, s9
	s_and_saveexec_b32 s9, s4
	s_cbranch_execnz .LBB47_53
.LBB47_61:                              ;   in Loop: Header=BB47_48 Depth=1
	s_or_b32 exec_lo, exec_lo, s9
	s_and_saveexec_b32 s9, s5
	s_cbranch_execz .LBB47_54
.LBB47_62:                              ;   in Loop: Header=BB47_48 Depth=1
	ds_load_b32 v12, v3 offset:12308
	s_wait_dscnt 0x0
	v_add_nc_u32_e32 v11, v12, v11
	s_or_b32 exec_lo, exec_lo, s9
	s_and_saveexec_b32 s9, s6
	s_cbranch_execnz .LBB47_55
.LBB47_63:                              ;   in Loop: Header=BB47_48 Depth=1
	s_or_b32 exec_lo, exec_lo, s9
	s_and_saveexec_b32 s9, s7
	s_cbranch_execz .LBB47_56
.LBB47_64:                              ;   in Loop: Header=BB47_48 Depth=1
	s_delay_alu instid0(VALU_DEP_1) | instskip(SKIP_1) | instid1(VALU_DEP_2)
	v_add3_u32 v12, v9, -1, v11
	v_add_lshl_u32 v13, v9, v11, 3
	v_lshl_add_u32 v12, v12, 2, 0
	s_delay_alu instid0(VALU_DEP_2)
	v_add3_u32 v13, 0, v13, 0xff8
	ds_store_b32 v12, v10
	ds_store_2addr_b32 v13, v4, v5 offset1:1
	s_or_b32 exec_lo, exec_lo, s9
	s_and_saveexec_b32 s7, vcc_lo
	s_cbranch_execz .LBB47_47
.LBB47_65:                              ;   in Loop: Header=BB47_48 Depth=1
	ds_store_b32 v3, v11 offset:12316
	s_branch .LBB47_47
.LBB47_66:
	s_or_b32 exec_lo, exec_lo, s8
	s_wait_kmcnt 0x0
	s_ashr_i32 s21, s20, 31
	s_delay_alu instid0(SALU_CYCLE_1) | instskip(NEXT) | instid1(SALU_CYCLE_1)
	s_lshl_b64 s[0:1], s[20:21], 2
	s_add_nc_u64 s[2:3], s[26:27], s[0:1]
	s_load_b64 s[0:1], s[2:3], 0x0
	s_wait_kmcnt 0x0
	s_sub_co_i32 s4, s1, s0
	s_mov_b32 s1, exec_lo
	v_cmpx_gt_i32_e64 s4, v0
	s_cbranch_execz .LBB47_80
; %bb.67:
	v_sub_co_u32 v1, s1, s4, 2
	s_sub_co_i32 s2, s0, s10
	s_xor_b32 s6, s1, -1
	s_and_b32 s5, s4, -2
	v_readfirstlane_b32 s3, v1
	s_lshr_b32 s0, s3, 1
	s_mov_b32 s3, 0
	s_add_co_i32 s0, s0, 1
	s_mov_b32 s11, s3
	s_and_b32 s1, s0, 7
	s_and_b32 s7, s0, -8
	s_cmp_lg_u32 s1, 0
	v_cmp_lt_u32_e64 s0, 13, v1
	s_cselect_b32 s8, -1, 0
	s_cmp_lg_u32 s4, s5
	s_cselect_b32 s9, -1, 0
	s_lshl_b32 s10, s1, 3
	s_branch .LBB47_69
.LBB47_68:                              ;   in Loop: Header=BB47_69 Depth=1
	v_add_nc_u32_e32 v0, 0x200, v0
	s_wait_dscnt 0x0
	global_store_b64 v4, v[2:3], s[24:25] scale_offset
	v_cmp_le_i32_e32 vcc_lo, s4, v0
	s_or_b32 s11, vcc_lo, s11
	s_wait_xcnt 0x0
	s_and_not1_b32 exec_lo, exec_lo, s11
	s_cbranch_execz .LBB47_80
.LBB47_69:                              ; =>This Loop Header: Depth=1
                                        ;     Child Loop BB47_72 Depth 2
                                        ;     Child Loop BB47_75 Depth 2
	;; [unrolled: 1-line block ×3, first 2 shown]
	v_dual_mov_b32 v4, s2 :: v_dual_lshlrev_b32 v1, 2, v0
	s_and_not1_b32 vcc_lo, exec_lo, s6
	s_mov_b32 s1, 0
	s_mov_b32 s12, -1
	s_delay_alu instid0(VALU_DEP_1) | instskip(NEXT) | instid1(VALU_DEP_1)
	v_add_nc_u32_e32 v2, 0, v1
	v_add3_u32 v3, v2, v1, 0x1000
	ds_load_b32 v1, v2
	ds_load_2addr_b32 v[2:3], v3 offset1:1
	s_cbranch_vccnz .LBB47_77
; %bb.70:                               ;   in Loop: Header=BB47_69 Depth=1
	v_mov_b64_e32 v[4:5], s[2:3]
	s_and_not1_b32 vcc_lo, exec_lo, s0
	s_mov_b32 s12, 0
	s_cbranch_vccnz .LBB47_73
; %bb.71:                               ;   in Loop: Header=BB47_69 Depth=1
	v_dual_mov_b32 v4, s2 :: v_dual_mov_b32 v5, 0
	s_mov_b32 s13, 0
	s_mov_b32 s14, s7
.LBB47_72:                              ;   Parent Loop BB47_69 Depth=1
                                        ; =>  This Inner Loop Header: Depth=2
	v_mov_b32_e32 v20, s13
	s_add_co_i32 s14, s14, -8
	s_add_co_i32 s12, s12, 16
	s_add_co_i32 s13, s13, 64
	s_cmp_lg_u32 s14, 0
	ds_load_2addr_b32 v[6:7], v20 offset1:1
	ds_load_2addr_b32 v[8:9], v20 offset0:2 offset1:3
	ds_load_2addr_b32 v[10:11], v20 offset0:4 offset1:5
	;; [unrolled: 1-line block ×7, first 2 shown]
	s_wait_dscnt 0x7
	v_cmp_gt_i32_e32 vcc_lo, v1, v7
	s_wait_dscnt 0x5
	v_cmp_gt_i32_e64 s1, v1, v10
	v_cndmask_b32_e64 v7, 0, 1, vcc_lo
	v_cmp_gt_i32_e32 vcc_lo, v1, v6
	v_cndmask_b32_e64 v6, 0, 1, vcc_lo
	v_cmp_gt_i32_e32 vcc_lo, v1, v8
	v_cndmask_b32_e64 v8, 0, 1, s1
	v_cmp_gt_i32_e64 s1, v1, v11
	s_delay_alu instid0(VALU_DEP_4) | instskip(NEXT) | instid1(VALU_DEP_2)
	v_add_co_ci_u32_e64 v4, null, v4, v6, vcc_lo
	v_cndmask_b32_e64 v10, 0, 1, s1
	s_wait_dscnt 0x4
	v_cmp_gt_i32_e64 s1, v1, v13
	s_wait_dscnt 0x2
	v_cmp_gt_i32_e32 vcc_lo, v1, v16
	s_delay_alu instid0(VALU_DEP_2) | instskip(SKIP_4) | instid1(VALU_DEP_3)
	v_cndmask_b32_e64 v11, 0, 1, s1
	v_cmp_gt_i32_e64 s1, v1, v12
	v_add_co_ci_u32_e64 v4, null, v4, v8, vcc_lo
	s_wait_dscnt 0x1
	v_cmp_gt_i32_e32 vcc_lo, v1, v18
	v_cndmask_b32_e64 v12, 0, 1, s1
	v_cmp_gt_i32_e64 s1, v1, v14
	s_delay_alu instid0(VALU_DEP_2) | instskip(NEXT) | instid1(VALU_DEP_2)
	v_add_co_ci_u32_e64 v4, null, v4, v12, vcc_lo
	v_cndmask_b32_e64 v13, 0, 1, s1
	v_cmp_gt_i32_e64 s1, v1, v15
	s_wait_dscnt 0x0
	v_cmp_gt_i32_e32 vcc_lo, v1, v20
	s_delay_alu instid0(VALU_DEP_2) | instskip(SKIP_2) | instid1(VALU_DEP_2)
	v_cndmask_b32_e64 v14, 0, 1, s1
	v_cmp_gt_i32_e64 s1, v1, v9
	v_add_co_ci_u32_e64 v4, null, v4, v13, vcc_lo
	v_add_co_ci_u32_e64 v5, null, v5, v7, s1
	v_cmp_gt_i32_e64 s1, v1, v17
	s_delay_alu instid0(VALU_DEP_1) | instskip(SKIP_1) | instid1(VALU_DEP_1)
	v_add_co_ci_u32_e64 v5, null, v5, v10, s1
	v_cmp_gt_i32_e64 s1, v1, v19
	v_add_co_ci_u32_e64 v5, null, v5, v11, s1
	v_cmp_gt_i32_e64 s1, v1, v21
	s_delay_alu instid0(VALU_DEP_1)
	v_add_co_ci_u32_e64 v5, null, v5, v14, s1
	s_cbranch_scc1 .LBB47_72
.LBB47_73:                              ;   in Loop: Header=BB47_69 Depth=1
	s_and_not1_b32 vcc_lo, exec_lo, s8
	s_cbranch_vccnz .LBB47_76
; %bb.74:                               ;   in Loop: Header=BB47_69 Depth=1
	s_lshl_b32 s1, s12, 2
	s_mov_b32 s12, s10
	s_add_co_i32 s1, s1, 0
.LBB47_75:                              ;   Parent Loop BB47_69 Depth=1
                                        ; =>  This Inner Loop Header: Depth=2
	s_delay_alu instid0(SALU_CYCLE_1)
	v_mov_b32_e32 v6, s1
	s_add_co_i32 s12, s12, -8
	s_add_co_i32 s1, s1, 8
	s_cmp_lg_u32 s12, 0
	ds_load_2addr_b32 v[6:7], v6 offset1:1
	s_wait_dscnt 0x0
	v_cmp_gt_i32_e32 vcc_lo, v1, v7
	v_add_co_ci_u32_e64 v5, null, 0, v5, vcc_lo
	v_cmp_gt_i32_e32 vcc_lo, v1, v6
	v_add_co_ci_u32_e64 v4, null, 0, v4, vcc_lo
	s_cbranch_scc1 .LBB47_75
.LBB47_76:                              ;   in Loop: Header=BB47_69 Depth=1
	s_delay_alu instid0(VALU_DEP_1)
	v_add_nc_u32_e32 v4, v4, v5
	s_mov_b32 s1, s5
	s_mov_b32 s12, s9
.LBB47_77:                              ;   in Loop: Header=BB47_69 Depth=1
	s_delay_alu instid0(SALU_CYCLE_1)
	s_and_b32 vcc_lo, exec_lo, s12
	s_cbranch_vccz .LBB47_68
; %bb.78:                               ;   in Loop: Header=BB47_69 Depth=1
	s_lshl_b32 s12, s1, 2
	s_delay_alu instid0(SALU_CYCLE_1)
	s_add_co_i32 s12, s12, 0
.LBB47_79:                              ;   Parent Loop BB47_69 Depth=1
                                        ; =>  This Inner Loop Header: Depth=2
	s_delay_alu instid0(SALU_CYCLE_1)
	v_mov_b32_e32 v5, s12
	s_add_co_i32 s1, s1, 1
	s_add_co_i32 s12, s12, 4
	s_cmp_ge_i32 s1, s4
	ds_load_b32 v5, v5
	s_wait_dscnt 0x0
	v_cmp_gt_i32_e32 vcc_lo, v1, v5
	v_add_co_ci_u32_e64 v4, null, 0, v4, vcc_lo
	s_cbranch_scc0 .LBB47_79
	s_branch .LBB47_68
.LBB47_80:
	s_endpgm
	.section	.rodata,"a",@progbits
	.p2align	6, 0x0
	.amdhsa_kernel _ZN9rocsparseL41csrgemm_numeric_fill_block_per_row_kernelILj512ELj32ELj1024ELj137ELj64Eii21rocsparse_complex_numIfEEEvT5_PKS3_S5_NS_24const_host_device_scalarIT6_EEPKT4_S5_PKS7_SB_S5_SD_S8_SB_S5_SD_SB_S5_PS7_21rocsparse_index_base_SF_SF_SF_bbb
		.amdhsa_group_segment_fixed_size 0
		.amdhsa_private_segment_fixed_size 0
		.amdhsa_kernarg_size 156
		.amdhsa_user_sgpr_count 2
		.amdhsa_user_sgpr_dispatch_ptr 0
		.amdhsa_user_sgpr_queue_ptr 0
		.amdhsa_user_sgpr_kernarg_segment_ptr 1
		.amdhsa_user_sgpr_dispatch_id 0
		.amdhsa_user_sgpr_kernarg_preload_length 0
		.amdhsa_user_sgpr_kernarg_preload_offset 0
		.amdhsa_user_sgpr_private_segment_size 0
		.amdhsa_wavefront_size32 1
		.amdhsa_uses_dynamic_stack 0
		.amdhsa_enable_private_segment 0
		.amdhsa_system_sgpr_workgroup_id_x 1
		.amdhsa_system_sgpr_workgroup_id_y 0
		.amdhsa_system_sgpr_workgroup_id_z 0
		.amdhsa_system_sgpr_workgroup_info 0
		.amdhsa_system_vgpr_workitem_id 0
		.amdhsa_next_free_vgpr 22
		.amdhsa_next_free_sgpr 42
		.amdhsa_named_barrier_count 0
		.amdhsa_reserve_vcc 1
		.amdhsa_float_round_mode_32 0
		.amdhsa_float_round_mode_16_64 0
		.amdhsa_float_denorm_mode_32 3
		.amdhsa_float_denorm_mode_16_64 3
		.amdhsa_fp16_overflow 0
		.amdhsa_memory_ordered 1
		.amdhsa_forward_progress 1
		.amdhsa_inst_pref_size 25
		.amdhsa_round_robin_scheduling 0
		.amdhsa_exception_fp_ieee_invalid_op 0
		.amdhsa_exception_fp_denorm_src 0
		.amdhsa_exception_fp_ieee_div_zero 0
		.amdhsa_exception_fp_ieee_overflow 0
		.amdhsa_exception_fp_ieee_underflow 0
		.amdhsa_exception_fp_ieee_inexact 0
		.amdhsa_exception_int_div_zero 0
	.end_amdhsa_kernel
	.section	.text._ZN9rocsparseL41csrgemm_numeric_fill_block_per_row_kernelILj512ELj32ELj1024ELj137ELj64Eii21rocsparse_complex_numIfEEEvT5_PKS3_S5_NS_24const_host_device_scalarIT6_EEPKT4_S5_PKS7_SB_S5_SD_S8_SB_S5_SD_SB_S5_PS7_21rocsparse_index_base_SF_SF_SF_bbb,"axG",@progbits,_ZN9rocsparseL41csrgemm_numeric_fill_block_per_row_kernelILj512ELj32ELj1024ELj137ELj64Eii21rocsparse_complex_numIfEEEvT5_PKS3_S5_NS_24const_host_device_scalarIT6_EEPKT4_S5_PKS7_SB_S5_SD_S8_SB_S5_SD_SB_S5_PS7_21rocsparse_index_base_SF_SF_SF_bbb,comdat
.Lfunc_end47:
	.size	_ZN9rocsparseL41csrgemm_numeric_fill_block_per_row_kernelILj512ELj32ELj1024ELj137ELj64Eii21rocsparse_complex_numIfEEEvT5_PKS3_S5_NS_24const_host_device_scalarIT6_EEPKT4_S5_PKS7_SB_S5_SD_S8_SB_S5_SD_SB_S5_PS7_21rocsparse_index_base_SF_SF_SF_bbb, .Lfunc_end47-_ZN9rocsparseL41csrgemm_numeric_fill_block_per_row_kernelILj512ELj32ELj1024ELj137ELj64Eii21rocsparse_complex_numIfEEEvT5_PKS3_S5_NS_24const_host_device_scalarIT6_EEPKT4_S5_PKS7_SB_S5_SD_S8_SB_S5_SD_SB_S5_PS7_21rocsparse_index_base_SF_SF_SF_bbb
                                        ; -- End function
	.set _ZN9rocsparseL41csrgemm_numeric_fill_block_per_row_kernelILj512ELj32ELj1024ELj137ELj64Eii21rocsparse_complex_numIfEEEvT5_PKS3_S5_NS_24const_host_device_scalarIT6_EEPKT4_S5_PKS7_SB_S5_SD_S8_SB_S5_SD_SB_S5_PS7_21rocsparse_index_base_SF_SF_SF_bbb.num_vgpr, 22
	.set _ZN9rocsparseL41csrgemm_numeric_fill_block_per_row_kernelILj512ELj32ELj1024ELj137ELj64Eii21rocsparse_complex_numIfEEEvT5_PKS3_S5_NS_24const_host_device_scalarIT6_EEPKT4_S5_PKS7_SB_S5_SD_S8_SB_S5_SD_SB_S5_PS7_21rocsparse_index_base_SF_SF_SF_bbb.num_agpr, 0
	.set _ZN9rocsparseL41csrgemm_numeric_fill_block_per_row_kernelILj512ELj32ELj1024ELj137ELj64Eii21rocsparse_complex_numIfEEEvT5_PKS3_S5_NS_24const_host_device_scalarIT6_EEPKT4_S5_PKS7_SB_S5_SD_S8_SB_S5_SD_SB_S5_PS7_21rocsparse_index_base_SF_SF_SF_bbb.numbered_sgpr, 42
	.set _ZN9rocsparseL41csrgemm_numeric_fill_block_per_row_kernelILj512ELj32ELj1024ELj137ELj64Eii21rocsparse_complex_numIfEEEvT5_PKS3_S5_NS_24const_host_device_scalarIT6_EEPKT4_S5_PKS7_SB_S5_SD_S8_SB_S5_SD_SB_S5_PS7_21rocsparse_index_base_SF_SF_SF_bbb.num_named_barrier, 0
	.set _ZN9rocsparseL41csrgemm_numeric_fill_block_per_row_kernelILj512ELj32ELj1024ELj137ELj64Eii21rocsparse_complex_numIfEEEvT5_PKS3_S5_NS_24const_host_device_scalarIT6_EEPKT4_S5_PKS7_SB_S5_SD_S8_SB_S5_SD_SB_S5_PS7_21rocsparse_index_base_SF_SF_SF_bbb.private_seg_size, 0
	.set _ZN9rocsparseL41csrgemm_numeric_fill_block_per_row_kernelILj512ELj32ELj1024ELj137ELj64Eii21rocsparse_complex_numIfEEEvT5_PKS3_S5_NS_24const_host_device_scalarIT6_EEPKT4_S5_PKS7_SB_S5_SD_S8_SB_S5_SD_SB_S5_PS7_21rocsparse_index_base_SF_SF_SF_bbb.uses_vcc, 1
	.set _ZN9rocsparseL41csrgemm_numeric_fill_block_per_row_kernelILj512ELj32ELj1024ELj137ELj64Eii21rocsparse_complex_numIfEEEvT5_PKS3_S5_NS_24const_host_device_scalarIT6_EEPKT4_S5_PKS7_SB_S5_SD_S8_SB_S5_SD_SB_S5_PS7_21rocsparse_index_base_SF_SF_SF_bbb.uses_flat_scratch, 0
	.set _ZN9rocsparseL41csrgemm_numeric_fill_block_per_row_kernelILj512ELj32ELj1024ELj137ELj64Eii21rocsparse_complex_numIfEEEvT5_PKS3_S5_NS_24const_host_device_scalarIT6_EEPKT4_S5_PKS7_SB_S5_SD_S8_SB_S5_SD_SB_S5_PS7_21rocsparse_index_base_SF_SF_SF_bbb.has_dyn_sized_stack, 0
	.set _ZN9rocsparseL41csrgemm_numeric_fill_block_per_row_kernelILj512ELj32ELj1024ELj137ELj64Eii21rocsparse_complex_numIfEEEvT5_PKS3_S5_NS_24const_host_device_scalarIT6_EEPKT4_S5_PKS7_SB_S5_SD_S8_SB_S5_SD_SB_S5_PS7_21rocsparse_index_base_SF_SF_SF_bbb.has_recursion, 0
	.set _ZN9rocsparseL41csrgemm_numeric_fill_block_per_row_kernelILj512ELj32ELj1024ELj137ELj64Eii21rocsparse_complex_numIfEEEvT5_PKS3_S5_NS_24const_host_device_scalarIT6_EEPKT4_S5_PKS7_SB_S5_SD_S8_SB_S5_SD_SB_S5_PS7_21rocsparse_index_base_SF_SF_SF_bbb.has_indirect_call, 0
	.section	.AMDGPU.csdata,"",@progbits
; Kernel info:
; codeLenInByte = 3188
; TotalNumSgprs: 44
; NumVgprs: 22
; ScratchSize: 0
; MemoryBound: 0
; FloatMode: 240
; IeeeMode: 1
; LDSByteSize: 0 bytes/workgroup (compile time only)
; SGPRBlocks: 0
; VGPRBlocks: 1
; NumSGPRsForWavesPerEU: 44
; NumVGPRsForWavesPerEU: 22
; NamedBarCnt: 0
; Occupancy: 16
; WaveLimiterHint : 1
; COMPUTE_PGM_RSRC2:SCRATCH_EN: 0
; COMPUTE_PGM_RSRC2:USER_SGPR: 2
; COMPUTE_PGM_RSRC2:TRAP_HANDLER: 0
; COMPUTE_PGM_RSRC2:TGID_X_EN: 1
; COMPUTE_PGM_RSRC2:TGID_Y_EN: 0
; COMPUTE_PGM_RSRC2:TGID_Z_EN: 0
; COMPUTE_PGM_RSRC2:TIDIG_COMP_CNT: 0
	.section	.text._ZN9rocsparseL41csrgemm_numeric_fill_block_per_row_kernelILj1024ELj32ELj2048ELj137ELj32Eii21rocsparse_complex_numIfEEEvT5_PKS3_S5_NS_24const_host_device_scalarIT6_EEPKT4_S5_PKS7_SB_S5_SD_S8_SB_S5_SD_SB_S5_PS7_21rocsparse_index_base_SF_SF_SF_bbb,"axG",@progbits,_ZN9rocsparseL41csrgemm_numeric_fill_block_per_row_kernelILj1024ELj32ELj2048ELj137ELj32Eii21rocsparse_complex_numIfEEEvT5_PKS3_S5_NS_24const_host_device_scalarIT6_EEPKT4_S5_PKS7_SB_S5_SD_S8_SB_S5_SD_SB_S5_PS7_21rocsparse_index_base_SF_SF_SF_bbb,comdat
	.globl	_ZN9rocsparseL41csrgemm_numeric_fill_block_per_row_kernelILj1024ELj32ELj2048ELj137ELj32Eii21rocsparse_complex_numIfEEEvT5_PKS3_S5_NS_24const_host_device_scalarIT6_EEPKT4_S5_PKS7_SB_S5_SD_S8_SB_S5_SD_SB_S5_PS7_21rocsparse_index_base_SF_SF_SF_bbb ; -- Begin function _ZN9rocsparseL41csrgemm_numeric_fill_block_per_row_kernelILj1024ELj32ELj2048ELj137ELj32Eii21rocsparse_complex_numIfEEEvT5_PKS3_S5_NS_24const_host_device_scalarIT6_EEPKT4_S5_PKS7_SB_S5_SD_S8_SB_S5_SD_SB_S5_PS7_21rocsparse_index_base_SF_SF_SF_bbb
	.p2align	8
	.type	_ZN9rocsparseL41csrgemm_numeric_fill_block_per_row_kernelILj1024ELj32ELj2048ELj137ELj32Eii21rocsparse_complex_numIfEEEvT5_PKS3_S5_NS_24const_host_device_scalarIT6_EEPKT4_S5_PKS7_SB_S5_SD_S8_SB_S5_SD_SB_S5_PS7_21rocsparse_index_base_SF_SF_SF_bbb,@function
_ZN9rocsparseL41csrgemm_numeric_fill_block_per_row_kernelILj1024ELj32ELj2048ELj137ELj32Eii21rocsparse_complex_numIfEEEvT5_PKS3_S5_NS_24const_host_device_scalarIT6_EEPKT4_S5_PKS7_SB_S5_SD_S8_SB_S5_SD_SB_S5_PS7_21rocsparse_index_base_SF_SF_SF_bbb: ; @_ZN9rocsparseL41csrgemm_numeric_fill_block_per_row_kernelILj1024ELj32ELj2048ELj137ELj32Eii21rocsparse_complex_numIfEEEvT5_PKS3_S5_NS_24const_host_device_scalarIT6_EEPKT4_S5_PKS7_SB_S5_SD_S8_SB_S5_SD_SB_S5_PS7_21rocsparse_index_base_SF_SF_SF_bbb
; %bb.0:
	s_clause 0x7
	s_load_b32 s28, s[0:1], 0x98
	s_load_b128 s[36:39], s[0:1], 0x88
	s_load_b64 s[34:35], s[0:1], 0x80
	s_load_b128 s[4:7], s[0:1], 0x60
	s_load_b128 s[16:19], s[0:1], 0x8
	s_load_b64 s[2:3], s[0:1], 0x28
	s_load_b128 s[8:11], s[0:1], 0x40
	s_load_b64 s[26:27], s[0:1], 0x50
	s_mov_b32 s21, 0
	s_mov_b32 s29, 0
	s_wait_kmcnt 0x0
	s_bitcmp1_b32 s28, 0
	s_cselect_b32 s31, -1, 0
	s_bitcmp1_b32 s28, 16
	s_cselect_b32 s12, -1, 0
	s_delay_alu instid0(SALU_CYCLE_1) | instskip(SKIP_2) | instid1(VALU_DEP_1)
	s_xor_b32 s12, s12, -1
	s_bitcmp0_b32 s28, 0
	v_cndmask_b32_e64 v1, 0, 1, s12
	v_cmp_ne_u32_e32 vcc_lo, 1, v1
	s_cbranch_scc1 .LBB48_5
; %bb.1:
	s_load_b64 s[20:21], s[0:1], 0x18
	s_and_b32 vcc_lo, exec_lo, vcc_lo
	s_wait_kmcnt 0x0
	s_mov_b32 s29, s20
	s_cbranch_vccnz .LBB48_3
; %bb.2:
	s_load_b32 s29, s[20:21], 0x0
.LBB48_3:
	s_and_not1_b32 vcc_lo, exec_lo, s12
	s_cbranch_vccnz .LBB48_5
; %bb.4:
	s_wait_xcnt 0x0
	s_load_b32 s21, s[20:21], 0x4
.LBB48_5:
	s_clause 0x3
	s_load_b64 s[40:41], s[0:1], 0x70
	s_load_b64 s[22:23], s[0:1], 0x58
	;; [unrolled: 1-line block ×3, first 2 shown]
	s_load_b128 s[12:15], s[0:1], 0x30
	s_bitcmp1_b32 s28, 8
	s_wait_xcnt 0x0
	s_mov_b32 s20, 0
	s_cselect_b32 s30, -1, 0
	s_bfe_u32 s28, s28, 0x10008
	s_delay_alu instid0(SALU_CYCLE_1)
	s_cmp_eq_u32 s28, 0
	s_mov_b32 s28, 0
	s_cbranch_scc1 .LBB48_11
; %bb.6:
	v_cmp_ne_u32_e32 vcc_lo, 1, v1
	s_mov_b32 s20, s26
	s_cbranch_vccnz .LBB48_8
; %bb.7:
	s_load_b32 s20, s[26:27], 0x0
.LBB48_8:
	v_cmp_ne_u32_e32 vcc_lo, 1, v1
	s_cbranch_vccnz .LBB48_10
; %bb.9:
	s_wait_xcnt 0x0
	s_load_b32 s27, s[26:27], 0x4
.LBB48_10:
	s_wait_kmcnt 0x0
	s_mov_b32 s28, s27
.LBB48_11:
	s_load_b32 s33, s[0:1], 0x0
	v_lshl_add_u32 v1, v0, 2, 0
	v_lshlrev_b32_e32 v2, 3, v0
	v_or_b32_e32 v6, 0xfffffc00, v0
	s_wait_xcnt 0x0
	s_mov_b32 s0, 0
	v_mov_b32_e32 v3, v1
	v_add3_u32 v7, v2, 0, 0x2000
	v_dual_mov_b32 v2, 0 :: v_dual_mov_b32 v4, v6
	s_wait_kmcnt 0x0
	s_delay_alu instid0(VALU_DEP_2)
	v_dual_mov_b32 v8, v7 :: v_dual_mov_b32 v5, s33
.LBB48_12:                              ; =>This Inner Loop Header: Depth=1
	s_delay_alu instid0(VALU_DEP_2)
	v_add_co_u32 v4, s1, 0x400, v4
	s_xor_b32 s1, s1, -1
	ds_store_b32 v3, v5
	ds_store_2addr_b32 v8, v2, v2 offset1:1
	v_add_nc_u32_e32 v8, 0x2000, v8
	v_add_nc_u32_e32 v3, 0x1000, v3
	s_and_b32 s1, exec_lo, s1
	s_delay_alu instid0(SALU_CYCLE_1) | instskip(NEXT) | instid1(SALU_CYCLE_1)
	s_or_b32 s0, s1, s0
	s_and_not1_b32 exec_lo, exec_lo, s0
	s_cbranch_execnz .LBB48_12
; %bb.13:
	s_or_b32 exec_lo, exec_lo, s0
	s_wait_dscnt 0x0
	s_barrier_signal -1
	s_barrier_wait -1
	s_load_b32 s0, s[16:17], 0x0
	s_bfe_u32 s1, ttmp6, 0x4000c
	s_wait_xcnt 0x0
	s_and_b32 s16, ttmp6, 15
	s_add_co_i32 s1, s1, 1
	s_getreg_b32 s17, hwreg(HW_REG_IB_STS2, 6, 4)
	s_mul_i32 s1, ttmp9, s1
	v_lshrrev_b32_e32 v8, 5, v0
	s_add_co_i32 s16, s16, s1
	s_cmp_eq_u32 s17, 0
	s_cselect_b32 s1, ttmp9, s16
	s_and_b32 vcc_lo, exec_lo, s31
	s_wait_kmcnt 0x0
	s_add_co_i32 s0, s0, s1
	s_load_b32 s42, s[18:19], s0 offset:0x0 scale_offset
	s_cbranch_vccz .LBB48_31
; %bb.14:
	s_wait_kmcnt 0x0
	s_ashr_i32 s43, s42, 31
	v_subrev_nc_u32_e32 v2, s36, v8
	s_lshl_b64 s[0:1], s[42:43], 2
	s_delay_alu instid0(SALU_CYCLE_1)
	s_add_nc_u64 s[0:1], s[24:25], s[0:1]
	s_load_b64 s[16:17], s[0:1], 0x0
	s_wait_xcnt 0x0
	s_mov_b32 s1, exec_lo
	s_wait_kmcnt 0x0
	v_add_nc_u32_e32 v2, s16, v2
	s_sub_co_i32 s0, s17, s36
	s_delay_alu instid0(VALU_DEP_1) | instid1(SALU_CYCLE_1)
	v_cmpx_gt_i32_e64 s0, v2
	s_cbranch_execz .LBB48_30
; %bb.15:
	v_and_b32_e32 v3, 31, v0
	s_mov_b32 s16, 0
	s_delay_alu instid0(VALU_DEP_1)
	v_subrev_nc_u32_e32 v9, s37, v3
	s_branch .LBB48_17
.LBB48_16:                              ;   in Loop: Header=BB48_17 Depth=1
	s_or_b32 exec_lo, exec_lo, s17
	v_add_nc_u32_e32 v2, 32, v2
	s_delay_alu instid0(VALU_DEP_1) | instskip(SKIP_1) | instid1(SALU_CYCLE_1)
	v_cmp_le_i32_e32 vcc_lo, s0, v2
	s_or_b32 s16, vcc_lo, s16
	s_and_not1_b32 exec_lo, exec_lo, s16
	s_cbranch_execz .LBB48_30
.LBB48_17:                              ; =>This Loop Header: Depth=1
                                        ;     Child Loop BB48_21 Depth 2
                                        ;       Child Loop BB48_24 Depth 3
	global_load_b32 v3, v2, s[2:3] scale_offset
	s_mov_b32 s17, exec_lo
	s_wait_loadcnt 0x0
	v_subrev_nc_u32_e32 v4, s36, v3
	s_delay_alu instid0(VALU_DEP_1) | instskip(NEXT) | instid1(VALU_DEP_1)
	v_ashrrev_i32_e32 v5, 31, v4
	v_lshl_add_u64 v[4:5], v[4:5], 2, s[14:15]
	global_load_b64 v[4:5], v[4:5], off
	s_wait_loadcnt 0x0
	v_subrev_nc_u32_e32 v10, s37, v5
	v_add_nc_u32_e32 v11, v4, v9
	s_wait_xcnt 0x0
	s_delay_alu instid0(VALU_DEP_1)
	v_cmpx_lt_i32_e64 v11, v10
	s_cbranch_execz .LBB48_16
; %bb.18:                               ;   in Loop: Header=BB48_17 Depth=1
	v_ashrrev_i32_e32 v3, 31, v2
	s_mov_b32 s18, 0
	s_delay_alu instid0(VALU_DEP_1) | instskip(SKIP_3) | instid1(VALU_DEP_1)
	v_lshl_add_u64 v[4:5], v[2:3], 3, s[12:13]
	global_load_b64 v[4:5], v[4:5], off
	s_wait_loadcnt 0x0
	v_mul_f32_e64 v3, v5, -s21
	v_dual_mul_f32 v12, s29, v5 :: v_dual_fmac_f32 v3, s29, v4
	s_delay_alu instid0(VALU_DEP_1)
	v_fmac_f32_e32 v12, s21, v4
	s_branch .LBB48_21
.LBB48_19:                              ;   in Loop: Header=BB48_21 Depth=2
	s_or_b32 exec_lo, exec_lo, s24
.LBB48_20:                              ;   in Loop: Header=BB48_21 Depth=2
	s_delay_alu instid0(SALU_CYCLE_1) | instskip(SKIP_3) | instid1(VALU_DEP_2)
	s_or_b32 exec_lo, exec_lo, s19
	s_wait_loadcnt 0x0
	v_dual_mul_f32 v14, v5, -v12 :: v_dual_mul_f32 v5, v3, v5
	v_lshl_add_u32 v13, v13, 3, 0
	v_dual_fmac_f32 v14, v3, v4 :: v_dual_add_nc_u32 v11, 32, v11
	s_delay_alu instid0(VALU_DEP_3) | instskip(SKIP_4) | instid1(SALU_CYCLE_1)
	v_fmac_f32_e32 v5, v12, v4
	ds_add_f32 v13, v14 offset:8192
	ds_add_f32 v13, v5 offset:8196
	v_cmp_ge_i32_e32 vcc_lo, v11, v10
	s_or_b32 s18, vcc_lo, s18
	s_and_not1_b32 exec_lo, exec_lo, s18
	s_cbranch_execz .LBB48_16
.LBB48_21:                              ;   Parent Loop BB48_17 Depth=1
                                        ; =>  This Loop Header: Depth=2
                                        ;       Child Loop BB48_24 Depth 3
	s_clause 0x1
	global_load_b32 v13, v11, s[8:9] scale_offset
	global_load_b64 v[4:5], v11, s[10:11] scale_offset
	s_mov_b32 s19, exec_lo
	s_wait_loadcnt 0x1
	v_subrev_nc_u32_e32 v14, s37, v13
	s_delay_alu instid0(VALU_DEP_1) | instskip(NEXT) | instid1(VALU_DEP_1)
	v_mul_lo_u32 v13, 0x89, v14
	v_and_b32_e32 v13, 0x7ff, v13
	s_delay_alu instid0(VALU_DEP_1)
	v_lshl_add_u32 v15, v13, 2, 0
	ds_load_b32 v16, v15
	s_wait_dscnt 0x0
	s_wait_xcnt 0x0
	v_cmpx_ne_u32_e64 v16, v14
	s_cbranch_execz .LBB48_20
; %bb.22:                               ;   in Loop: Header=BB48_21 Depth=2
	s_mov_b32 s24, 0
	s_branch .LBB48_24
.LBB48_23:                              ;   in Loop: Header=BB48_24 Depth=3
	s_or_b32 exec_lo, exec_lo, s27
	s_delay_alu instid0(SALU_CYCLE_1) | instskip(NEXT) | instid1(SALU_CYCLE_1)
	s_and_b32 s25, exec_lo, s26
	s_or_b32 s24, s25, s24
	s_delay_alu instid0(SALU_CYCLE_1)
	s_and_not1_b32 exec_lo, exec_lo, s24
	s_cbranch_execz .LBB48_19
.LBB48_24:                              ;   Parent Loop BB48_17 Depth=1
                                        ;     Parent Loop BB48_21 Depth=2
                                        ; =>    This Inner Loop Header: Depth=3
	s_mov_b32 s25, 0
	s_mov_b32 s26, exec_lo
	v_cmpx_ne_u32_e64 s33, v16
	s_xor_b32 s26, exec_lo, s26
	s_cbranch_execz .LBB48_26
; %bb.25:                               ;   in Loop: Header=BB48_24 Depth=3
	v_add_nc_u32_e32 v13, 1, v13
	s_mov_b32 s25, exec_lo
                                        ; implicit-def: $vgpr15
	s_delay_alu instid0(VALU_DEP_1)
	v_and_b32_e32 v13, 0x7ff, v13
	s_and_not1_saveexec_b32 s26, s26
	s_cbranch_execz .LBB48_28
	s_branch .LBB48_27
.LBB48_26:                              ;   in Loop: Header=BB48_24 Depth=3
	s_and_not1_saveexec_b32 s26, s26
	s_cbranch_execz .LBB48_28
.LBB48_27:                              ;   in Loop: Header=BB48_24 Depth=3
	v_mov_b32_e32 v16, s33
	s_and_not1_b32 s25, s25, exec_lo
	ds_cmpstore_rtn_b32 v15, v15, v14, v16
	s_wait_dscnt 0x0
	v_cmp_ne_u32_e32 vcc_lo, s33, v15
	s_and_b32 s27, vcc_lo, exec_lo
	s_delay_alu instid0(SALU_CYCLE_1)
	s_or_b32 s25, s25, s27
.LBB48_28:                              ;   in Loop: Header=BB48_24 Depth=3
	s_or_b32 exec_lo, exec_lo, s26
	s_mov_b32 s26, -1
                                        ; implicit-def: $vgpr15
                                        ; implicit-def: $vgpr16
	s_and_saveexec_b32 s27, s25
	s_cbranch_execz .LBB48_23
; %bb.29:                               ;   in Loop: Header=BB48_24 Depth=3
	v_lshl_add_u32 v15, v13, 2, 0
	ds_load_b32 v16, v15
	s_wait_dscnt 0x0
	v_cmp_eq_u32_e32 vcc_lo, v16, v14
	s_or_not1_b32 s26, vcc_lo, exec_lo
	s_branch .LBB48_23
.LBB48_30:
	s_or_b32 exec_lo, exec_lo, s1
.LBB48_31:
	s_delay_alu instid0(SALU_CYCLE_1)
	s_and_not1_b32 vcc_lo, exec_lo, s30
	s_cbranch_vccnz .LBB48_46
; %bb.32:
	s_wait_kmcnt 0x0
	s_ashr_i32 s43, s42, 31
	v_subrev_nc_u32_e32 v2, s39, v0
	s_lshl_b64 s[0:1], s[42:43], 2
	s_delay_alu instid0(SALU_CYCLE_1)
	s_add_nc_u64 s[0:1], s[22:23], s[0:1]
	s_load_b64 s[2:3], s[0:1], 0x0
	s_wait_xcnt 0x0
	s_mov_b32 s1, exec_lo
	s_wait_kmcnt 0x0
	v_add_nc_u32_e32 v4, s2, v2
	s_sub_co_i32 s0, s3, s39
	s_delay_alu instid0(VALU_DEP_1) | instid1(SALU_CYCLE_1)
	v_cmpx_gt_i32_e64 s0, v4
	s_cbranch_execz .LBB48_45
; %bb.33:
	s_mov_b32 s2, 0
	s_branch .LBB48_36
.LBB48_34:                              ;   in Loop: Header=BB48_36 Depth=1
	s_or_b32 exec_lo, exec_lo, s8
.LBB48_35:                              ;   in Loop: Header=BB48_36 Depth=1
	s_delay_alu instid0(SALU_CYCLE_1) | instskip(SKIP_4) | instid1(VALU_DEP_3)
	s_or_b32 exec_lo, exec_lo, s3
	s_wait_loadcnt 0x0
	v_mul_f32_e64 v9, v3, -s28
	v_mul_f32_e32 v3, s20, v3
	v_lshl_add_u32 v5, v5, 3, 0
	v_dual_fmac_f32 v9, s20, v2 :: v_dual_add_nc_u32 v4, 0x400, v4
	s_delay_alu instid0(VALU_DEP_3) | instskip(SKIP_4) | instid1(SALU_CYCLE_1)
	v_fmac_f32_e32 v3, s28, v2
	ds_add_f32 v5, v9 offset:8192
	ds_add_f32 v5, v3 offset:8196
	v_cmp_le_i32_e32 vcc_lo, s0, v4
	s_or_b32 s2, vcc_lo, s2
	s_and_not1_b32 exec_lo, exec_lo, s2
	s_cbranch_execz .LBB48_45
.LBB48_36:                              ; =>This Loop Header: Depth=1
                                        ;     Child Loop BB48_39 Depth 2
	s_clause 0x1
	global_load_b32 v5, v4, s[4:5] scale_offset
	global_load_b64 v[2:3], v4, s[6:7] scale_offset
	s_mov_b32 s3, exec_lo
	s_wait_loadcnt 0x1
	v_subrev_nc_u32_e32 v9, s39, v5
	s_delay_alu instid0(VALU_DEP_1) | instskip(NEXT) | instid1(VALU_DEP_1)
	v_mul_lo_u32 v5, 0x89, v9
	v_and_b32_e32 v5, 0x7ff, v5
	s_delay_alu instid0(VALU_DEP_1)
	v_lshl_add_u32 v10, v5, 2, 0
	ds_load_b32 v11, v10
	s_wait_dscnt 0x0
	s_wait_xcnt 0x0
	v_cmpx_ne_u32_e64 v11, v9
	s_cbranch_execz .LBB48_35
; %bb.37:                               ;   in Loop: Header=BB48_36 Depth=1
	s_mov_b32 s8, 0
	s_branch .LBB48_39
.LBB48_38:                              ;   in Loop: Header=BB48_39 Depth=2
	s_or_b32 exec_lo, exec_lo, s11
	s_delay_alu instid0(SALU_CYCLE_1) | instskip(NEXT) | instid1(SALU_CYCLE_1)
	s_and_b32 s9, exec_lo, s10
	s_or_b32 s8, s9, s8
	s_delay_alu instid0(SALU_CYCLE_1)
	s_and_not1_b32 exec_lo, exec_lo, s8
	s_cbranch_execz .LBB48_34
.LBB48_39:                              ;   Parent Loop BB48_36 Depth=1
                                        ; =>  This Inner Loop Header: Depth=2
	s_mov_b32 s9, 0
	s_mov_b32 s10, exec_lo
	v_cmpx_ne_u32_e64 s33, v11
	s_xor_b32 s10, exec_lo, s10
	s_cbranch_execz .LBB48_41
; %bb.40:                               ;   in Loop: Header=BB48_39 Depth=2
	v_add_nc_u32_e32 v5, 1, v5
	s_mov_b32 s9, exec_lo
                                        ; implicit-def: $vgpr10
	s_delay_alu instid0(VALU_DEP_1)
	v_and_b32_e32 v5, 0x7ff, v5
	s_and_not1_saveexec_b32 s10, s10
	s_cbranch_execz .LBB48_43
	s_branch .LBB48_42
.LBB48_41:                              ;   in Loop: Header=BB48_39 Depth=2
	s_and_not1_saveexec_b32 s10, s10
	s_cbranch_execz .LBB48_43
.LBB48_42:                              ;   in Loop: Header=BB48_39 Depth=2
	v_mov_b32_e32 v11, s33
	s_and_not1_b32 s9, s9, exec_lo
	ds_cmpstore_rtn_b32 v10, v10, v9, v11
	s_wait_dscnt 0x0
	v_cmp_ne_u32_e32 vcc_lo, s33, v10
	s_and_b32 s11, vcc_lo, exec_lo
	s_delay_alu instid0(SALU_CYCLE_1)
	s_or_b32 s9, s9, s11
.LBB48_43:                              ;   in Loop: Header=BB48_39 Depth=2
	s_or_b32 exec_lo, exec_lo, s10
	s_mov_b32 s10, -1
                                        ; implicit-def: $vgpr10
                                        ; implicit-def: $vgpr11
	s_and_saveexec_b32 s11, s9
	s_cbranch_execz .LBB48_38
; %bb.44:                               ;   in Loop: Header=BB48_39 Depth=2
	v_lshl_add_u32 v10, v5, 2, 0
	ds_load_b32 v11, v10
	s_wait_dscnt 0x0
	v_cmp_eq_u32_e32 vcc_lo, v11, v9
	s_or_not1_b32 s10, vcc_lo, exec_lo
	s_branch .LBB48_38
.LBB48_45:
	s_or_b32 exec_lo, exec_lo, s1
.LBB48_46:
	v_mbcnt_lo_u32_b32 v2, -1, 0
	v_mov_b32_e32 v3, 0
	v_lshl_add_u32 v8, v8, 2, 0
	s_wait_xcnt 0x0
	v_cmp_lt_u32_e64 s0, 31, v0
	v_cmp_lt_u32_e64 s1, 63, v0
	v_xor_b32_e32 v2, 31, v2
	v_cmp_lt_u32_e64 s2, 0x5f, v0
	v_cmp_lt_u32_e64 s3, 0x7f, v0
	;; [unrolled: 1-line block ×4, first 2 shown]
	v_lshrrev_b32_e64 v2, v2, -1
	v_cmp_lt_u32_e64 s6, 0xdf, v0
	v_cmp_lt_u32_e64 s7, 0xff, v0
	;; [unrolled: 1-line block ×25, first 2 shown]
	v_mov_b32_e32 v9, 0
	s_mov_b32 s36, 0
	s_wait_dscnt 0x0
	v_cmp_eq_u32_e32 vcc_lo, 0x3ff, v0
	s_barrier_signal -1
	s_barrier_wait -1
	s_branch .LBB48_48
.LBB48_47:                              ;   in Loop: Header=BB48_48 Depth=1
	s_or_b32 exec_lo, exec_lo, s31
	s_wait_dscnt 0x0
	s_barrier_signal -1
	s_barrier_wait -1
	ds_load_b32 v4, v3 offset:24700
	v_add_co_u32 v6, s31, 0x400, v6
	s_xor_b32 s31, s31, -1
	v_add_nc_u32_e32 v7, 0x2000, v7
	v_add_nc_u32_e32 v1, 0x1000, v1
	s_and_b32 s31, exec_lo, s31
	s_delay_alu instid0(SALU_CYCLE_1)
	s_or_b32 s36, s31, s36
	s_wait_dscnt 0x0
	v_add_nc_u32_e32 v9, v4, v9
	s_and_not1_b32 exec_lo, exec_lo, s36
	s_cbranch_execz .LBB48_114
.LBB48_48:                              ; =>This Inner Loop Header: Depth=1
	ds_load_b32 v10, v1
	ds_load_2addr_b32 v[4:5], v7 offset1:1
	s_wait_dscnt 0x0
	s_barrier_signal -1
	s_barrier_wait -1
	v_cmp_gt_i32_e64 s31, s33, v10
	s_bcnt1_i32_b32 s37, s31
	s_delay_alu instid0(SALU_CYCLE_1) | instskip(NEXT) | instid1(VALU_DEP_1)
	v_dual_mov_b32 v12, s37 :: v_dual_bitop2_b32 v11, s31, v2 bitop3:0x40
	v_bcnt_u32_b32 v11, v11, 0
	ds_store_b32 v8, v12 offset:24576
	s_wait_dscnt 0x0
	s_barrier_signal -1
	s_barrier_wait -1
	s_and_saveexec_b32 s37, s0
	s_cbranch_execz .LBB48_81
; %bb.49:                               ;   in Loop: Header=BB48_48 Depth=1
	ds_load_b32 v12, v3 offset:24576
	s_wait_dscnt 0x0
	v_add_nc_u32_e32 v11, v12, v11
	s_or_b32 exec_lo, exec_lo, s37
	s_and_saveexec_b32 s37, s1
	s_cbranch_execnz .LBB48_82
.LBB48_50:                              ;   in Loop: Header=BB48_48 Depth=1
	s_or_b32 exec_lo, exec_lo, s37
	s_and_saveexec_b32 s37, s2
	s_cbranch_execz .LBB48_83
.LBB48_51:                              ;   in Loop: Header=BB48_48 Depth=1
	ds_load_b32 v12, v3 offset:24584
	s_wait_dscnt 0x0
	v_add_nc_u32_e32 v11, v12, v11
	s_or_b32 exec_lo, exec_lo, s37
	s_and_saveexec_b32 s37, s3
	s_cbranch_execnz .LBB48_84
.LBB48_52:                              ;   in Loop: Header=BB48_48 Depth=1
	s_or_b32 exec_lo, exec_lo, s37
	s_and_saveexec_b32 s37, s4
	s_cbranch_execz .LBB48_85
.LBB48_53:                              ;   in Loop: Header=BB48_48 Depth=1
	ds_load_b32 v12, v3 offset:24592
	s_wait_dscnt 0x0
	v_add_nc_u32_e32 v11, v12, v11
	s_or_b32 exec_lo, exec_lo, s37
	s_and_saveexec_b32 s37, s5
	s_cbranch_execnz .LBB48_86
.LBB48_54:                              ;   in Loop: Header=BB48_48 Depth=1
	s_or_b32 exec_lo, exec_lo, s37
	s_and_saveexec_b32 s37, s6
	s_cbranch_execz .LBB48_87
.LBB48_55:                              ;   in Loop: Header=BB48_48 Depth=1
	ds_load_b32 v12, v3 offset:24600
	s_wait_dscnt 0x0
	v_add_nc_u32_e32 v11, v12, v11
	s_or_b32 exec_lo, exec_lo, s37
	s_and_saveexec_b32 s37, s7
	s_cbranch_execnz .LBB48_88
.LBB48_56:                              ;   in Loop: Header=BB48_48 Depth=1
	s_or_b32 exec_lo, exec_lo, s37
	s_and_saveexec_b32 s37, s8
	s_cbranch_execz .LBB48_89
.LBB48_57:                              ;   in Loop: Header=BB48_48 Depth=1
	ds_load_b32 v12, v3 offset:24608
	s_wait_dscnt 0x0
	v_add_nc_u32_e32 v11, v12, v11
	s_or_b32 exec_lo, exec_lo, s37
	s_and_saveexec_b32 s37, s9
	s_cbranch_execnz .LBB48_90
.LBB48_58:                              ;   in Loop: Header=BB48_48 Depth=1
	s_or_b32 exec_lo, exec_lo, s37
	s_and_saveexec_b32 s37, s10
	s_cbranch_execz .LBB48_91
.LBB48_59:                              ;   in Loop: Header=BB48_48 Depth=1
	ds_load_b32 v12, v3 offset:24616
	s_wait_dscnt 0x0
	v_add_nc_u32_e32 v11, v12, v11
	s_or_b32 exec_lo, exec_lo, s37
	s_and_saveexec_b32 s37, s11
	s_cbranch_execnz .LBB48_92
.LBB48_60:                              ;   in Loop: Header=BB48_48 Depth=1
	s_or_b32 exec_lo, exec_lo, s37
	s_and_saveexec_b32 s37, s12
	s_cbranch_execz .LBB48_93
.LBB48_61:                              ;   in Loop: Header=BB48_48 Depth=1
	ds_load_b32 v12, v3 offset:24624
	s_wait_dscnt 0x0
	v_add_nc_u32_e32 v11, v12, v11
	s_or_b32 exec_lo, exec_lo, s37
	s_and_saveexec_b32 s37, s13
	s_cbranch_execnz .LBB48_94
.LBB48_62:                              ;   in Loop: Header=BB48_48 Depth=1
	s_or_b32 exec_lo, exec_lo, s37
	s_and_saveexec_b32 s37, s14
	s_cbranch_execz .LBB48_95
.LBB48_63:                              ;   in Loop: Header=BB48_48 Depth=1
	ds_load_b32 v12, v3 offset:24632
	s_wait_dscnt 0x0
	v_add_nc_u32_e32 v11, v12, v11
	s_or_b32 exec_lo, exec_lo, s37
	s_and_saveexec_b32 s37, s15
	s_cbranch_execnz .LBB48_96
.LBB48_64:                              ;   in Loop: Header=BB48_48 Depth=1
	s_or_b32 exec_lo, exec_lo, s37
	s_and_saveexec_b32 s37, s16
	s_cbranch_execz .LBB48_97
.LBB48_65:                              ;   in Loop: Header=BB48_48 Depth=1
	ds_load_b32 v12, v3 offset:24640
	s_wait_dscnt 0x0
	v_add_nc_u32_e32 v11, v12, v11
	s_or_b32 exec_lo, exec_lo, s37
	s_and_saveexec_b32 s37, s17
	s_cbranch_execnz .LBB48_98
.LBB48_66:                              ;   in Loop: Header=BB48_48 Depth=1
	s_or_b32 exec_lo, exec_lo, s37
	s_and_saveexec_b32 s37, s18
	s_cbranch_execz .LBB48_99
.LBB48_67:                              ;   in Loop: Header=BB48_48 Depth=1
	ds_load_b32 v12, v3 offset:24648
	s_wait_dscnt 0x0
	v_add_nc_u32_e32 v11, v12, v11
	s_or_b32 exec_lo, exec_lo, s37
	s_and_saveexec_b32 s37, s19
	s_cbranch_execnz .LBB48_100
.LBB48_68:                              ;   in Loop: Header=BB48_48 Depth=1
	s_or_b32 exec_lo, exec_lo, s37
	s_and_saveexec_b32 s37, s20
	s_cbranch_execz .LBB48_101
.LBB48_69:                              ;   in Loop: Header=BB48_48 Depth=1
	ds_load_b32 v12, v3 offset:24656
	s_wait_dscnt 0x0
	v_add_nc_u32_e32 v11, v12, v11
	s_or_b32 exec_lo, exec_lo, s37
	s_and_saveexec_b32 s37, s21
	s_cbranch_execnz .LBB48_102
.LBB48_70:                              ;   in Loop: Header=BB48_48 Depth=1
	s_or_b32 exec_lo, exec_lo, s37
	s_and_saveexec_b32 s37, s22
	s_cbranch_execz .LBB48_103
.LBB48_71:                              ;   in Loop: Header=BB48_48 Depth=1
	ds_load_b32 v12, v3 offset:24664
	s_wait_dscnt 0x0
	v_add_nc_u32_e32 v11, v12, v11
	s_or_b32 exec_lo, exec_lo, s37
	s_and_saveexec_b32 s37, s23
	s_cbranch_execnz .LBB48_104
.LBB48_72:                              ;   in Loop: Header=BB48_48 Depth=1
	s_or_b32 exec_lo, exec_lo, s37
	s_and_saveexec_b32 s37, s24
	s_cbranch_execz .LBB48_105
.LBB48_73:                              ;   in Loop: Header=BB48_48 Depth=1
	ds_load_b32 v12, v3 offset:24672
	s_wait_dscnt 0x0
	v_add_nc_u32_e32 v11, v12, v11
	s_or_b32 exec_lo, exec_lo, s37
	s_and_saveexec_b32 s37, s25
	s_cbranch_execnz .LBB48_106
.LBB48_74:                              ;   in Loop: Header=BB48_48 Depth=1
	s_or_b32 exec_lo, exec_lo, s37
	s_and_saveexec_b32 s37, s26
	s_cbranch_execz .LBB48_107
.LBB48_75:                              ;   in Loop: Header=BB48_48 Depth=1
	ds_load_b32 v12, v3 offset:24680
	s_wait_dscnt 0x0
	v_add_nc_u32_e32 v11, v12, v11
	s_or_b32 exec_lo, exec_lo, s37
	s_and_saveexec_b32 s37, s27
	s_cbranch_execnz .LBB48_108
.LBB48_76:                              ;   in Loop: Header=BB48_48 Depth=1
	s_or_b32 exec_lo, exec_lo, s37
	s_and_saveexec_b32 s37, s28
	s_cbranch_execz .LBB48_109
.LBB48_77:                              ;   in Loop: Header=BB48_48 Depth=1
	ds_load_b32 v12, v3 offset:24688
	s_wait_dscnt 0x0
	v_add_nc_u32_e32 v11, v12, v11
	s_or_b32 exec_lo, exec_lo, s37
	s_and_saveexec_b32 s37, s29
	s_cbranch_execnz .LBB48_110
.LBB48_78:                              ;   in Loop: Header=BB48_48 Depth=1
	s_or_b32 exec_lo, exec_lo, s37
	s_and_saveexec_b32 s37, s30
	s_cbranch_execz .LBB48_111
.LBB48_79:                              ;   in Loop: Header=BB48_48 Depth=1
	ds_load_b32 v12, v3 offset:24696
	s_wait_dscnt 0x0
	v_add_nc_u32_e32 v11, v12, v11
	s_or_b32 exec_lo, exec_lo, s37
	s_and_saveexec_b32 s37, s31
	s_cbranch_execnz .LBB48_112
.LBB48_80:                              ;   in Loop: Header=BB48_48 Depth=1
	s_or_b32 exec_lo, exec_lo, s37
	s_and_saveexec_b32 s31, vcc_lo
	s_cbranch_execz .LBB48_47
	s_branch .LBB48_113
.LBB48_81:                              ;   in Loop: Header=BB48_48 Depth=1
	s_or_b32 exec_lo, exec_lo, s37
	s_and_saveexec_b32 s37, s1
	s_cbranch_execz .LBB48_50
.LBB48_82:                              ;   in Loop: Header=BB48_48 Depth=1
	ds_load_b32 v12, v3 offset:24580
	s_wait_dscnt 0x0
	v_add_nc_u32_e32 v11, v12, v11
	s_or_b32 exec_lo, exec_lo, s37
	s_and_saveexec_b32 s37, s2
	s_cbranch_execnz .LBB48_51
.LBB48_83:                              ;   in Loop: Header=BB48_48 Depth=1
	s_or_b32 exec_lo, exec_lo, s37
	s_and_saveexec_b32 s37, s3
	s_cbranch_execz .LBB48_52
.LBB48_84:                              ;   in Loop: Header=BB48_48 Depth=1
	ds_load_b32 v12, v3 offset:24588
	s_wait_dscnt 0x0
	v_add_nc_u32_e32 v11, v12, v11
	s_or_b32 exec_lo, exec_lo, s37
	s_and_saveexec_b32 s37, s4
	s_cbranch_execnz .LBB48_53
.LBB48_85:                              ;   in Loop: Header=BB48_48 Depth=1
	s_or_b32 exec_lo, exec_lo, s37
	s_and_saveexec_b32 s37, s5
	s_cbranch_execz .LBB48_54
.LBB48_86:                              ;   in Loop: Header=BB48_48 Depth=1
	ds_load_b32 v12, v3 offset:24596
	s_wait_dscnt 0x0
	v_add_nc_u32_e32 v11, v12, v11
	s_or_b32 exec_lo, exec_lo, s37
	s_and_saveexec_b32 s37, s6
	s_cbranch_execnz .LBB48_55
.LBB48_87:                              ;   in Loop: Header=BB48_48 Depth=1
	s_or_b32 exec_lo, exec_lo, s37
	s_and_saveexec_b32 s37, s7
	s_cbranch_execz .LBB48_56
.LBB48_88:                              ;   in Loop: Header=BB48_48 Depth=1
	ds_load_b32 v12, v3 offset:24604
	s_wait_dscnt 0x0
	v_add_nc_u32_e32 v11, v12, v11
	s_or_b32 exec_lo, exec_lo, s37
	s_and_saveexec_b32 s37, s8
	s_cbranch_execnz .LBB48_57
.LBB48_89:                              ;   in Loop: Header=BB48_48 Depth=1
	s_or_b32 exec_lo, exec_lo, s37
	s_and_saveexec_b32 s37, s9
	s_cbranch_execz .LBB48_58
.LBB48_90:                              ;   in Loop: Header=BB48_48 Depth=1
	ds_load_b32 v12, v3 offset:24612
	s_wait_dscnt 0x0
	v_add_nc_u32_e32 v11, v12, v11
	s_or_b32 exec_lo, exec_lo, s37
	s_and_saveexec_b32 s37, s10
	s_cbranch_execnz .LBB48_59
.LBB48_91:                              ;   in Loop: Header=BB48_48 Depth=1
	s_or_b32 exec_lo, exec_lo, s37
	s_and_saveexec_b32 s37, s11
	s_cbranch_execz .LBB48_60
.LBB48_92:                              ;   in Loop: Header=BB48_48 Depth=1
	ds_load_b32 v12, v3 offset:24620
	s_wait_dscnt 0x0
	v_add_nc_u32_e32 v11, v12, v11
	s_or_b32 exec_lo, exec_lo, s37
	s_and_saveexec_b32 s37, s12
	s_cbranch_execnz .LBB48_61
.LBB48_93:                              ;   in Loop: Header=BB48_48 Depth=1
	s_or_b32 exec_lo, exec_lo, s37
	s_and_saveexec_b32 s37, s13
	s_cbranch_execz .LBB48_62
.LBB48_94:                              ;   in Loop: Header=BB48_48 Depth=1
	ds_load_b32 v12, v3 offset:24628
	s_wait_dscnt 0x0
	v_add_nc_u32_e32 v11, v12, v11
	s_or_b32 exec_lo, exec_lo, s37
	s_and_saveexec_b32 s37, s14
	s_cbranch_execnz .LBB48_63
.LBB48_95:                              ;   in Loop: Header=BB48_48 Depth=1
	s_or_b32 exec_lo, exec_lo, s37
	s_and_saveexec_b32 s37, s15
	s_cbranch_execz .LBB48_64
.LBB48_96:                              ;   in Loop: Header=BB48_48 Depth=1
	ds_load_b32 v12, v3 offset:24636
	s_wait_dscnt 0x0
	v_add_nc_u32_e32 v11, v12, v11
	s_or_b32 exec_lo, exec_lo, s37
	s_and_saveexec_b32 s37, s16
	s_cbranch_execnz .LBB48_65
.LBB48_97:                              ;   in Loop: Header=BB48_48 Depth=1
	s_or_b32 exec_lo, exec_lo, s37
	s_and_saveexec_b32 s37, s17
	s_cbranch_execz .LBB48_66
.LBB48_98:                              ;   in Loop: Header=BB48_48 Depth=1
	ds_load_b32 v12, v3 offset:24644
	s_wait_dscnt 0x0
	v_add_nc_u32_e32 v11, v12, v11
	s_or_b32 exec_lo, exec_lo, s37
	s_and_saveexec_b32 s37, s18
	s_cbranch_execnz .LBB48_67
.LBB48_99:                              ;   in Loop: Header=BB48_48 Depth=1
	s_or_b32 exec_lo, exec_lo, s37
	s_and_saveexec_b32 s37, s19
	s_cbranch_execz .LBB48_68
.LBB48_100:                             ;   in Loop: Header=BB48_48 Depth=1
	ds_load_b32 v12, v3 offset:24652
	s_wait_dscnt 0x0
	v_add_nc_u32_e32 v11, v12, v11
	s_or_b32 exec_lo, exec_lo, s37
	s_and_saveexec_b32 s37, s20
	s_cbranch_execnz .LBB48_69
.LBB48_101:                             ;   in Loop: Header=BB48_48 Depth=1
	s_or_b32 exec_lo, exec_lo, s37
	s_and_saveexec_b32 s37, s21
	s_cbranch_execz .LBB48_70
.LBB48_102:                             ;   in Loop: Header=BB48_48 Depth=1
	ds_load_b32 v12, v3 offset:24660
	s_wait_dscnt 0x0
	v_add_nc_u32_e32 v11, v12, v11
	s_or_b32 exec_lo, exec_lo, s37
	s_and_saveexec_b32 s37, s22
	s_cbranch_execnz .LBB48_71
.LBB48_103:                             ;   in Loop: Header=BB48_48 Depth=1
	s_or_b32 exec_lo, exec_lo, s37
	s_and_saveexec_b32 s37, s23
	s_cbranch_execz .LBB48_72
.LBB48_104:                             ;   in Loop: Header=BB48_48 Depth=1
	ds_load_b32 v12, v3 offset:24668
	s_wait_dscnt 0x0
	v_add_nc_u32_e32 v11, v12, v11
	s_or_b32 exec_lo, exec_lo, s37
	s_and_saveexec_b32 s37, s24
	s_cbranch_execnz .LBB48_73
.LBB48_105:                             ;   in Loop: Header=BB48_48 Depth=1
	s_or_b32 exec_lo, exec_lo, s37
	s_and_saveexec_b32 s37, s25
	s_cbranch_execz .LBB48_74
.LBB48_106:                             ;   in Loop: Header=BB48_48 Depth=1
	ds_load_b32 v12, v3 offset:24676
	s_wait_dscnt 0x0
	v_add_nc_u32_e32 v11, v12, v11
	s_or_b32 exec_lo, exec_lo, s37
	s_and_saveexec_b32 s37, s26
	s_cbranch_execnz .LBB48_75
.LBB48_107:                             ;   in Loop: Header=BB48_48 Depth=1
	s_or_b32 exec_lo, exec_lo, s37
	s_and_saveexec_b32 s37, s27
	s_cbranch_execz .LBB48_76
.LBB48_108:                             ;   in Loop: Header=BB48_48 Depth=1
	ds_load_b32 v12, v3 offset:24684
	s_wait_dscnt 0x0
	v_add_nc_u32_e32 v11, v12, v11
	s_or_b32 exec_lo, exec_lo, s37
	s_and_saveexec_b32 s37, s28
	s_cbranch_execnz .LBB48_77
.LBB48_109:                             ;   in Loop: Header=BB48_48 Depth=1
	s_or_b32 exec_lo, exec_lo, s37
	s_and_saveexec_b32 s37, s29
	s_cbranch_execz .LBB48_78
.LBB48_110:                             ;   in Loop: Header=BB48_48 Depth=1
	ds_load_b32 v12, v3 offset:24692
	s_wait_dscnt 0x0
	v_add_nc_u32_e32 v11, v12, v11
	s_or_b32 exec_lo, exec_lo, s37
	s_and_saveexec_b32 s37, s30
	s_cbranch_execnz .LBB48_79
.LBB48_111:                             ;   in Loop: Header=BB48_48 Depth=1
	s_or_b32 exec_lo, exec_lo, s37
	s_and_saveexec_b32 s37, s31
	s_cbranch_execz .LBB48_80
.LBB48_112:                             ;   in Loop: Header=BB48_48 Depth=1
	s_delay_alu instid0(VALU_DEP_1) | instskip(SKIP_1) | instid1(VALU_DEP_2)
	v_add3_u32 v12, v9, -1, v11
	v_add_lshl_u32 v13, v9, v11, 3
	v_lshl_add_u32 v12, v12, 2, 0
	s_delay_alu instid0(VALU_DEP_2)
	v_add3_u32 v13, 0, v13, 0x1ff8
	ds_store_b32 v12, v10
	ds_store_2addr_b32 v13, v4, v5 offset1:1
	s_or_b32 exec_lo, exec_lo, s37
	s_and_saveexec_b32 s31, vcc_lo
	s_cbranch_execz .LBB48_47
.LBB48_113:                             ;   in Loop: Header=BB48_48 Depth=1
	ds_store_b32 v3, v11 offset:24700
	s_branch .LBB48_47
.LBB48_114:
	s_or_b32 exec_lo, exec_lo, s36
	s_wait_kmcnt 0x0
	s_ashr_i32 s43, s42, 31
	s_delay_alu instid0(SALU_CYCLE_1) | instskip(NEXT) | instid1(SALU_CYCLE_1)
	s_lshl_b64 s[0:1], s[42:43], 2
	s_add_nc_u64 s[2:3], s[40:41], s[0:1]
	s_load_b64 s[0:1], s[2:3], 0x0
	s_wait_kmcnt 0x0
	s_sub_co_i32 s4, s1, s0
	s_mov_b32 s1, exec_lo
	v_cmpx_gt_i32_e64 s4, v0
	s_cbranch_execz .LBB48_128
; %bb.115:
	v_sub_co_u32 v1, s1, s4, 2
	s_sub_co_i32 s2, s0, s38
	s_xor_b32 s6, s1, -1
	s_and_b32 s5, s4, -2
	v_readfirstlane_b32 s3, v1
	s_lshr_b32 s0, s3, 1
	s_mov_b32 s3, 0
	s_add_co_i32 s0, s0, 1
	s_mov_b32 s11, s3
	s_and_b32 s1, s0, 7
	s_and_b32 s7, s0, -8
	s_cmp_lg_u32 s1, 0
	v_cmp_lt_u32_e64 s0, 13, v1
	s_cselect_b32 s8, -1, 0
	s_cmp_lg_u32 s4, s5
	s_cselect_b32 s9, -1, 0
	s_lshl_b32 s10, s1, 3
	s_branch .LBB48_117
.LBB48_116:                             ;   in Loop: Header=BB48_117 Depth=1
	v_add_nc_u32_e32 v0, 0x400, v0
	s_wait_dscnt 0x0
	global_store_b64 v4, v[2:3], s[34:35] scale_offset
	v_cmp_le_i32_e32 vcc_lo, s4, v0
	s_or_b32 s11, vcc_lo, s11
	s_wait_xcnt 0x0
	s_and_not1_b32 exec_lo, exec_lo, s11
	s_cbranch_execz .LBB48_128
.LBB48_117:                             ; =>This Loop Header: Depth=1
                                        ;     Child Loop BB48_120 Depth 2
                                        ;     Child Loop BB48_123 Depth 2
	;; [unrolled: 1-line block ×3, first 2 shown]
	v_dual_mov_b32 v4, s2 :: v_dual_lshlrev_b32 v1, 2, v0
	s_and_not1_b32 vcc_lo, exec_lo, s6
	s_mov_b32 s1, 0
	s_mov_b32 s12, -1
	s_delay_alu instid0(VALU_DEP_1) | instskip(NEXT) | instid1(VALU_DEP_1)
	v_add_nc_u32_e32 v2, 0, v1
	v_add3_u32 v3, v2, v1, 0x2000
	ds_load_b32 v1, v2
	ds_load_2addr_b32 v[2:3], v3 offset1:1
	s_cbranch_vccnz .LBB48_125
; %bb.118:                              ;   in Loop: Header=BB48_117 Depth=1
	v_mov_b64_e32 v[4:5], s[2:3]
	s_and_not1_b32 vcc_lo, exec_lo, s0
	s_mov_b32 s12, 0
	s_cbranch_vccnz .LBB48_121
; %bb.119:                              ;   in Loop: Header=BB48_117 Depth=1
	v_dual_mov_b32 v4, s2 :: v_dual_mov_b32 v5, 0
	s_mov_b32 s13, 0
	s_mov_b32 s14, s7
.LBB48_120:                             ;   Parent Loop BB48_117 Depth=1
                                        ; =>  This Inner Loop Header: Depth=2
	v_mov_b32_e32 v20, s13
	s_add_co_i32 s14, s14, -8
	s_add_co_i32 s12, s12, 16
	s_add_co_i32 s13, s13, 64
	s_cmp_lg_u32 s14, 0
	ds_load_2addr_b32 v[6:7], v20 offset1:1
	ds_load_2addr_b32 v[8:9], v20 offset0:2 offset1:3
	ds_load_2addr_b32 v[10:11], v20 offset0:4 offset1:5
	;; [unrolled: 1-line block ×7, first 2 shown]
	s_wait_dscnt 0x7
	v_cmp_gt_i32_e32 vcc_lo, v1, v7
	s_wait_dscnt 0x5
	v_cmp_gt_i32_e64 s1, v1, v10
	v_cndmask_b32_e64 v7, 0, 1, vcc_lo
	v_cmp_gt_i32_e32 vcc_lo, v1, v6
	v_cndmask_b32_e64 v6, 0, 1, vcc_lo
	v_cmp_gt_i32_e32 vcc_lo, v1, v8
	v_cndmask_b32_e64 v8, 0, 1, s1
	v_cmp_gt_i32_e64 s1, v1, v11
	s_delay_alu instid0(VALU_DEP_4) | instskip(NEXT) | instid1(VALU_DEP_2)
	v_add_co_ci_u32_e64 v4, null, v4, v6, vcc_lo
	v_cndmask_b32_e64 v10, 0, 1, s1
	s_wait_dscnt 0x4
	v_cmp_gt_i32_e64 s1, v1, v13
	s_wait_dscnt 0x2
	v_cmp_gt_i32_e32 vcc_lo, v1, v16
	s_delay_alu instid0(VALU_DEP_2) | instskip(SKIP_4) | instid1(VALU_DEP_3)
	v_cndmask_b32_e64 v11, 0, 1, s1
	v_cmp_gt_i32_e64 s1, v1, v12
	v_add_co_ci_u32_e64 v4, null, v4, v8, vcc_lo
	s_wait_dscnt 0x1
	v_cmp_gt_i32_e32 vcc_lo, v1, v18
	v_cndmask_b32_e64 v12, 0, 1, s1
	v_cmp_gt_i32_e64 s1, v1, v14
	s_delay_alu instid0(VALU_DEP_2) | instskip(NEXT) | instid1(VALU_DEP_2)
	v_add_co_ci_u32_e64 v4, null, v4, v12, vcc_lo
	v_cndmask_b32_e64 v13, 0, 1, s1
	v_cmp_gt_i32_e64 s1, v1, v15
	s_wait_dscnt 0x0
	v_cmp_gt_i32_e32 vcc_lo, v1, v20
	s_delay_alu instid0(VALU_DEP_2) | instskip(SKIP_2) | instid1(VALU_DEP_2)
	v_cndmask_b32_e64 v14, 0, 1, s1
	v_cmp_gt_i32_e64 s1, v1, v9
	v_add_co_ci_u32_e64 v4, null, v4, v13, vcc_lo
	v_add_co_ci_u32_e64 v5, null, v5, v7, s1
	v_cmp_gt_i32_e64 s1, v1, v17
	s_delay_alu instid0(VALU_DEP_1) | instskip(SKIP_1) | instid1(VALU_DEP_1)
	v_add_co_ci_u32_e64 v5, null, v5, v10, s1
	v_cmp_gt_i32_e64 s1, v1, v19
	v_add_co_ci_u32_e64 v5, null, v5, v11, s1
	v_cmp_gt_i32_e64 s1, v1, v21
	s_delay_alu instid0(VALU_DEP_1)
	v_add_co_ci_u32_e64 v5, null, v5, v14, s1
	s_cbranch_scc1 .LBB48_120
.LBB48_121:                             ;   in Loop: Header=BB48_117 Depth=1
	s_and_not1_b32 vcc_lo, exec_lo, s8
	s_cbranch_vccnz .LBB48_124
; %bb.122:                              ;   in Loop: Header=BB48_117 Depth=1
	s_lshl_b32 s1, s12, 2
	s_mov_b32 s12, s10
	s_add_co_i32 s1, s1, 0
.LBB48_123:                             ;   Parent Loop BB48_117 Depth=1
                                        ; =>  This Inner Loop Header: Depth=2
	s_delay_alu instid0(SALU_CYCLE_1)
	v_mov_b32_e32 v6, s1
	s_add_co_i32 s12, s12, -8
	s_add_co_i32 s1, s1, 8
	s_cmp_lg_u32 s12, 0
	ds_load_2addr_b32 v[6:7], v6 offset1:1
	s_wait_dscnt 0x0
	v_cmp_gt_i32_e32 vcc_lo, v1, v7
	v_add_co_ci_u32_e64 v5, null, 0, v5, vcc_lo
	v_cmp_gt_i32_e32 vcc_lo, v1, v6
	v_add_co_ci_u32_e64 v4, null, 0, v4, vcc_lo
	s_cbranch_scc1 .LBB48_123
.LBB48_124:                             ;   in Loop: Header=BB48_117 Depth=1
	s_delay_alu instid0(VALU_DEP_1)
	v_add_nc_u32_e32 v4, v4, v5
	s_mov_b32 s1, s5
	s_mov_b32 s12, s9
.LBB48_125:                             ;   in Loop: Header=BB48_117 Depth=1
	s_delay_alu instid0(SALU_CYCLE_1)
	s_and_b32 vcc_lo, exec_lo, s12
	s_cbranch_vccz .LBB48_116
; %bb.126:                              ;   in Loop: Header=BB48_117 Depth=1
	s_lshl_b32 s12, s1, 2
	s_delay_alu instid0(SALU_CYCLE_1)
	s_add_co_i32 s12, s12, 0
.LBB48_127:                             ;   Parent Loop BB48_117 Depth=1
                                        ; =>  This Inner Loop Header: Depth=2
	s_delay_alu instid0(SALU_CYCLE_1)
	v_mov_b32_e32 v5, s12
	s_add_co_i32 s1, s1, 1
	s_add_co_i32 s12, s12, 4
	s_cmp_ge_i32 s1, s4
	ds_load_b32 v5, v5
	s_wait_dscnt 0x0
	v_cmp_gt_i32_e32 vcc_lo, v1, v5
	v_add_co_ci_u32_e64 v4, null, 0, v4, vcc_lo
	s_cbranch_scc0 .LBB48_127
	s_branch .LBB48_116
.LBB48_128:
	s_endpgm
	.section	.rodata,"a",@progbits
	.p2align	6, 0x0
	.amdhsa_kernel _ZN9rocsparseL41csrgemm_numeric_fill_block_per_row_kernelILj1024ELj32ELj2048ELj137ELj32Eii21rocsparse_complex_numIfEEEvT5_PKS3_S5_NS_24const_host_device_scalarIT6_EEPKT4_S5_PKS7_SB_S5_SD_S8_SB_S5_SD_SB_S5_PS7_21rocsparse_index_base_SF_SF_SF_bbb
		.amdhsa_group_segment_fixed_size 0
		.amdhsa_private_segment_fixed_size 0
		.amdhsa_kernarg_size 156
		.amdhsa_user_sgpr_count 2
		.amdhsa_user_sgpr_dispatch_ptr 0
		.amdhsa_user_sgpr_queue_ptr 0
		.amdhsa_user_sgpr_kernarg_segment_ptr 1
		.amdhsa_user_sgpr_dispatch_id 0
		.amdhsa_user_sgpr_kernarg_preload_length 0
		.amdhsa_user_sgpr_kernarg_preload_offset 0
		.amdhsa_user_sgpr_private_segment_size 0
		.amdhsa_wavefront_size32 1
		.amdhsa_uses_dynamic_stack 0
		.amdhsa_enable_private_segment 0
		.amdhsa_system_sgpr_workgroup_id_x 1
		.amdhsa_system_sgpr_workgroup_id_y 0
		.amdhsa_system_sgpr_workgroup_id_z 0
		.amdhsa_system_sgpr_workgroup_info 0
		.amdhsa_system_vgpr_workitem_id 0
		.amdhsa_next_free_vgpr 22
		.amdhsa_next_free_sgpr 44
		.amdhsa_named_barrier_count 0
		.amdhsa_reserve_vcc 1
		.amdhsa_float_round_mode_32 0
		.amdhsa_float_round_mode_16_64 0
		.amdhsa_float_denorm_mode_32 3
		.amdhsa_float_denorm_mode_16_64 3
		.amdhsa_fp16_overflow 0
		.amdhsa_memory_ordered 1
		.amdhsa_forward_progress 1
		.amdhsa_inst_pref_size 35
		.amdhsa_round_robin_scheduling 0
		.amdhsa_exception_fp_ieee_invalid_op 0
		.amdhsa_exception_fp_denorm_src 0
		.amdhsa_exception_fp_ieee_div_zero 0
		.amdhsa_exception_fp_ieee_overflow 0
		.amdhsa_exception_fp_ieee_underflow 0
		.amdhsa_exception_fp_ieee_inexact 0
		.amdhsa_exception_int_div_zero 0
	.end_amdhsa_kernel
	.section	.text._ZN9rocsparseL41csrgemm_numeric_fill_block_per_row_kernelILj1024ELj32ELj2048ELj137ELj32Eii21rocsparse_complex_numIfEEEvT5_PKS3_S5_NS_24const_host_device_scalarIT6_EEPKT4_S5_PKS7_SB_S5_SD_S8_SB_S5_SD_SB_S5_PS7_21rocsparse_index_base_SF_SF_SF_bbb,"axG",@progbits,_ZN9rocsparseL41csrgemm_numeric_fill_block_per_row_kernelILj1024ELj32ELj2048ELj137ELj32Eii21rocsparse_complex_numIfEEEvT5_PKS3_S5_NS_24const_host_device_scalarIT6_EEPKT4_S5_PKS7_SB_S5_SD_S8_SB_S5_SD_SB_S5_PS7_21rocsparse_index_base_SF_SF_SF_bbb,comdat
.Lfunc_end48:
	.size	_ZN9rocsparseL41csrgemm_numeric_fill_block_per_row_kernelILj1024ELj32ELj2048ELj137ELj32Eii21rocsparse_complex_numIfEEEvT5_PKS3_S5_NS_24const_host_device_scalarIT6_EEPKT4_S5_PKS7_SB_S5_SD_S8_SB_S5_SD_SB_S5_PS7_21rocsparse_index_base_SF_SF_SF_bbb, .Lfunc_end48-_ZN9rocsparseL41csrgemm_numeric_fill_block_per_row_kernelILj1024ELj32ELj2048ELj137ELj32Eii21rocsparse_complex_numIfEEEvT5_PKS3_S5_NS_24const_host_device_scalarIT6_EEPKT4_S5_PKS7_SB_S5_SD_S8_SB_S5_SD_SB_S5_PS7_21rocsparse_index_base_SF_SF_SF_bbb
                                        ; -- End function
	.set _ZN9rocsparseL41csrgemm_numeric_fill_block_per_row_kernelILj1024ELj32ELj2048ELj137ELj32Eii21rocsparse_complex_numIfEEEvT5_PKS3_S5_NS_24const_host_device_scalarIT6_EEPKT4_S5_PKS7_SB_S5_SD_S8_SB_S5_SD_SB_S5_PS7_21rocsparse_index_base_SF_SF_SF_bbb.num_vgpr, 22
	.set _ZN9rocsparseL41csrgemm_numeric_fill_block_per_row_kernelILj1024ELj32ELj2048ELj137ELj32Eii21rocsparse_complex_numIfEEEvT5_PKS3_S5_NS_24const_host_device_scalarIT6_EEPKT4_S5_PKS7_SB_S5_SD_S8_SB_S5_SD_SB_S5_PS7_21rocsparse_index_base_SF_SF_SF_bbb.num_agpr, 0
	.set _ZN9rocsparseL41csrgemm_numeric_fill_block_per_row_kernelILj1024ELj32ELj2048ELj137ELj32Eii21rocsparse_complex_numIfEEEvT5_PKS3_S5_NS_24const_host_device_scalarIT6_EEPKT4_S5_PKS7_SB_S5_SD_S8_SB_S5_SD_SB_S5_PS7_21rocsparse_index_base_SF_SF_SF_bbb.numbered_sgpr, 44
	.set _ZN9rocsparseL41csrgemm_numeric_fill_block_per_row_kernelILj1024ELj32ELj2048ELj137ELj32Eii21rocsparse_complex_numIfEEEvT5_PKS3_S5_NS_24const_host_device_scalarIT6_EEPKT4_S5_PKS7_SB_S5_SD_S8_SB_S5_SD_SB_S5_PS7_21rocsparse_index_base_SF_SF_SF_bbb.num_named_barrier, 0
	.set _ZN9rocsparseL41csrgemm_numeric_fill_block_per_row_kernelILj1024ELj32ELj2048ELj137ELj32Eii21rocsparse_complex_numIfEEEvT5_PKS3_S5_NS_24const_host_device_scalarIT6_EEPKT4_S5_PKS7_SB_S5_SD_S8_SB_S5_SD_SB_S5_PS7_21rocsparse_index_base_SF_SF_SF_bbb.private_seg_size, 0
	.set _ZN9rocsparseL41csrgemm_numeric_fill_block_per_row_kernelILj1024ELj32ELj2048ELj137ELj32Eii21rocsparse_complex_numIfEEEvT5_PKS3_S5_NS_24const_host_device_scalarIT6_EEPKT4_S5_PKS7_SB_S5_SD_S8_SB_S5_SD_SB_S5_PS7_21rocsparse_index_base_SF_SF_SF_bbb.uses_vcc, 1
	.set _ZN9rocsparseL41csrgemm_numeric_fill_block_per_row_kernelILj1024ELj32ELj2048ELj137ELj32Eii21rocsparse_complex_numIfEEEvT5_PKS3_S5_NS_24const_host_device_scalarIT6_EEPKT4_S5_PKS7_SB_S5_SD_S8_SB_S5_SD_SB_S5_PS7_21rocsparse_index_base_SF_SF_SF_bbb.uses_flat_scratch, 0
	.set _ZN9rocsparseL41csrgemm_numeric_fill_block_per_row_kernelILj1024ELj32ELj2048ELj137ELj32Eii21rocsparse_complex_numIfEEEvT5_PKS3_S5_NS_24const_host_device_scalarIT6_EEPKT4_S5_PKS7_SB_S5_SD_S8_SB_S5_SD_SB_S5_PS7_21rocsparse_index_base_SF_SF_SF_bbb.has_dyn_sized_stack, 0
	.set _ZN9rocsparseL41csrgemm_numeric_fill_block_per_row_kernelILj1024ELj32ELj2048ELj137ELj32Eii21rocsparse_complex_numIfEEEvT5_PKS3_S5_NS_24const_host_device_scalarIT6_EEPKT4_S5_PKS7_SB_S5_SD_S8_SB_S5_SD_SB_S5_PS7_21rocsparse_index_base_SF_SF_SF_bbb.has_recursion, 0
	.set _ZN9rocsparseL41csrgemm_numeric_fill_block_per_row_kernelILj1024ELj32ELj2048ELj137ELj32Eii21rocsparse_complex_numIfEEEvT5_PKS3_S5_NS_24const_host_device_scalarIT6_EEPKT4_S5_PKS7_SB_S5_SD_S8_SB_S5_SD_SB_S5_PS7_21rocsparse_index_base_SF_SF_SF_bbb.has_indirect_call, 0
	.section	.AMDGPU.csdata,"",@progbits
; Kernel info:
; codeLenInByte = 4416
; TotalNumSgprs: 46
; NumVgprs: 22
; ScratchSize: 0
; MemoryBound: 0
; FloatMode: 240
; IeeeMode: 1
; LDSByteSize: 0 bytes/workgroup (compile time only)
; SGPRBlocks: 0
; VGPRBlocks: 1
; NumSGPRsForWavesPerEU: 46
; NumVGPRsForWavesPerEU: 22
; NamedBarCnt: 0
; Occupancy: 16
; WaveLimiterHint : 1
; COMPUTE_PGM_RSRC2:SCRATCH_EN: 0
; COMPUTE_PGM_RSRC2:USER_SGPR: 2
; COMPUTE_PGM_RSRC2:TRAP_HANDLER: 0
; COMPUTE_PGM_RSRC2:TGID_X_EN: 1
; COMPUTE_PGM_RSRC2:TGID_Y_EN: 0
; COMPUTE_PGM_RSRC2:TGID_Z_EN: 0
; COMPUTE_PGM_RSRC2:TIDIG_COMP_CNT: 0
	.section	.text._ZN9rocsparseL41csrgemm_numeric_fill_block_per_row_kernelILj1024ELj32ELj2048ELj137ELj64Eii21rocsparse_complex_numIfEEEvT5_PKS3_S5_NS_24const_host_device_scalarIT6_EEPKT4_S5_PKS7_SB_S5_SD_S8_SB_S5_SD_SB_S5_PS7_21rocsparse_index_base_SF_SF_SF_bbb,"axG",@progbits,_ZN9rocsparseL41csrgemm_numeric_fill_block_per_row_kernelILj1024ELj32ELj2048ELj137ELj64Eii21rocsparse_complex_numIfEEEvT5_PKS3_S5_NS_24const_host_device_scalarIT6_EEPKT4_S5_PKS7_SB_S5_SD_S8_SB_S5_SD_SB_S5_PS7_21rocsparse_index_base_SF_SF_SF_bbb,comdat
	.globl	_ZN9rocsparseL41csrgemm_numeric_fill_block_per_row_kernelILj1024ELj32ELj2048ELj137ELj64Eii21rocsparse_complex_numIfEEEvT5_PKS3_S5_NS_24const_host_device_scalarIT6_EEPKT4_S5_PKS7_SB_S5_SD_S8_SB_S5_SD_SB_S5_PS7_21rocsparse_index_base_SF_SF_SF_bbb ; -- Begin function _ZN9rocsparseL41csrgemm_numeric_fill_block_per_row_kernelILj1024ELj32ELj2048ELj137ELj64Eii21rocsparse_complex_numIfEEEvT5_PKS3_S5_NS_24const_host_device_scalarIT6_EEPKT4_S5_PKS7_SB_S5_SD_S8_SB_S5_SD_SB_S5_PS7_21rocsparse_index_base_SF_SF_SF_bbb
	.p2align	8
	.type	_ZN9rocsparseL41csrgemm_numeric_fill_block_per_row_kernelILj1024ELj32ELj2048ELj137ELj64Eii21rocsparse_complex_numIfEEEvT5_PKS3_S5_NS_24const_host_device_scalarIT6_EEPKT4_S5_PKS7_SB_S5_SD_S8_SB_S5_SD_SB_S5_PS7_21rocsparse_index_base_SF_SF_SF_bbb,@function
_ZN9rocsparseL41csrgemm_numeric_fill_block_per_row_kernelILj1024ELj32ELj2048ELj137ELj64Eii21rocsparse_complex_numIfEEEvT5_PKS3_S5_NS_24const_host_device_scalarIT6_EEPKT4_S5_PKS7_SB_S5_SD_S8_SB_S5_SD_SB_S5_PS7_21rocsparse_index_base_SF_SF_SF_bbb: ; @_ZN9rocsparseL41csrgemm_numeric_fill_block_per_row_kernelILj1024ELj32ELj2048ELj137ELj64Eii21rocsparse_complex_numIfEEEvT5_PKS3_S5_NS_24const_host_device_scalarIT6_EEPKT4_S5_PKS7_SB_S5_SD_S8_SB_S5_SD_SB_S5_PS7_21rocsparse_index_base_SF_SF_SF_bbb
; %bb.0:
	s_clause 0x7
	s_load_b32 s33, s[0:1], 0x98
	s_load_b128 s[16:19], s[0:1], 0x88
	s_load_b64 s[24:25], s[0:1], 0x80
	s_load_b128 s[4:7], s[0:1], 0x60
	s_load_b128 s[20:23], s[0:1], 0x8
	s_load_b64 s[2:3], s[0:1], 0x28
	s_load_b128 s[8:11], s[0:1], 0x40
	s_load_b64 s[36:37], s[0:1], 0x50
	s_mov_b32 s29, 0
	s_mov_b32 s39, 0
	s_wait_kmcnt 0x0
	s_bitcmp1_b32 s33, 0
	s_cselect_b32 s41, -1, 0
	s_bitcmp1_b32 s33, 16
	s_cselect_b32 s12, -1, 0
	s_delay_alu instid0(SALU_CYCLE_1) | instskip(SKIP_2) | instid1(VALU_DEP_1)
	s_xor_b32 s12, s12, -1
	s_bitcmp0_b32 s33, 0
	v_cndmask_b32_e64 v1, 0, 1, s12
	v_cmp_ne_u32_e32 vcc_lo, 1, v1
	s_cbranch_scc1 .LBB49_5
; %bb.1:
	s_load_b64 s[28:29], s[0:1], 0x18
	s_and_b32 vcc_lo, exec_lo, vcc_lo
	s_wait_kmcnt 0x0
	s_mov_b32 s39, s28
	s_cbranch_vccnz .LBB49_3
; %bb.2:
	s_load_b32 s39, s[28:29], 0x0
.LBB49_3:
	s_and_not1_b32 vcc_lo, exec_lo, s12
	s_cbranch_vccnz .LBB49_5
; %bb.4:
	s_wait_xcnt 0x0
	s_load_b32 s29, s[28:29], 0x4
.LBB49_5:
	s_clause 0x3
	s_load_b64 s[26:27], s[0:1], 0x70
	s_load_b64 s[30:31], s[0:1], 0x58
	;; [unrolled: 1-line block ×3, first 2 shown]
	s_load_b128 s[12:15], s[0:1], 0x30
	s_bitcmp1_b32 s33, 8
	s_mov_b32 s38, 0
	s_cselect_b32 s40, -1, 0
	s_wait_xcnt 0x0
	s_bfe_u32 s28, s33, 0x10008
	s_mov_b32 s33, 0
	s_cmp_eq_u32 s28, 0
	s_cbranch_scc1 .LBB49_11
; %bb.6:
	v_cmp_ne_u32_e32 vcc_lo, 1, v1
	s_mov_b32 s33, s36
	s_cbranch_vccnz .LBB49_8
; %bb.7:
	s_load_b32 s33, s[36:37], 0x0
.LBB49_8:
	v_cmp_ne_u32_e32 vcc_lo, 1, v1
	s_cbranch_vccnz .LBB49_10
; %bb.9:
	s_wait_xcnt 0x0
	s_load_b32 s37, s[36:37], 0x4
.LBB49_10:
	s_wait_kmcnt 0x0
	s_mov_b32 s38, s37
.LBB49_11:
	s_load_b32 s28, s[0:1], 0x0
	v_lshl_add_u32 v1, v0, 2, 0
	v_lshlrev_b32_e32 v2, 3, v0
	v_or_b32_e32 v6, 0xfffffc00, v0
	s_wait_xcnt 0x0
	s_mov_b32 s0, 0
	v_mov_b32_e32 v3, v1
	v_add3_u32 v7, v2, 0, 0x2000
	v_dual_mov_b32 v2, 0 :: v_dual_mov_b32 v4, v6
	s_wait_kmcnt 0x0
	s_delay_alu instid0(VALU_DEP_2)
	v_dual_mov_b32 v8, v7 :: v_dual_mov_b32 v5, s28
.LBB49_12:                              ; =>This Inner Loop Header: Depth=1
	s_delay_alu instid0(VALU_DEP_2)
	v_add_co_u32 v4, s1, 0x400, v4
	s_xor_b32 s1, s1, -1
	ds_store_b32 v3, v5
	ds_store_2addr_b32 v8, v2, v2 offset1:1
	v_add_nc_u32_e32 v8, 0x2000, v8
	v_add_nc_u32_e32 v3, 0x1000, v3
	s_and_b32 s1, exec_lo, s1
	s_delay_alu instid0(SALU_CYCLE_1) | instskip(NEXT) | instid1(SALU_CYCLE_1)
	s_or_b32 s0, s1, s0
	s_and_not1_b32 exec_lo, exec_lo, s0
	s_cbranch_execnz .LBB49_12
; %bb.13:
	s_or_b32 exec_lo, exec_lo, s0
	s_wait_dscnt 0x0
	s_barrier_signal -1
	s_barrier_wait -1
	s_load_b32 s0, s[20:21], 0x0
	s_bfe_u32 s1, ttmp6, 0x4000c
	s_wait_xcnt 0x0
	s_and_b32 s20, ttmp6, 15
	s_add_co_i32 s1, s1, 1
	s_getreg_b32 s21, hwreg(HW_REG_IB_STS2, 6, 4)
	s_mul_i32 s1, ttmp9, s1
	s_delay_alu instid0(SALU_CYCLE_1)
	s_add_co_i32 s20, s20, s1
	s_cmp_eq_u32 s21, 0
	s_cselect_b32 s1, ttmp9, s20
	s_and_b32 vcc_lo, exec_lo, s41
	s_wait_kmcnt 0x0
	s_add_co_i32 s0, s0, s1
	s_load_b32 s20, s[22:23], s0 offset:0x0 scale_offset
	s_cbranch_vccz .LBB49_31
; %bb.14:
	s_wait_kmcnt 0x0
	s_ashr_i32 s21, s20, 31
	v_lshrrev_b32_e32 v2, 5, v0
	s_lshl_b64 s[0:1], s[20:21], 2
	s_delay_alu instid0(SALU_CYCLE_1) | instskip(NEXT) | instid1(VALU_DEP_1)
	s_add_nc_u64 s[0:1], s[34:35], s[0:1]
	v_subrev_nc_u32_e32 v2, s16, v2
	s_load_b64 s[22:23], s[0:1], 0x0
	s_wait_xcnt 0x0
	s_mov_b32 s1, exec_lo
	s_wait_kmcnt 0x0
	v_add_nc_u32_e32 v2, s22, v2
	s_sub_co_i32 s0, s23, s16
	s_delay_alu instid0(VALU_DEP_1) | instid1(SALU_CYCLE_1)
	v_cmpx_gt_i32_e64 s0, v2
	s_cbranch_execz .LBB49_30
; %bb.15:
	v_and_b32_e32 v3, 31, v0
	s_mov_b32 s21, 0
	s_delay_alu instid0(VALU_DEP_1)
	v_subrev_nc_u32_e32 v8, s17, v3
	s_branch .LBB49_17
.LBB49_16:                              ;   in Loop: Header=BB49_17 Depth=1
	s_or_b32 exec_lo, exec_lo, s22
	v_add_nc_u32_e32 v2, 32, v2
	s_delay_alu instid0(VALU_DEP_1) | instskip(SKIP_1) | instid1(SALU_CYCLE_1)
	v_cmp_le_i32_e32 vcc_lo, s0, v2
	s_or_b32 s21, vcc_lo, s21
	s_and_not1_b32 exec_lo, exec_lo, s21
	s_cbranch_execz .LBB49_30
.LBB49_17:                              ; =>This Loop Header: Depth=1
                                        ;     Child Loop BB49_21 Depth 2
                                        ;       Child Loop BB49_24 Depth 3
	global_load_b32 v3, v2, s[2:3] scale_offset
	s_mov_b32 s22, exec_lo
	s_wait_loadcnt 0x0
	v_subrev_nc_u32_e32 v4, s16, v3
	s_delay_alu instid0(VALU_DEP_1) | instskip(NEXT) | instid1(VALU_DEP_1)
	v_ashrrev_i32_e32 v5, 31, v4
	v_lshl_add_u64 v[4:5], v[4:5], 2, s[14:15]
	global_load_b64 v[4:5], v[4:5], off
	s_wait_loadcnt 0x0
	v_subrev_nc_u32_e32 v9, s17, v5
	v_add_nc_u32_e32 v10, v4, v8
	s_wait_xcnt 0x0
	s_delay_alu instid0(VALU_DEP_1)
	v_cmpx_lt_i32_e64 v10, v9
	s_cbranch_execz .LBB49_16
; %bb.18:                               ;   in Loop: Header=BB49_17 Depth=1
	v_ashrrev_i32_e32 v3, 31, v2
	s_mov_b32 s23, 0
	s_delay_alu instid0(VALU_DEP_1) | instskip(SKIP_3) | instid1(VALU_DEP_1)
	v_lshl_add_u64 v[4:5], v[2:3], 3, s[12:13]
	global_load_b64 v[4:5], v[4:5], off
	s_wait_loadcnt 0x0
	v_mul_f32_e64 v3, v5, -s29
	v_dual_mul_f32 v11, s39, v5 :: v_dual_fmac_f32 v3, s39, v4
	s_delay_alu instid0(VALU_DEP_1)
	v_fmac_f32_e32 v11, s29, v4
	s_branch .LBB49_21
.LBB49_19:                              ;   in Loop: Header=BB49_21 Depth=2
	s_or_b32 exec_lo, exec_lo, s35
.LBB49_20:                              ;   in Loop: Header=BB49_21 Depth=2
	s_delay_alu instid0(SALU_CYCLE_1) | instskip(SKIP_3) | instid1(VALU_DEP_2)
	s_or_b32 exec_lo, exec_lo, s34
	s_wait_loadcnt 0x0
	v_dual_mul_f32 v13, v5, -v11 :: v_dual_mul_f32 v5, v3, v5
	v_lshl_add_u32 v12, v12, 3, 0
	v_dual_fmac_f32 v13, v3, v4 :: v_dual_add_nc_u32 v10, 32, v10
	s_delay_alu instid0(VALU_DEP_3) | instskip(SKIP_4) | instid1(SALU_CYCLE_1)
	v_fmac_f32_e32 v5, v11, v4
	ds_add_f32 v12, v13 offset:8192
	ds_add_f32 v12, v5 offset:8196
	v_cmp_ge_i32_e32 vcc_lo, v10, v9
	s_or_b32 s23, vcc_lo, s23
	s_and_not1_b32 exec_lo, exec_lo, s23
	s_cbranch_execz .LBB49_16
.LBB49_21:                              ;   Parent Loop BB49_17 Depth=1
                                        ; =>  This Loop Header: Depth=2
                                        ;       Child Loop BB49_24 Depth 3
	s_clause 0x1
	global_load_b32 v12, v10, s[8:9] scale_offset
	global_load_b64 v[4:5], v10, s[10:11] scale_offset
	s_mov_b32 s34, exec_lo
	s_wait_loadcnt 0x1
	v_subrev_nc_u32_e32 v13, s17, v12
	s_delay_alu instid0(VALU_DEP_1) | instskip(NEXT) | instid1(VALU_DEP_1)
	v_mul_lo_u32 v12, 0x89, v13
	v_and_b32_e32 v12, 0x7ff, v12
	s_delay_alu instid0(VALU_DEP_1)
	v_lshl_add_u32 v14, v12, 2, 0
	ds_load_b32 v15, v14
	s_wait_dscnt 0x0
	s_wait_xcnt 0x0
	v_cmpx_ne_u32_e64 v15, v13
	s_cbranch_execz .LBB49_20
; %bb.22:                               ;   in Loop: Header=BB49_21 Depth=2
	s_mov_b32 s35, 0
	s_branch .LBB49_24
.LBB49_23:                              ;   in Loop: Header=BB49_24 Depth=3
	s_or_b32 exec_lo, exec_lo, s41
	s_delay_alu instid0(SALU_CYCLE_1) | instskip(NEXT) | instid1(SALU_CYCLE_1)
	s_and_b32 s36, exec_lo, s37
	s_or_b32 s35, s36, s35
	s_delay_alu instid0(SALU_CYCLE_1)
	s_and_not1_b32 exec_lo, exec_lo, s35
	s_cbranch_execz .LBB49_19
.LBB49_24:                              ;   Parent Loop BB49_17 Depth=1
                                        ;     Parent Loop BB49_21 Depth=2
                                        ; =>    This Inner Loop Header: Depth=3
	s_mov_b32 s36, 0
	s_mov_b32 s37, exec_lo
	v_cmpx_ne_u32_e64 s28, v15
	s_xor_b32 s37, exec_lo, s37
	s_cbranch_execz .LBB49_26
; %bb.25:                               ;   in Loop: Header=BB49_24 Depth=3
	v_add_nc_u32_e32 v12, 1, v12
	s_mov_b32 s36, exec_lo
                                        ; implicit-def: $vgpr14
	s_delay_alu instid0(VALU_DEP_1)
	v_and_b32_e32 v12, 0x7ff, v12
	s_and_not1_saveexec_b32 s37, s37
	s_cbranch_execz .LBB49_28
	s_branch .LBB49_27
.LBB49_26:                              ;   in Loop: Header=BB49_24 Depth=3
	s_and_not1_saveexec_b32 s37, s37
	s_cbranch_execz .LBB49_28
.LBB49_27:                              ;   in Loop: Header=BB49_24 Depth=3
	v_mov_b32_e32 v15, s28
	s_and_not1_b32 s36, s36, exec_lo
	ds_cmpstore_rtn_b32 v14, v14, v13, v15
	s_wait_dscnt 0x0
	v_cmp_ne_u32_e32 vcc_lo, s28, v14
	s_and_b32 s41, vcc_lo, exec_lo
	s_delay_alu instid0(SALU_CYCLE_1)
	s_or_b32 s36, s36, s41
.LBB49_28:                              ;   in Loop: Header=BB49_24 Depth=3
	s_or_b32 exec_lo, exec_lo, s37
	s_mov_b32 s37, -1
                                        ; implicit-def: $vgpr14
                                        ; implicit-def: $vgpr15
	s_and_saveexec_b32 s41, s36
	s_cbranch_execz .LBB49_23
; %bb.29:                               ;   in Loop: Header=BB49_24 Depth=3
	v_lshl_add_u32 v14, v12, 2, 0
	ds_load_b32 v15, v14
	s_wait_dscnt 0x0
	v_cmp_eq_u32_e32 vcc_lo, v15, v13
	s_or_not1_b32 s37, vcc_lo, exec_lo
	s_branch .LBB49_23
.LBB49_30:
	s_or_b32 exec_lo, exec_lo, s1
.LBB49_31:
	s_delay_alu instid0(SALU_CYCLE_1)
	s_and_not1_b32 vcc_lo, exec_lo, s40
	s_cbranch_vccnz .LBB49_46
; %bb.32:
	s_wait_kmcnt 0x0
	s_ashr_i32 s21, s20, 31
	v_subrev_nc_u32_e32 v2, s19, v0
	s_lshl_b64 s[0:1], s[20:21], 2
	s_delay_alu instid0(SALU_CYCLE_1)
	s_add_nc_u64 s[0:1], s[30:31], s[0:1]
	s_load_b64 s[2:3], s[0:1], 0x0
	s_wait_xcnt 0x0
	s_mov_b32 s1, exec_lo
	s_wait_kmcnt 0x0
	v_add_nc_u32_e32 v4, s2, v2
	s_sub_co_i32 s0, s3, s19
	s_delay_alu instid0(VALU_DEP_1) | instid1(SALU_CYCLE_1)
	v_cmpx_gt_i32_e64 s0, v4
	s_cbranch_execz .LBB49_45
; %bb.33:
	s_mov_b32 s2, 0
	s_branch .LBB49_36
.LBB49_34:                              ;   in Loop: Header=BB49_36 Depth=1
	s_or_b32 exec_lo, exec_lo, s8
.LBB49_35:                              ;   in Loop: Header=BB49_36 Depth=1
	s_delay_alu instid0(SALU_CYCLE_1)
	s_or_b32 exec_lo, exec_lo, s3
	s_wait_loadcnt 0x0
	v_mul_f32_e64 v8, v3, -s38
	v_mul_f32_e32 v3, s33, v3
	v_lshl_add_u32 v5, v5, 3, 0
	v_add_nc_u32_e32 v4, 0x400, v4
	s_delay_alu instid0(VALU_DEP_3) | instskip(SKIP_4) | instid1(SALU_CYCLE_1)
	v_dual_fmac_f32 v8, s33, v2 :: v_dual_fmac_f32 v3, s38, v2
	ds_add_f32 v5, v8 offset:8192
	ds_add_f32 v5, v3 offset:8196
	v_cmp_le_i32_e32 vcc_lo, s0, v4
	s_or_b32 s2, vcc_lo, s2
	s_and_not1_b32 exec_lo, exec_lo, s2
	s_cbranch_execz .LBB49_45
.LBB49_36:                              ; =>This Loop Header: Depth=1
                                        ;     Child Loop BB49_39 Depth 2
	s_clause 0x1
	global_load_b32 v5, v4, s[4:5] scale_offset
	global_load_b64 v[2:3], v4, s[6:7] scale_offset
	s_mov_b32 s3, exec_lo
	s_wait_loadcnt 0x1
	v_subrev_nc_u32_e32 v8, s19, v5
	s_delay_alu instid0(VALU_DEP_1) | instskip(NEXT) | instid1(VALU_DEP_1)
	v_mul_lo_u32 v5, 0x89, v8
	v_and_b32_e32 v5, 0x7ff, v5
	s_delay_alu instid0(VALU_DEP_1)
	v_lshl_add_u32 v9, v5, 2, 0
	ds_load_b32 v10, v9
	s_wait_dscnt 0x0
	s_wait_xcnt 0x0
	v_cmpx_ne_u32_e64 v10, v8
	s_cbranch_execz .LBB49_35
; %bb.37:                               ;   in Loop: Header=BB49_36 Depth=1
	s_mov_b32 s8, 0
	s_branch .LBB49_39
.LBB49_38:                              ;   in Loop: Header=BB49_39 Depth=2
	s_or_b32 exec_lo, exec_lo, s11
	s_delay_alu instid0(SALU_CYCLE_1) | instskip(NEXT) | instid1(SALU_CYCLE_1)
	s_and_b32 s9, exec_lo, s10
	s_or_b32 s8, s9, s8
	s_delay_alu instid0(SALU_CYCLE_1)
	s_and_not1_b32 exec_lo, exec_lo, s8
	s_cbranch_execz .LBB49_34
.LBB49_39:                              ;   Parent Loop BB49_36 Depth=1
                                        ; =>  This Inner Loop Header: Depth=2
	s_mov_b32 s9, 0
	s_mov_b32 s10, exec_lo
	v_cmpx_ne_u32_e64 s28, v10
	s_xor_b32 s10, exec_lo, s10
	s_cbranch_execz .LBB49_41
; %bb.40:                               ;   in Loop: Header=BB49_39 Depth=2
	v_add_nc_u32_e32 v5, 1, v5
	s_mov_b32 s9, exec_lo
                                        ; implicit-def: $vgpr9
	s_delay_alu instid0(VALU_DEP_1)
	v_and_b32_e32 v5, 0x7ff, v5
	s_and_not1_saveexec_b32 s10, s10
	s_cbranch_execz .LBB49_43
	s_branch .LBB49_42
.LBB49_41:                              ;   in Loop: Header=BB49_39 Depth=2
	s_and_not1_saveexec_b32 s10, s10
	s_cbranch_execz .LBB49_43
.LBB49_42:                              ;   in Loop: Header=BB49_39 Depth=2
	v_mov_b32_e32 v10, s28
	s_and_not1_b32 s9, s9, exec_lo
	ds_cmpstore_rtn_b32 v9, v9, v8, v10
	s_wait_dscnt 0x0
	v_cmp_ne_u32_e32 vcc_lo, s28, v9
	s_and_b32 s11, vcc_lo, exec_lo
	s_delay_alu instid0(SALU_CYCLE_1)
	s_or_b32 s9, s9, s11
.LBB49_43:                              ;   in Loop: Header=BB49_39 Depth=2
	s_or_b32 exec_lo, exec_lo, s10
	s_mov_b32 s10, -1
                                        ; implicit-def: $vgpr9
                                        ; implicit-def: $vgpr10
	s_and_saveexec_b32 s11, s9
	s_cbranch_execz .LBB49_38
; %bb.44:                               ;   in Loop: Header=BB49_39 Depth=2
	v_lshl_add_u32 v9, v5, 2, 0
	ds_load_b32 v10, v9
	s_wait_dscnt 0x0
	v_cmp_eq_u32_e32 vcc_lo, v10, v8
	s_or_not1_b32 s10, vcc_lo, exec_lo
	s_branch .LBB49_38
.LBB49_45:
	s_or_b32 exec_lo, exec_lo, s1
.LBB49_46:
	v_mbcnt_lo_u32_b32 v2, -1, 0
	v_dual_mov_b32 v3, 0 :: v_dual_lshrrev_b32 v4, 4, v0
	s_wait_xcnt 0x0
	v_cmp_lt_u32_e64 s0, 63, v0
	v_cmp_lt_u32_e64 s1, 0x7f, v0
	s_delay_alu instid0(VALU_DEP_3)
	v_dual_mov_b32 v9, 0 :: v_dual_bitop2_b32 v4, 60, v4 bitop3:0x40
	v_xor_b32_e32 v2, 31, v2
	v_cmp_lt_u32_e64 s2, 0xbf, v0
	v_cmp_lt_u32_e64 s3, 0xff, v0
	;; [unrolled: 1-line block ×3, first 2 shown]
	v_add_nc_u32_e32 v8, 0, v4
	v_lshrrev_b32_e64 v2, v2, -1
	v_cmp_lt_u32_e64 s5, 0x17f, v0
	v_cmp_lt_u32_e64 s6, 0x1bf, v0
	;; [unrolled: 1-line block ×10, first 2 shown]
	s_mov_b32 s16, 0
	s_wait_dscnt 0x0
	v_cmp_eq_u32_e32 vcc_lo, 0x3ff, v0
	s_barrier_signal -1
	s_barrier_wait -1
	s_branch .LBB49_48
.LBB49_47:                              ;   in Loop: Header=BB49_48 Depth=1
	s_or_b32 exec_lo, exec_lo, s15
	s_wait_dscnt 0x0
	s_barrier_signal -1
	s_barrier_wait -1
	ds_load_b32 v4, v3 offset:24636
	v_add_co_u32 v6, s15, 0x400, v6
	s_xor_b32 s15, s15, -1
	v_add_nc_u32_e32 v7, 0x2000, v7
	v_add_nc_u32_e32 v1, 0x1000, v1
	s_and_b32 s15, exec_lo, s15
	s_delay_alu instid0(SALU_CYCLE_1)
	s_or_b32 s16, s15, s16
	s_wait_dscnt 0x0
	v_add_nc_u32_e32 v9, v4, v9
	s_and_not1_b32 exec_lo, exec_lo, s16
	s_cbranch_execz .LBB49_82
.LBB49_48:                              ; =>This Inner Loop Header: Depth=1
	ds_load_b32 v10, v1
	ds_load_2addr_b32 v[4:5], v7 offset1:1
	s_wait_dscnt 0x0
	s_barrier_signal -1
	s_barrier_wait -1
	v_cmp_gt_i32_e64 s15, s28, v10
	s_bcnt1_i32_b32 s17, s15
	s_delay_alu instid0(SALU_CYCLE_1) | instskip(NEXT) | instid1(VALU_DEP_1)
	v_dual_mov_b32 v12, s17 :: v_dual_bitop2_b32 v11, s15, v2 bitop3:0x40
	v_bcnt_u32_b32 v11, v11, 0
	ds_store_b32 v8, v12 offset:24576
	s_wait_dscnt 0x0
	s_barrier_signal -1
	s_barrier_wait -1
	s_and_saveexec_b32 s17, s0
	s_cbranch_execz .LBB49_65
; %bb.49:                               ;   in Loop: Header=BB49_48 Depth=1
	ds_load_b32 v12, v3 offset:24576
	s_wait_dscnt 0x0
	v_add_nc_u32_e32 v11, v12, v11
	s_or_b32 exec_lo, exec_lo, s17
	s_and_saveexec_b32 s17, s1
	s_cbranch_execnz .LBB49_66
.LBB49_50:                              ;   in Loop: Header=BB49_48 Depth=1
	s_or_b32 exec_lo, exec_lo, s17
	s_and_saveexec_b32 s17, s2
	s_cbranch_execz .LBB49_67
.LBB49_51:                              ;   in Loop: Header=BB49_48 Depth=1
	ds_load_b32 v12, v3 offset:24584
	s_wait_dscnt 0x0
	v_add_nc_u32_e32 v11, v12, v11
	s_or_b32 exec_lo, exec_lo, s17
	s_and_saveexec_b32 s17, s3
	s_cbranch_execnz .LBB49_68
.LBB49_52:                              ;   in Loop: Header=BB49_48 Depth=1
	s_or_b32 exec_lo, exec_lo, s17
	s_and_saveexec_b32 s17, s4
	s_cbranch_execz .LBB49_69
.LBB49_53:                              ;   in Loop: Header=BB49_48 Depth=1
	ds_load_b32 v12, v3 offset:24592
	s_wait_dscnt 0x0
	v_add_nc_u32_e32 v11, v12, v11
	s_or_b32 exec_lo, exec_lo, s17
	s_and_saveexec_b32 s17, s5
	s_cbranch_execnz .LBB49_70
.LBB49_54:                              ;   in Loop: Header=BB49_48 Depth=1
	s_or_b32 exec_lo, exec_lo, s17
	s_and_saveexec_b32 s17, s6
	s_cbranch_execz .LBB49_71
.LBB49_55:                              ;   in Loop: Header=BB49_48 Depth=1
	ds_load_b32 v12, v3 offset:24600
	s_wait_dscnt 0x0
	v_add_nc_u32_e32 v11, v12, v11
	s_or_b32 exec_lo, exec_lo, s17
	s_and_saveexec_b32 s17, s7
	s_cbranch_execnz .LBB49_72
.LBB49_56:                              ;   in Loop: Header=BB49_48 Depth=1
	s_or_b32 exec_lo, exec_lo, s17
	s_and_saveexec_b32 s17, s8
	s_cbranch_execz .LBB49_73
.LBB49_57:                              ;   in Loop: Header=BB49_48 Depth=1
	ds_load_b32 v12, v3 offset:24608
	s_wait_dscnt 0x0
	v_add_nc_u32_e32 v11, v12, v11
	s_or_b32 exec_lo, exec_lo, s17
	s_and_saveexec_b32 s17, s9
	s_cbranch_execnz .LBB49_74
.LBB49_58:                              ;   in Loop: Header=BB49_48 Depth=1
	s_or_b32 exec_lo, exec_lo, s17
	s_and_saveexec_b32 s17, s10
	s_cbranch_execz .LBB49_75
.LBB49_59:                              ;   in Loop: Header=BB49_48 Depth=1
	ds_load_b32 v12, v3 offset:24616
	s_wait_dscnt 0x0
	v_add_nc_u32_e32 v11, v12, v11
	s_or_b32 exec_lo, exec_lo, s17
	s_and_saveexec_b32 s17, s11
	s_cbranch_execnz .LBB49_76
.LBB49_60:                              ;   in Loop: Header=BB49_48 Depth=1
	s_or_b32 exec_lo, exec_lo, s17
	s_and_saveexec_b32 s17, s12
	s_cbranch_execz .LBB49_77
.LBB49_61:                              ;   in Loop: Header=BB49_48 Depth=1
	ds_load_b32 v12, v3 offset:24624
	s_wait_dscnt 0x0
	v_add_nc_u32_e32 v11, v12, v11
	s_or_b32 exec_lo, exec_lo, s17
	s_and_saveexec_b32 s17, s13
	s_cbranch_execnz .LBB49_78
.LBB49_62:                              ;   in Loop: Header=BB49_48 Depth=1
	s_or_b32 exec_lo, exec_lo, s17
	s_and_saveexec_b32 s17, s14
	s_cbranch_execz .LBB49_79
.LBB49_63:                              ;   in Loop: Header=BB49_48 Depth=1
	ds_load_b32 v12, v3 offset:24632
	s_wait_dscnt 0x0
	v_add_nc_u32_e32 v11, v12, v11
	s_or_b32 exec_lo, exec_lo, s17
	s_and_saveexec_b32 s17, s15
	s_cbranch_execnz .LBB49_80
.LBB49_64:                              ;   in Loop: Header=BB49_48 Depth=1
	s_or_b32 exec_lo, exec_lo, s17
	s_and_saveexec_b32 s15, vcc_lo
	s_cbranch_execz .LBB49_47
	s_branch .LBB49_81
.LBB49_65:                              ;   in Loop: Header=BB49_48 Depth=1
	s_or_b32 exec_lo, exec_lo, s17
	s_and_saveexec_b32 s17, s1
	s_cbranch_execz .LBB49_50
.LBB49_66:                              ;   in Loop: Header=BB49_48 Depth=1
	ds_load_b32 v12, v3 offset:24580
	s_wait_dscnt 0x0
	v_add_nc_u32_e32 v11, v12, v11
	s_or_b32 exec_lo, exec_lo, s17
	s_and_saveexec_b32 s17, s2
	s_cbranch_execnz .LBB49_51
.LBB49_67:                              ;   in Loop: Header=BB49_48 Depth=1
	s_or_b32 exec_lo, exec_lo, s17
	s_and_saveexec_b32 s17, s3
	s_cbranch_execz .LBB49_52
.LBB49_68:                              ;   in Loop: Header=BB49_48 Depth=1
	ds_load_b32 v12, v3 offset:24588
	s_wait_dscnt 0x0
	v_add_nc_u32_e32 v11, v12, v11
	s_or_b32 exec_lo, exec_lo, s17
	s_and_saveexec_b32 s17, s4
	s_cbranch_execnz .LBB49_53
.LBB49_69:                              ;   in Loop: Header=BB49_48 Depth=1
	s_or_b32 exec_lo, exec_lo, s17
	s_and_saveexec_b32 s17, s5
	s_cbranch_execz .LBB49_54
.LBB49_70:                              ;   in Loop: Header=BB49_48 Depth=1
	ds_load_b32 v12, v3 offset:24596
	s_wait_dscnt 0x0
	v_add_nc_u32_e32 v11, v12, v11
	s_or_b32 exec_lo, exec_lo, s17
	s_and_saveexec_b32 s17, s6
	s_cbranch_execnz .LBB49_55
.LBB49_71:                              ;   in Loop: Header=BB49_48 Depth=1
	s_or_b32 exec_lo, exec_lo, s17
	s_and_saveexec_b32 s17, s7
	s_cbranch_execz .LBB49_56
.LBB49_72:                              ;   in Loop: Header=BB49_48 Depth=1
	ds_load_b32 v12, v3 offset:24604
	s_wait_dscnt 0x0
	v_add_nc_u32_e32 v11, v12, v11
	s_or_b32 exec_lo, exec_lo, s17
	s_and_saveexec_b32 s17, s8
	s_cbranch_execnz .LBB49_57
.LBB49_73:                              ;   in Loop: Header=BB49_48 Depth=1
	s_or_b32 exec_lo, exec_lo, s17
	s_and_saveexec_b32 s17, s9
	s_cbranch_execz .LBB49_58
.LBB49_74:                              ;   in Loop: Header=BB49_48 Depth=1
	ds_load_b32 v12, v3 offset:24612
	s_wait_dscnt 0x0
	v_add_nc_u32_e32 v11, v12, v11
	s_or_b32 exec_lo, exec_lo, s17
	s_and_saveexec_b32 s17, s10
	s_cbranch_execnz .LBB49_59
.LBB49_75:                              ;   in Loop: Header=BB49_48 Depth=1
	s_or_b32 exec_lo, exec_lo, s17
	s_and_saveexec_b32 s17, s11
	s_cbranch_execz .LBB49_60
.LBB49_76:                              ;   in Loop: Header=BB49_48 Depth=1
	ds_load_b32 v12, v3 offset:24620
	s_wait_dscnt 0x0
	v_add_nc_u32_e32 v11, v12, v11
	s_or_b32 exec_lo, exec_lo, s17
	s_and_saveexec_b32 s17, s12
	s_cbranch_execnz .LBB49_61
.LBB49_77:                              ;   in Loop: Header=BB49_48 Depth=1
	s_or_b32 exec_lo, exec_lo, s17
	s_and_saveexec_b32 s17, s13
	s_cbranch_execz .LBB49_62
.LBB49_78:                              ;   in Loop: Header=BB49_48 Depth=1
	ds_load_b32 v12, v3 offset:24628
	s_wait_dscnt 0x0
	v_add_nc_u32_e32 v11, v12, v11
	s_or_b32 exec_lo, exec_lo, s17
	s_and_saveexec_b32 s17, s14
	s_cbranch_execnz .LBB49_63
.LBB49_79:                              ;   in Loop: Header=BB49_48 Depth=1
	s_or_b32 exec_lo, exec_lo, s17
	s_and_saveexec_b32 s17, s15
	s_cbranch_execz .LBB49_64
.LBB49_80:                              ;   in Loop: Header=BB49_48 Depth=1
	s_delay_alu instid0(VALU_DEP_1) | instskip(SKIP_1) | instid1(VALU_DEP_2)
	v_add3_u32 v12, v9, -1, v11
	v_add_lshl_u32 v13, v9, v11, 3
	v_lshl_add_u32 v12, v12, 2, 0
	s_delay_alu instid0(VALU_DEP_2)
	v_add3_u32 v13, 0, v13, 0x1ff8
	ds_store_b32 v12, v10
	ds_store_2addr_b32 v13, v4, v5 offset1:1
	s_or_b32 exec_lo, exec_lo, s17
	s_and_saveexec_b32 s15, vcc_lo
	s_cbranch_execz .LBB49_47
.LBB49_81:                              ;   in Loop: Header=BB49_48 Depth=1
	ds_store_b32 v3, v11 offset:24636
	s_branch .LBB49_47
.LBB49_82:
	s_or_b32 exec_lo, exec_lo, s16
	s_wait_kmcnt 0x0
	s_ashr_i32 s21, s20, 31
	s_delay_alu instid0(SALU_CYCLE_1) | instskip(NEXT) | instid1(SALU_CYCLE_1)
	s_lshl_b64 s[0:1], s[20:21], 2
	s_add_nc_u64 s[2:3], s[26:27], s[0:1]
	s_load_b64 s[0:1], s[2:3], 0x0
	s_wait_kmcnt 0x0
	s_sub_co_i32 s4, s1, s0
	s_mov_b32 s1, exec_lo
	v_cmpx_gt_i32_e64 s4, v0
	s_cbranch_execz .LBB49_96
; %bb.83:
	v_sub_co_u32 v1, s1, s4, 2
	s_sub_co_i32 s2, s0, s18
	s_xor_b32 s6, s1, -1
	s_and_b32 s5, s4, -2
	v_readfirstlane_b32 s3, v1
	s_lshr_b32 s0, s3, 1
	s_mov_b32 s3, 0
	s_add_co_i32 s0, s0, 1
	s_mov_b32 s11, s3
	s_and_b32 s1, s0, 7
	s_and_b32 s7, s0, -8
	s_cmp_lg_u32 s1, 0
	v_cmp_lt_u32_e64 s0, 13, v1
	s_cselect_b32 s8, -1, 0
	s_cmp_lg_u32 s4, s5
	s_cselect_b32 s9, -1, 0
	s_lshl_b32 s10, s1, 3
	s_branch .LBB49_85
.LBB49_84:                              ;   in Loop: Header=BB49_85 Depth=1
	v_add_nc_u32_e32 v0, 0x400, v0
	s_wait_dscnt 0x0
	global_store_b64 v4, v[2:3], s[24:25] scale_offset
	v_cmp_le_i32_e32 vcc_lo, s4, v0
	s_or_b32 s11, vcc_lo, s11
	s_wait_xcnt 0x0
	s_and_not1_b32 exec_lo, exec_lo, s11
	s_cbranch_execz .LBB49_96
.LBB49_85:                              ; =>This Loop Header: Depth=1
                                        ;     Child Loop BB49_88 Depth 2
                                        ;     Child Loop BB49_91 Depth 2
	;; [unrolled: 1-line block ×3, first 2 shown]
	v_dual_mov_b32 v4, s2 :: v_dual_lshlrev_b32 v1, 2, v0
	s_and_not1_b32 vcc_lo, exec_lo, s6
	s_mov_b32 s1, 0
	s_mov_b32 s12, -1
	s_delay_alu instid0(VALU_DEP_1) | instskip(NEXT) | instid1(VALU_DEP_1)
	v_add_nc_u32_e32 v2, 0, v1
	v_add3_u32 v3, v2, v1, 0x2000
	ds_load_b32 v1, v2
	ds_load_2addr_b32 v[2:3], v3 offset1:1
	s_cbranch_vccnz .LBB49_93
; %bb.86:                               ;   in Loop: Header=BB49_85 Depth=1
	v_mov_b64_e32 v[4:5], s[2:3]
	s_and_not1_b32 vcc_lo, exec_lo, s0
	s_mov_b32 s12, 0
	s_cbranch_vccnz .LBB49_89
; %bb.87:                               ;   in Loop: Header=BB49_85 Depth=1
	v_dual_mov_b32 v4, s2 :: v_dual_mov_b32 v5, 0
	s_mov_b32 s13, 0
	s_mov_b32 s14, s7
.LBB49_88:                              ;   Parent Loop BB49_85 Depth=1
                                        ; =>  This Inner Loop Header: Depth=2
	v_mov_b32_e32 v20, s13
	s_add_co_i32 s14, s14, -8
	s_add_co_i32 s12, s12, 16
	s_add_co_i32 s13, s13, 64
	s_cmp_lg_u32 s14, 0
	ds_load_2addr_b32 v[6:7], v20 offset1:1
	ds_load_2addr_b32 v[8:9], v20 offset0:2 offset1:3
	ds_load_2addr_b32 v[10:11], v20 offset0:4 offset1:5
	;; [unrolled: 1-line block ×7, first 2 shown]
	s_wait_dscnt 0x7
	v_cmp_gt_i32_e32 vcc_lo, v1, v7
	s_wait_dscnt 0x5
	v_cmp_gt_i32_e64 s1, v1, v10
	v_cndmask_b32_e64 v7, 0, 1, vcc_lo
	v_cmp_gt_i32_e32 vcc_lo, v1, v6
	v_cndmask_b32_e64 v6, 0, 1, vcc_lo
	v_cmp_gt_i32_e32 vcc_lo, v1, v8
	v_cndmask_b32_e64 v8, 0, 1, s1
	v_cmp_gt_i32_e64 s1, v1, v11
	s_delay_alu instid0(VALU_DEP_4) | instskip(NEXT) | instid1(VALU_DEP_2)
	v_add_co_ci_u32_e64 v4, null, v4, v6, vcc_lo
	v_cndmask_b32_e64 v10, 0, 1, s1
	s_wait_dscnt 0x4
	v_cmp_gt_i32_e64 s1, v1, v13
	s_wait_dscnt 0x2
	v_cmp_gt_i32_e32 vcc_lo, v1, v16
	s_delay_alu instid0(VALU_DEP_2) | instskip(SKIP_4) | instid1(VALU_DEP_3)
	v_cndmask_b32_e64 v11, 0, 1, s1
	v_cmp_gt_i32_e64 s1, v1, v12
	v_add_co_ci_u32_e64 v4, null, v4, v8, vcc_lo
	s_wait_dscnt 0x1
	v_cmp_gt_i32_e32 vcc_lo, v1, v18
	v_cndmask_b32_e64 v12, 0, 1, s1
	v_cmp_gt_i32_e64 s1, v1, v14
	s_delay_alu instid0(VALU_DEP_2) | instskip(NEXT) | instid1(VALU_DEP_2)
	v_add_co_ci_u32_e64 v4, null, v4, v12, vcc_lo
	v_cndmask_b32_e64 v13, 0, 1, s1
	v_cmp_gt_i32_e64 s1, v1, v15
	s_wait_dscnt 0x0
	v_cmp_gt_i32_e32 vcc_lo, v1, v20
	s_delay_alu instid0(VALU_DEP_2) | instskip(SKIP_2) | instid1(VALU_DEP_2)
	v_cndmask_b32_e64 v14, 0, 1, s1
	v_cmp_gt_i32_e64 s1, v1, v9
	v_add_co_ci_u32_e64 v4, null, v4, v13, vcc_lo
	v_add_co_ci_u32_e64 v5, null, v5, v7, s1
	v_cmp_gt_i32_e64 s1, v1, v17
	s_delay_alu instid0(VALU_DEP_1) | instskip(SKIP_1) | instid1(VALU_DEP_1)
	v_add_co_ci_u32_e64 v5, null, v5, v10, s1
	v_cmp_gt_i32_e64 s1, v1, v19
	v_add_co_ci_u32_e64 v5, null, v5, v11, s1
	v_cmp_gt_i32_e64 s1, v1, v21
	s_delay_alu instid0(VALU_DEP_1)
	v_add_co_ci_u32_e64 v5, null, v5, v14, s1
	s_cbranch_scc1 .LBB49_88
.LBB49_89:                              ;   in Loop: Header=BB49_85 Depth=1
	s_and_not1_b32 vcc_lo, exec_lo, s8
	s_cbranch_vccnz .LBB49_92
; %bb.90:                               ;   in Loop: Header=BB49_85 Depth=1
	s_lshl_b32 s1, s12, 2
	s_mov_b32 s12, s10
	s_add_co_i32 s1, s1, 0
.LBB49_91:                              ;   Parent Loop BB49_85 Depth=1
                                        ; =>  This Inner Loop Header: Depth=2
	s_delay_alu instid0(SALU_CYCLE_1)
	v_mov_b32_e32 v6, s1
	s_add_co_i32 s12, s12, -8
	s_add_co_i32 s1, s1, 8
	s_cmp_lg_u32 s12, 0
	ds_load_2addr_b32 v[6:7], v6 offset1:1
	s_wait_dscnt 0x0
	v_cmp_gt_i32_e32 vcc_lo, v1, v7
	v_add_co_ci_u32_e64 v5, null, 0, v5, vcc_lo
	v_cmp_gt_i32_e32 vcc_lo, v1, v6
	v_add_co_ci_u32_e64 v4, null, 0, v4, vcc_lo
	s_cbranch_scc1 .LBB49_91
.LBB49_92:                              ;   in Loop: Header=BB49_85 Depth=1
	s_delay_alu instid0(VALU_DEP_1)
	v_add_nc_u32_e32 v4, v4, v5
	s_mov_b32 s1, s5
	s_mov_b32 s12, s9
.LBB49_93:                              ;   in Loop: Header=BB49_85 Depth=1
	s_delay_alu instid0(SALU_CYCLE_1)
	s_and_b32 vcc_lo, exec_lo, s12
	s_cbranch_vccz .LBB49_84
; %bb.94:                               ;   in Loop: Header=BB49_85 Depth=1
	s_lshl_b32 s12, s1, 2
	s_delay_alu instid0(SALU_CYCLE_1)
	s_add_co_i32 s12, s12, 0
.LBB49_95:                              ;   Parent Loop BB49_85 Depth=1
                                        ; =>  This Inner Loop Header: Depth=2
	s_delay_alu instid0(SALU_CYCLE_1)
	v_mov_b32_e32 v5, s12
	s_add_co_i32 s1, s1, 1
	s_add_co_i32 s12, s12, 4
	s_cmp_ge_i32 s1, s4
	ds_load_b32 v5, v5
	s_wait_dscnt 0x0
	v_cmp_gt_i32_e32 vcc_lo, v1, v5
	v_add_co_ci_u32_e64 v4, null, 0, v4, vcc_lo
	s_cbranch_scc0 .LBB49_95
	s_branch .LBB49_84
.LBB49_96:
	s_endpgm
	.section	.rodata,"a",@progbits
	.p2align	6, 0x0
	.amdhsa_kernel _ZN9rocsparseL41csrgemm_numeric_fill_block_per_row_kernelILj1024ELj32ELj2048ELj137ELj64Eii21rocsparse_complex_numIfEEEvT5_PKS3_S5_NS_24const_host_device_scalarIT6_EEPKT4_S5_PKS7_SB_S5_SD_S8_SB_S5_SD_SB_S5_PS7_21rocsparse_index_base_SF_SF_SF_bbb
		.amdhsa_group_segment_fixed_size 0
		.amdhsa_private_segment_fixed_size 0
		.amdhsa_kernarg_size 156
		.amdhsa_user_sgpr_count 2
		.amdhsa_user_sgpr_dispatch_ptr 0
		.amdhsa_user_sgpr_queue_ptr 0
		.amdhsa_user_sgpr_kernarg_segment_ptr 1
		.amdhsa_user_sgpr_dispatch_id 0
		.amdhsa_user_sgpr_kernarg_preload_length 0
		.amdhsa_user_sgpr_kernarg_preload_offset 0
		.amdhsa_user_sgpr_private_segment_size 0
		.amdhsa_wavefront_size32 1
		.amdhsa_uses_dynamic_stack 0
		.amdhsa_enable_private_segment 0
		.amdhsa_system_sgpr_workgroup_id_x 1
		.amdhsa_system_sgpr_workgroup_id_y 0
		.amdhsa_system_sgpr_workgroup_id_z 0
		.amdhsa_system_sgpr_workgroup_info 0
		.amdhsa_system_vgpr_workitem_id 0
		.amdhsa_next_free_vgpr 22
		.amdhsa_next_free_sgpr 42
		.amdhsa_named_barrier_count 0
		.amdhsa_reserve_vcc 1
		.amdhsa_float_round_mode_32 0
		.amdhsa_float_round_mode_16_64 0
		.amdhsa_float_denorm_mode_32 3
		.amdhsa_float_denorm_mode_16_64 3
		.amdhsa_fp16_overflow 0
		.amdhsa_memory_ordered 1
		.amdhsa_forward_progress 1
		.amdhsa_inst_pref_size 29
		.amdhsa_round_robin_scheduling 0
		.amdhsa_exception_fp_ieee_invalid_op 0
		.amdhsa_exception_fp_denorm_src 0
		.amdhsa_exception_fp_ieee_div_zero 0
		.amdhsa_exception_fp_ieee_overflow 0
		.amdhsa_exception_fp_ieee_underflow 0
		.amdhsa_exception_fp_ieee_inexact 0
		.amdhsa_exception_int_div_zero 0
	.end_amdhsa_kernel
	.section	.text._ZN9rocsparseL41csrgemm_numeric_fill_block_per_row_kernelILj1024ELj32ELj2048ELj137ELj64Eii21rocsparse_complex_numIfEEEvT5_PKS3_S5_NS_24const_host_device_scalarIT6_EEPKT4_S5_PKS7_SB_S5_SD_S8_SB_S5_SD_SB_S5_PS7_21rocsparse_index_base_SF_SF_SF_bbb,"axG",@progbits,_ZN9rocsparseL41csrgemm_numeric_fill_block_per_row_kernelILj1024ELj32ELj2048ELj137ELj64Eii21rocsparse_complex_numIfEEEvT5_PKS3_S5_NS_24const_host_device_scalarIT6_EEPKT4_S5_PKS7_SB_S5_SD_S8_SB_S5_SD_SB_S5_PS7_21rocsparse_index_base_SF_SF_SF_bbb,comdat
.Lfunc_end49:
	.size	_ZN9rocsparseL41csrgemm_numeric_fill_block_per_row_kernelILj1024ELj32ELj2048ELj137ELj64Eii21rocsparse_complex_numIfEEEvT5_PKS3_S5_NS_24const_host_device_scalarIT6_EEPKT4_S5_PKS7_SB_S5_SD_S8_SB_S5_SD_SB_S5_PS7_21rocsparse_index_base_SF_SF_SF_bbb, .Lfunc_end49-_ZN9rocsparseL41csrgemm_numeric_fill_block_per_row_kernelILj1024ELj32ELj2048ELj137ELj64Eii21rocsparse_complex_numIfEEEvT5_PKS3_S5_NS_24const_host_device_scalarIT6_EEPKT4_S5_PKS7_SB_S5_SD_S8_SB_S5_SD_SB_S5_PS7_21rocsparse_index_base_SF_SF_SF_bbb
                                        ; -- End function
	.set _ZN9rocsparseL41csrgemm_numeric_fill_block_per_row_kernelILj1024ELj32ELj2048ELj137ELj64Eii21rocsparse_complex_numIfEEEvT5_PKS3_S5_NS_24const_host_device_scalarIT6_EEPKT4_S5_PKS7_SB_S5_SD_S8_SB_S5_SD_SB_S5_PS7_21rocsparse_index_base_SF_SF_SF_bbb.num_vgpr, 22
	.set _ZN9rocsparseL41csrgemm_numeric_fill_block_per_row_kernelILj1024ELj32ELj2048ELj137ELj64Eii21rocsparse_complex_numIfEEEvT5_PKS3_S5_NS_24const_host_device_scalarIT6_EEPKT4_S5_PKS7_SB_S5_SD_S8_SB_S5_SD_SB_S5_PS7_21rocsparse_index_base_SF_SF_SF_bbb.num_agpr, 0
	.set _ZN9rocsparseL41csrgemm_numeric_fill_block_per_row_kernelILj1024ELj32ELj2048ELj137ELj64Eii21rocsparse_complex_numIfEEEvT5_PKS3_S5_NS_24const_host_device_scalarIT6_EEPKT4_S5_PKS7_SB_S5_SD_S8_SB_S5_SD_SB_S5_PS7_21rocsparse_index_base_SF_SF_SF_bbb.numbered_sgpr, 42
	.set _ZN9rocsparseL41csrgemm_numeric_fill_block_per_row_kernelILj1024ELj32ELj2048ELj137ELj64Eii21rocsparse_complex_numIfEEEvT5_PKS3_S5_NS_24const_host_device_scalarIT6_EEPKT4_S5_PKS7_SB_S5_SD_S8_SB_S5_SD_SB_S5_PS7_21rocsparse_index_base_SF_SF_SF_bbb.num_named_barrier, 0
	.set _ZN9rocsparseL41csrgemm_numeric_fill_block_per_row_kernelILj1024ELj32ELj2048ELj137ELj64Eii21rocsparse_complex_numIfEEEvT5_PKS3_S5_NS_24const_host_device_scalarIT6_EEPKT4_S5_PKS7_SB_S5_SD_S8_SB_S5_SD_SB_S5_PS7_21rocsparse_index_base_SF_SF_SF_bbb.private_seg_size, 0
	.set _ZN9rocsparseL41csrgemm_numeric_fill_block_per_row_kernelILj1024ELj32ELj2048ELj137ELj64Eii21rocsparse_complex_numIfEEEvT5_PKS3_S5_NS_24const_host_device_scalarIT6_EEPKT4_S5_PKS7_SB_S5_SD_S8_SB_S5_SD_SB_S5_PS7_21rocsparse_index_base_SF_SF_SF_bbb.uses_vcc, 1
	.set _ZN9rocsparseL41csrgemm_numeric_fill_block_per_row_kernelILj1024ELj32ELj2048ELj137ELj64Eii21rocsparse_complex_numIfEEEvT5_PKS3_S5_NS_24const_host_device_scalarIT6_EEPKT4_S5_PKS7_SB_S5_SD_S8_SB_S5_SD_SB_S5_PS7_21rocsparse_index_base_SF_SF_SF_bbb.uses_flat_scratch, 0
	.set _ZN9rocsparseL41csrgemm_numeric_fill_block_per_row_kernelILj1024ELj32ELj2048ELj137ELj64Eii21rocsparse_complex_numIfEEEvT5_PKS3_S5_NS_24const_host_device_scalarIT6_EEPKT4_S5_PKS7_SB_S5_SD_S8_SB_S5_SD_SB_S5_PS7_21rocsparse_index_base_SF_SF_SF_bbb.has_dyn_sized_stack, 0
	.set _ZN9rocsparseL41csrgemm_numeric_fill_block_per_row_kernelILj1024ELj32ELj2048ELj137ELj64Eii21rocsparse_complex_numIfEEEvT5_PKS3_S5_NS_24const_host_device_scalarIT6_EEPKT4_S5_PKS7_SB_S5_SD_S8_SB_S5_SD_SB_S5_PS7_21rocsparse_index_base_SF_SF_SF_bbb.has_recursion, 0
	.set _ZN9rocsparseL41csrgemm_numeric_fill_block_per_row_kernelILj1024ELj32ELj2048ELj137ELj64Eii21rocsparse_complex_numIfEEEvT5_PKS3_S5_NS_24const_host_device_scalarIT6_EEPKT4_S5_PKS7_SB_S5_SD_S8_SB_S5_SD_SB_S5_PS7_21rocsparse_index_base_SF_SF_SF_bbb.has_indirect_call, 0
	.section	.AMDGPU.csdata,"",@progbits
; Kernel info:
; codeLenInByte = 3604
; TotalNumSgprs: 44
; NumVgprs: 22
; ScratchSize: 0
; MemoryBound: 0
; FloatMode: 240
; IeeeMode: 1
; LDSByteSize: 0 bytes/workgroup (compile time only)
; SGPRBlocks: 0
; VGPRBlocks: 1
; NumSGPRsForWavesPerEU: 44
; NumVGPRsForWavesPerEU: 22
; NamedBarCnt: 0
; Occupancy: 16
; WaveLimiterHint : 1
; COMPUTE_PGM_RSRC2:SCRATCH_EN: 0
; COMPUTE_PGM_RSRC2:USER_SGPR: 2
; COMPUTE_PGM_RSRC2:TRAP_HANDLER: 0
; COMPUTE_PGM_RSRC2:TGID_X_EN: 1
; COMPUTE_PGM_RSRC2:TGID_Y_EN: 0
; COMPUTE_PGM_RSRC2:TGID_Z_EN: 0
; COMPUTE_PGM_RSRC2:TIDIG_COMP_CNT: 0
	.section	.text._ZN9rocsparseL41csrgemm_numeric_fill_block_per_row_kernelILj1024ELj64ELj4096ELj137ELj32Eii21rocsparse_complex_numIfEEEvT5_PKS3_S5_NS_24const_host_device_scalarIT6_EEPKT4_S5_PKS7_SB_S5_SD_S8_SB_S5_SD_SB_S5_PS7_21rocsparse_index_base_SF_SF_SF_bbb,"axG",@progbits,_ZN9rocsparseL41csrgemm_numeric_fill_block_per_row_kernelILj1024ELj64ELj4096ELj137ELj32Eii21rocsparse_complex_numIfEEEvT5_PKS3_S5_NS_24const_host_device_scalarIT6_EEPKT4_S5_PKS7_SB_S5_SD_S8_SB_S5_SD_SB_S5_PS7_21rocsparse_index_base_SF_SF_SF_bbb,comdat
	.globl	_ZN9rocsparseL41csrgemm_numeric_fill_block_per_row_kernelILj1024ELj64ELj4096ELj137ELj32Eii21rocsparse_complex_numIfEEEvT5_PKS3_S5_NS_24const_host_device_scalarIT6_EEPKT4_S5_PKS7_SB_S5_SD_S8_SB_S5_SD_SB_S5_PS7_21rocsparse_index_base_SF_SF_SF_bbb ; -- Begin function _ZN9rocsparseL41csrgemm_numeric_fill_block_per_row_kernelILj1024ELj64ELj4096ELj137ELj32Eii21rocsparse_complex_numIfEEEvT5_PKS3_S5_NS_24const_host_device_scalarIT6_EEPKT4_S5_PKS7_SB_S5_SD_S8_SB_S5_SD_SB_S5_PS7_21rocsparse_index_base_SF_SF_SF_bbb
	.p2align	8
	.type	_ZN9rocsparseL41csrgemm_numeric_fill_block_per_row_kernelILj1024ELj64ELj4096ELj137ELj32Eii21rocsparse_complex_numIfEEEvT5_PKS3_S5_NS_24const_host_device_scalarIT6_EEPKT4_S5_PKS7_SB_S5_SD_S8_SB_S5_SD_SB_S5_PS7_21rocsparse_index_base_SF_SF_SF_bbb,@function
_ZN9rocsparseL41csrgemm_numeric_fill_block_per_row_kernelILj1024ELj64ELj4096ELj137ELj32Eii21rocsparse_complex_numIfEEEvT5_PKS3_S5_NS_24const_host_device_scalarIT6_EEPKT4_S5_PKS7_SB_S5_SD_S8_SB_S5_SD_SB_S5_PS7_21rocsparse_index_base_SF_SF_SF_bbb: ; @_ZN9rocsparseL41csrgemm_numeric_fill_block_per_row_kernelILj1024ELj64ELj4096ELj137ELj32Eii21rocsparse_complex_numIfEEEvT5_PKS3_S5_NS_24const_host_device_scalarIT6_EEPKT4_S5_PKS7_SB_S5_SD_S8_SB_S5_SD_SB_S5_PS7_21rocsparse_index_base_SF_SF_SF_bbb
; %bb.0:
	s_clause 0x7
	s_load_b32 s28, s[0:1], 0x98
	s_load_b128 s[36:39], s[0:1], 0x88
	s_load_b64 s[34:35], s[0:1], 0x80
	s_load_b128 s[4:7], s[0:1], 0x60
	s_load_b128 s[16:19], s[0:1], 0x8
	s_load_b64 s[2:3], s[0:1], 0x28
	s_load_b128 s[8:11], s[0:1], 0x40
	s_load_b64 s[26:27], s[0:1], 0x50
	s_mov_b32 s21, 0
	s_mov_b32 s29, 0
	s_wait_kmcnt 0x0
	s_bitcmp1_b32 s28, 0
	s_cselect_b32 s31, -1, 0
	s_bitcmp1_b32 s28, 16
	s_cselect_b32 s12, -1, 0
	s_delay_alu instid0(SALU_CYCLE_1) | instskip(SKIP_2) | instid1(VALU_DEP_1)
	s_xor_b32 s12, s12, -1
	s_bitcmp0_b32 s28, 0
	v_cndmask_b32_e64 v1, 0, 1, s12
	v_cmp_ne_u32_e32 vcc_lo, 1, v1
	s_cbranch_scc1 .LBB50_5
; %bb.1:
	s_load_b64 s[20:21], s[0:1], 0x18
	s_and_b32 vcc_lo, exec_lo, vcc_lo
	s_wait_kmcnt 0x0
	s_mov_b32 s29, s20
	s_cbranch_vccnz .LBB50_3
; %bb.2:
	s_load_b32 s29, s[20:21], 0x0
.LBB50_3:
	s_and_not1_b32 vcc_lo, exec_lo, s12
	s_cbranch_vccnz .LBB50_5
; %bb.4:
	s_wait_xcnt 0x0
	s_load_b32 s21, s[20:21], 0x4
.LBB50_5:
	s_clause 0x3
	s_load_b64 s[40:41], s[0:1], 0x70
	s_load_b64 s[22:23], s[0:1], 0x58
	;; [unrolled: 1-line block ×3, first 2 shown]
	s_load_b128 s[12:15], s[0:1], 0x30
	s_bitcmp1_b32 s28, 8
	s_wait_xcnt 0x0
	s_mov_b32 s20, 0
	s_cselect_b32 s30, -1, 0
	s_bfe_u32 s28, s28, 0x10008
	s_delay_alu instid0(SALU_CYCLE_1)
	s_cmp_eq_u32 s28, 0
	s_mov_b32 s28, 0
	s_cbranch_scc1 .LBB50_11
; %bb.6:
	v_cmp_ne_u32_e32 vcc_lo, 1, v1
	s_mov_b32 s20, s26
	s_cbranch_vccnz .LBB50_8
; %bb.7:
	s_load_b32 s20, s[26:27], 0x0
.LBB50_8:
	v_cmp_ne_u32_e32 vcc_lo, 1, v1
	s_cbranch_vccnz .LBB50_10
; %bb.9:
	s_wait_xcnt 0x0
	s_load_b32 s27, s[26:27], 0x4
.LBB50_10:
	s_wait_kmcnt 0x0
	s_mov_b32 s28, s27
.LBB50_11:
	s_load_b32 s33, s[0:1], 0x0
	v_lshl_add_u32 v1, v0, 2, 0
	v_lshlrev_b32_e32 v2, 3, v0
	v_or_b32_e32 v6, 0xfffffc00, v0
	s_wait_xcnt 0x0
	s_mov_b32 s0, 0
	v_mov_b32_e32 v3, v1
	v_add3_u32 v7, v2, 0, 0x4000
	v_dual_mov_b32 v2, 0 :: v_dual_mov_b32 v4, v6
	s_wait_kmcnt 0x0
	s_delay_alu instid0(VALU_DEP_2)
	v_dual_mov_b32 v8, v7 :: v_dual_mov_b32 v5, s33
.LBB50_12:                              ; =>This Inner Loop Header: Depth=1
	s_delay_alu instid0(VALU_DEP_2)
	v_add_nc_u32_e32 v4, 0x400, v4
	ds_store_b32 v3, v5
	ds_store_2addr_b32 v8, v2, v2 offset1:1
	v_add_nc_u32_e32 v8, 0x2000, v8
	v_add_nc_u32_e32 v3, 0x1000, v3
	v_cmp_lt_u32_e32 vcc_lo, 0xbff, v4
	s_or_b32 s0, vcc_lo, s0
	s_delay_alu instid0(SALU_CYCLE_1)
	s_and_not1_b32 exec_lo, exec_lo, s0
	s_cbranch_execnz .LBB50_12
; %bb.13:
	s_or_b32 exec_lo, exec_lo, s0
	s_wait_dscnt 0x0
	s_barrier_signal -1
	s_barrier_wait -1
	s_load_b32 s0, s[16:17], 0x0
	s_bfe_u32 s1, ttmp6, 0x4000c
	s_wait_xcnt 0x0
	s_and_b32 s16, ttmp6, 15
	s_add_co_i32 s1, s1, 1
	s_getreg_b32 s17, hwreg(HW_REG_IB_STS2, 6, 4)
	s_mul_i32 s1, ttmp9, s1
	s_delay_alu instid0(SALU_CYCLE_1)
	s_add_co_i32 s16, s16, s1
	s_cmp_eq_u32 s17, 0
	s_cselect_b32 s1, ttmp9, s16
	s_and_b32 vcc_lo, exec_lo, s31
	s_wait_kmcnt 0x0
	s_add_co_i32 s0, s0, s1
	s_load_b32 s42, s[18:19], s0 offset:0x0 scale_offset
	s_cbranch_vccz .LBB50_31
; %bb.14:
	s_wait_kmcnt 0x0
	s_ashr_i32 s43, s42, 31
	v_lshrrev_b32_e32 v2, 6, v0
	s_lshl_b64 s[0:1], s[42:43], 2
	s_delay_alu instid0(SALU_CYCLE_1) | instskip(NEXT) | instid1(VALU_DEP_1)
	s_add_nc_u64 s[0:1], s[24:25], s[0:1]
	v_subrev_nc_u32_e32 v2, s36, v2
	s_load_b64 s[16:17], s[0:1], 0x0
	s_wait_xcnt 0x0
	s_mov_b32 s1, exec_lo
	s_wait_kmcnt 0x0
	v_add_nc_u32_e32 v2, s16, v2
	s_sub_co_i32 s0, s17, s36
	s_delay_alu instid0(VALU_DEP_1) | instid1(SALU_CYCLE_1)
	v_cmpx_gt_i32_e64 s0, v2
	s_cbranch_execz .LBB50_30
; %bb.15:
	v_and_b32_e32 v3, 63, v0
	s_mov_b32 s16, 0
	s_delay_alu instid0(VALU_DEP_1)
	v_subrev_nc_u32_e32 v8, s37, v3
	s_branch .LBB50_17
.LBB50_16:                              ;   in Loop: Header=BB50_17 Depth=1
	s_or_b32 exec_lo, exec_lo, s17
	v_add_nc_u32_e32 v2, 16, v2
	s_delay_alu instid0(VALU_DEP_1) | instskip(SKIP_1) | instid1(SALU_CYCLE_1)
	v_cmp_le_i32_e32 vcc_lo, s0, v2
	s_or_b32 s16, vcc_lo, s16
	s_and_not1_b32 exec_lo, exec_lo, s16
	s_cbranch_execz .LBB50_30
.LBB50_17:                              ; =>This Loop Header: Depth=1
                                        ;     Child Loop BB50_21 Depth 2
                                        ;       Child Loop BB50_24 Depth 3
	global_load_b32 v3, v2, s[2:3] scale_offset
	s_mov_b32 s17, exec_lo
	s_wait_loadcnt 0x0
	v_subrev_nc_u32_e32 v4, s36, v3
	s_delay_alu instid0(VALU_DEP_1) | instskip(NEXT) | instid1(VALU_DEP_1)
	v_ashrrev_i32_e32 v5, 31, v4
	v_lshl_add_u64 v[4:5], v[4:5], 2, s[14:15]
	global_load_b64 v[4:5], v[4:5], off
	s_wait_loadcnt 0x0
	v_subrev_nc_u32_e32 v9, s37, v5
	v_add_nc_u32_e32 v10, v4, v8
	s_wait_xcnt 0x0
	s_delay_alu instid0(VALU_DEP_1)
	v_cmpx_lt_i32_e64 v10, v9
	s_cbranch_execz .LBB50_16
; %bb.18:                               ;   in Loop: Header=BB50_17 Depth=1
	v_ashrrev_i32_e32 v3, 31, v2
	s_mov_b32 s18, 0
	s_delay_alu instid0(VALU_DEP_1) | instskip(SKIP_3) | instid1(VALU_DEP_1)
	v_lshl_add_u64 v[4:5], v[2:3], 3, s[12:13]
	global_load_b64 v[4:5], v[4:5], off
	s_wait_loadcnt 0x0
	v_mul_f32_e64 v3, v5, -s21
	v_dual_mul_f32 v11, s29, v5 :: v_dual_fmac_f32 v3, s29, v4
	s_delay_alu instid0(VALU_DEP_1)
	v_fmac_f32_e32 v11, s21, v4
	s_branch .LBB50_21
.LBB50_19:                              ;   in Loop: Header=BB50_21 Depth=2
	s_or_b32 exec_lo, exec_lo, s24
.LBB50_20:                              ;   in Loop: Header=BB50_21 Depth=2
	s_delay_alu instid0(SALU_CYCLE_1) | instskip(SKIP_3) | instid1(VALU_DEP_2)
	s_or_b32 exec_lo, exec_lo, s19
	s_wait_loadcnt 0x0
	v_dual_mul_f32 v13, v5, -v11 :: v_dual_mul_f32 v5, v3, v5
	v_lshl_add_u32 v12, v12, 3, 0
	v_dual_fmac_f32 v13, v3, v4 :: v_dual_add_nc_u32 v10, 64, v10
	s_delay_alu instid0(VALU_DEP_3) | instskip(SKIP_4) | instid1(SALU_CYCLE_1)
	v_fmac_f32_e32 v5, v11, v4
	ds_add_f32 v12, v13 offset:16384
	ds_add_f32 v12, v5 offset:16388
	v_cmp_ge_i32_e32 vcc_lo, v10, v9
	s_or_b32 s18, vcc_lo, s18
	s_and_not1_b32 exec_lo, exec_lo, s18
	s_cbranch_execz .LBB50_16
.LBB50_21:                              ;   Parent Loop BB50_17 Depth=1
                                        ; =>  This Loop Header: Depth=2
                                        ;       Child Loop BB50_24 Depth 3
	s_clause 0x1
	global_load_b32 v12, v10, s[8:9] scale_offset
	global_load_b64 v[4:5], v10, s[10:11] scale_offset
	s_mov_b32 s19, exec_lo
	s_wait_loadcnt 0x1
	v_subrev_nc_u32_e32 v13, s37, v12
	s_delay_alu instid0(VALU_DEP_1) | instskip(NEXT) | instid1(VALU_DEP_1)
	v_mul_lo_u32 v12, 0x89, v13
	v_and_b32_e32 v12, 0xfff, v12
	s_delay_alu instid0(VALU_DEP_1)
	v_lshl_add_u32 v14, v12, 2, 0
	ds_load_b32 v15, v14
	s_wait_dscnt 0x0
	s_wait_xcnt 0x0
	v_cmpx_ne_u32_e64 v15, v13
	s_cbranch_execz .LBB50_20
; %bb.22:                               ;   in Loop: Header=BB50_21 Depth=2
	s_mov_b32 s24, 0
	s_branch .LBB50_24
.LBB50_23:                              ;   in Loop: Header=BB50_24 Depth=3
	s_or_b32 exec_lo, exec_lo, s27
	s_delay_alu instid0(SALU_CYCLE_1) | instskip(NEXT) | instid1(SALU_CYCLE_1)
	s_and_b32 s25, exec_lo, s26
	s_or_b32 s24, s25, s24
	s_delay_alu instid0(SALU_CYCLE_1)
	s_and_not1_b32 exec_lo, exec_lo, s24
	s_cbranch_execz .LBB50_19
.LBB50_24:                              ;   Parent Loop BB50_17 Depth=1
                                        ;     Parent Loop BB50_21 Depth=2
                                        ; =>    This Inner Loop Header: Depth=3
	s_mov_b32 s25, 0
	s_mov_b32 s26, exec_lo
	v_cmpx_ne_u32_e64 s33, v15
	s_xor_b32 s26, exec_lo, s26
	s_cbranch_execz .LBB50_26
; %bb.25:                               ;   in Loop: Header=BB50_24 Depth=3
	v_add_nc_u32_e32 v12, 1, v12
	s_mov_b32 s25, exec_lo
                                        ; implicit-def: $vgpr14
	s_delay_alu instid0(VALU_DEP_1)
	v_and_b32_e32 v12, 0xfff, v12
	s_and_not1_saveexec_b32 s26, s26
	s_cbranch_execz .LBB50_28
	s_branch .LBB50_27
.LBB50_26:                              ;   in Loop: Header=BB50_24 Depth=3
	s_and_not1_saveexec_b32 s26, s26
	s_cbranch_execz .LBB50_28
.LBB50_27:                              ;   in Loop: Header=BB50_24 Depth=3
	v_mov_b32_e32 v15, s33
	s_and_not1_b32 s25, s25, exec_lo
	ds_cmpstore_rtn_b32 v14, v14, v13, v15
	s_wait_dscnt 0x0
	v_cmp_ne_u32_e32 vcc_lo, s33, v14
	s_and_b32 s27, vcc_lo, exec_lo
	s_delay_alu instid0(SALU_CYCLE_1)
	s_or_b32 s25, s25, s27
.LBB50_28:                              ;   in Loop: Header=BB50_24 Depth=3
	s_or_b32 exec_lo, exec_lo, s26
	s_mov_b32 s26, -1
                                        ; implicit-def: $vgpr14
                                        ; implicit-def: $vgpr15
	s_and_saveexec_b32 s27, s25
	s_cbranch_execz .LBB50_23
; %bb.29:                               ;   in Loop: Header=BB50_24 Depth=3
	v_lshl_add_u32 v14, v12, 2, 0
	ds_load_b32 v15, v14
	s_wait_dscnt 0x0
	v_cmp_eq_u32_e32 vcc_lo, v15, v13
	s_or_not1_b32 s26, vcc_lo, exec_lo
	s_branch .LBB50_23
.LBB50_30:
	s_or_b32 exec_lo, exec_lo, s1
.LBB50_31:
	s_delay_alu instid0(SALU_CYCLE_1)
	s_and_not1_b32 vcc_lo, exec_lo, s30
	s_cbranch_vccnz .LBB50_46
; %bb.32:
	s_wait_kmcnt 0x0
	s_ashr_i32 s43, s42, 31
	v_subrev_nc_u32_e32 v2, s39, v0
	s_lshl_b64 s[0:1], s[42:43], 2
	s_delay_alu instid0(SALU_CYCLE_1)
	s_add_nc_u64 s[0:1], s[22:23], s[0:1]
	s_load_b64 s[2:3], s[0:1], 0x0
	s_wait_xcnt 0x0
	s_mov_b32 s1, exec_lo
	s_wait_kmcnt 0x0
	v_add_nc_u32_e32 v4, s2, v2
	s_sub_co_i32 s0, s3, s39
	s_delay_alu instid0(VALU_DEP_1) | instid1(SALU_CYCLE_1)
	v_cmpx_gt_i32_e64 s0, v4
	s_cbranch_execz .LBB50_45
; %bb.33:
	s_mov_b32 s2, 0
	s_branch .LBB50_36
.LBB50_34:                              ;   in Loop: Header=BB50_36 Depth=1
	s_or_b32 exec_lo, exec_lo, s8
.LBB50_35:                              ;   in Loop: Header=BB50_36 Depth=1
	s_delay_alu instid0(SALU_CYCLE_1)
	s_or_b32 exec_lo, exec_lo, s3
	s_wait_loadcnt 0x0
	v_mul_f32_e64 v8, v3, -s28
	v_mul_f32_e32 v3, s20, v3
	v_lshl_add_u32 v5, v5, 3, 0
	v_add_nc_u32_e32 v4, 0x400, v4
	s_delay_alu instid0(VALU_DEP_3) | instskip(SKIP_4) | instid1(SALU_CYCLE_1)
	v_dual_fmac_f32 v8, s20, v2 :: v_dual_fmac_f32 v3, s28, v2
	ds_add_f32 v5, v8 offset:16384
	ds_add_f32 v5, v3 offset:16388
	v_cmp_le_i32_e32 vcc_lo, s0, v4
	s_or_b32 s2, vcc_lo, s2
	s_and_not1_b32 exec_lo, exec_lo, s2
	s_cbranch_execz .LBB50_45
.LBB50_36:                              ; =>This Loop Header: Depth=1
                                        ;     Child Loop BB50_39 Depth 2
	s_clause 0x1
	global_load_b32 v5, v4, s[4:5] scale_offset
	global_load_b64 v[2:3], v4, s[6:7] scale_offset
	s_mov_b32 s3, exec_lo
	s_wait_loadcnt 0x1
	v_subrev_nc_u32_e32 v8, s39, v5
	s_delay_alu instid0(VALU_DEP_1) | instskip(NEXT) | instid1(VALU_DEP_1)
	v_mul_lo_u32 v5, 0x89, v8
	v_and_b32_e32 v5, 0xfff, v5
	s_delay_alu instid0(VALU_DEP_1)
	v_lshl_add_u32 v9, v5, 2, 0
	ds_load_b32 v10, v9
	s_wait_dscnt 0x0
	s_wait_xcnt 0x0
	v_cmpx_ne_u32_e64 v10, v8
	s_cbranch_execz .LBB50_35
; %bb.37:                               ;   in Loop: Header=BB50_36 Depth=1
	s_mov_b32 s8, 0
	s_branch .LBB50_39
.LBB50_38:                              ;   in Loop: Header=BB50_39 Depth=2
	s_or_b32 exec_lo, exec_lo, s11
	s_delay_alu instid0(SALU_CYCLE_1) | instskip(NEXT) | instid1(SALU_CYCLE_1)
	s_and_b32 s9, exec_lo, s10
	s_or_b32 s8, s9, s8
	s_delay_alu instid0(SALU_CYCLE_1)
	s_and_not1_b32 exec_lo, exec_lo, s8
	s_cbranch_execz .LBB50_34
.LBB50_39:                              ;   Parent Loop BB50_36 Depth=1
                                        ; =>  This Inner Loop Header: Depth=2
	s_mov_b32 s9, 0
	s_mov_b32 s10, exec_lo
	v_cmpx_ne_u32_e64 s33, v10
	s_xor_b32 s10, exec_lo, s10
	s_cbranch_execz .LBB50_41
; %bb.40:                               ;   in Loop: Header=BB50_39 Depth=2
	v_add_nc_u32_e32 v5, 1, v5
	s_mov_b32 s9, exec_lo
                                        ; implicit-def: $vgpr9
	s_delay_alu instid0(VALU_DEP_1)
	v_and_b32_e32 v5, 0xfff, v5
	s_and_not1_saveexec_b32 s10, s10
	s_cbranch_execz .LBB50_43
	s_branch .LBB50_42
.LBB50_41:                              ;   in Loop: Header=BB50_39 Depth=2
	s_and_not1_saveexec_b32 s10, s10
	s_cbranch_execz .LBB50_43
.LBB50_42:                              ;   in Loop: Header=BB50_39 Depth=2
	v_mov_b32_e32 v10, s33
	s_and_not1_b32 s9, s9, exec_lo
	ds_cmpstore_rtn_b32 v9, v9, v8, v10
	s_wait_dscnt 0x0
	v_cmp_ne_u32_e32 vcc_lo, s33, v9
	s_and_b32 s11, vcc_lo, exec_lo
	s_delay_alu instid0(SALU_CYCLE_1)
	s_or_b32 s9, s9, s11
.LBB50_43:                              ;   in Loop: Header=BB50_39 Depth=2
	s_or_b32 exec_lo, exec_lo, s10
	s_mov_b32 s10, -1
                                        ; implicit-def: $vgpr9
                                        ; implicit-def: $vgpr10
	s_and_saveexec_b32 s11, s9
	s_cbranch_execz .LBB50_38
; %bb.44:                               ;   in Loop: Header=BB50_39 Depth=2
	v_lshl_add_u32 v9, v5, 2, 0
	ds_load_b32 v10, v9
	s_wait_dscnt 0x0
	v_cmp_eq_u32_e32 vcc_lo, v10, v8
	s_or_not1_b32 s10, vcc_lo, exec_lo
	s_branch .LBB50_38
.LBB50_45:
	s_or_b32 exec_lo, exec_lo, s1
.LBB50_46:
	v_mbcnt_lo_u32_b32 v2, -1, 0
	v_dual_mov_b32 v3, 0 :: v_dual_lshrrev_b32 v4, 3, v0
	s_wait_xcnt 0x0
	v_cmp_lt_u32_e64 s0, 31, v0
	v_cmp_lt_u32_e64 s1, 63, v0
	;; [unrolled: 1-line block ×3, first 2 shown]
	v_and_b32_e32 v4, 0x7c, v4
	v_xor_b32_e32 v2, 31, v2
	v_cmp_lt_u32_e64 s3, 0x7f, v0
	v_cmp_lt_u32_e64 s4, 0x9f, v0
	;; [unrolled: 1-line block ×3, first 2 shown]
	v_add_nc_u32_e32 v8, 0, v4
	v_lshrrev_b32_e64 v2, v2, -1
	v_cmp_lt_u32_e64 s6, 0xdf, v0
	v_cmp_lt_u32_e64 s7, 0xff, v0
	;; [unrolled: 1-line block ×25, first 2 shown]
	v_mov_b32_e32 v9, 0
	s_mov_b32 s36, 0
	s_wait_dscnt 0x0
	v_cmp_eq_u32_e32 vcc_lo, 0x3ff, v0
	s_barrier_signal -1
	s_barrier_wait -1
	s_branch .LBB50_48
.LBB50_47:                              ;   in Loop: Header=BB50_48 Depth=1
	s_or_b32 exec_lo, exec_lo, s31
	s_wait_dscnt 0x0
	s_barrier_signal -1
	s_barrier_wait -1
	ds_load_b32 v4, v3 offset:49276
	v_add_nc_u32_e32 v6, 0x400, v6
	v_add_nc_u32_e32 v7, 0x2000, v7
	;; [unrolled: 1-line block ×3, first 2 shown]
	s_delay_alu instid0(VALU_DEP_3)
	v_cmp_lt_u32_e64 s31, 0xbff, v6
	s_or_b32 s36, s31, s36
	s_wait_dscnt 0x0
	v_add_nc_u32_e32 v9, v4, v9
	s_and_not1_b32 exec_lo, exec_lo, s36
	s_cbranch_execz .LBB50_114
.LBB50_48:                              ; =>This Inner Loop Header: Depth=1
	ds_load_b32 v10, v1
	ds_load_2addr_b32 v[4:5], v7 offset1:1
	s_wait_dscnt 0x0
	s_barrier_signal -1
	s_barrier_wait -1
	v_cmp_gt_i32_e64 s31, s33, v10
	s_bcnt1_i32_b32 s37, s31
	s_delay_alu instid0(SALU_CYCLE_1) | instskip(NEXT) | instid1(VALU_DEP_1)
	v_dual_mov_b32 v12, s37 :: v_dual_bitop2_b32 v11, s31, v2 bitop3:0x40
	v_bcnt_u32_b32 v11, v11, 0
	ds_store_b32 v8, v12 offset:49152
	s_wait_dscnt 0x0
	s_barrier_signal -1
	s_barrier_wait -1
	s_and_saveexec_b32 s37, s0
	s_cbranch_execz .LBB50_81
; %bb.49:                               ;   in Loop: Header=BB50_48 Depth=1
	ds_load_b32 v12, v3 offset:49152
	s_wait_dscnt 0x0
	v_add_nc_u32_e32 v11, v12, v11
	s_or_b32 exec_lo, exec_lo, s37
	s_and_saveexec_b32 s37, s1
	s_cbranch_execnz .LBB50_82
.LBB50_50:                              ;   in Loop: Header=BB50_48 Depth=1
	s_or_b32 exec_lo, exec_lo, s37
	s_and_saveexec_b32 s37, s2
	s_cbranch_execz .LBB50_83
.LBB50_51:                              ;   in Loop: Header=BB50_48 Depth=1
	ds_load_b32 v12, v3 offset:49160
	s_wait_dscnt 0x0
	v_add_nc_u32_e32 v11, v12, v11
	s_or_b32 exec_lo, exec_lo, s37
	s_and_saveexec_b32 s37, s3
	s_cbranch_execnz .LBB50_84
.LBB50_52:                              ;   in Loop: Header=BB50_48 Depth=1
	s_or_b32 exec_lo, exec_lo, s37
	s_and_saveexec_b32 s37, s4
	s_cbranch_execz .LBB50_85
.LBB50_53:                              ;   in Loop: Header=BB50_48 Depth=1
	ds_load_b32 v12, v3 offset:49168
	s_wait_dscnt 0x0
	v_add_nc_u32_e32 v11, v12, v11
	s_or_b32 exec_lo, exec_lo, s37
	s_and_saveexec_b32 s37, s5
	s_cbranch_execnz .LBB50_86
.LBB50_54:                              ;   in Loop: Header=BB50_48 Depth=1
	s_or_b32 exec_lo, exec_lo, s37
	s_and_saveexec_b32 s37, s6
	s_cbranch_execz .LBB50_87
.LBB50_55:                              ;   in Loop: Header=BB50_48 Depth=1
	ds_load_b32 v12, v3 offset:49176
	s_wait_dscnt 0x0
	v_add_nc_u32_e32 v11, v12, v11
	s_or_b32 exec_lo, exec_lo, s37
	s_and_saveexec_b32 s37, s7
	s_cbranch_execnz .LBB50_88
.LBB50_56:                              ;   in Loop: Header=BB50_48 Depth=1
	s_or_b32 exec_lo, exec_lo, s37
	s_and_saveexec_b32 s37, s8
	s_cbranch_execz .LBB50_89
.LBB50_57:                              ;   in Loop: Header=BB50_48 Depth=1
	ds_load_b32 v12, v3 offset:49184
	s_wait_dscnt 0x0
	v_add_nc_u32_e32 v11, v12, v11
	s_or_b32 exec_lo, exec_lo, s37
	s_and_saveexec_b32 s37, s9
	s_cbranch_execnz .LBB50_90
.LBB50_58:                              ;   in Loop: Header=BB50_48 Depth=1
	s_or_b32 exec_lo, exec_lo, s37
	s_and_saveexec_b32 s37, s10
	s_cbranch_execz .LBB50_91
.LBB50_59:                              ;   in Loop: Header=BB50_48 Depth=1
	ds_load_b32 v12, v3 offset:49192
	s_wait_dscnt 0x0
	v_add_nc_u32_e32 v11, v12, v11
	s_or_b32 exec_lo, exec_lo, s37
	s_and_saveexec_b32 s37, s11
	s_cbranch_execnz .LBB50_92
.LBB50_60:                              ;   in Loop: Header=BB50_48 Depth=1
	s_or_b32 exec_lo, exec_lo, s37
	s_and_saveexec_b32 s37, s12
	s_cbranch_execz .LBB50_93
.LBB50_61:                              ;   in Loop: Header=BB50_48 Depth=1
	ds_load_b32 v12, v3 offset:49200
	s_wait_dscnt 0x0
	v_add_nc_u32_e32 v11, v12, v11
	s_or_b32 exec_lo, exec_lo, s37
	s_and_saveexec_b32 s37, s13
	s_cbranch_execnz .LBB50_94
.LBB50_62:                              ;   in Loop: Header=BB50_48 Depth=1
	s_or_b32 exec_lo, exec_lo, s37
	s_and_saveexec_b32 s37, s14
	s_cbranch_execz .LBB50_95
.LBB50_63:                              ;   in Loop: Header=BB50_48 Depth=1
	ds_load_b32 v12, v3 offset:49208
	s_wait_dscnt 0x0
	v_add_nc_u32_e32 v11, v12, v11
	s_or_b32 exec_lo, exec_lo, s37
	s_and_saveexec_b32 s37, s15
	s_cbranch_execnz .LBB50_96
.LBB50_64:                              ;   in Loop: Header=BB50_48 Depth=1
	s_or_b32 exec_lo, exec_lo, s37
	s_and_saveexec_b32 s37, s16
	s_cbranch_execz .LBB50_97
.LBB50_65:                              ;   in Loop: Header=BB50_48 Depth=1
	ds_load_b32 v12, v3 offset:49216
	s_wait_dscnt 0x0
	v_add_nc_u32_e32 v11, v12, v11
	s_or_b32 exec_lo, exec_lo, s37
	s_and_saveexec_b32 s37, s17
	s_cbranch_execnz .LBB50_98
.LBB50_66:                              ;   in Loop: Header=BB50_48 Depth=1
	s_or_b32 exec_lo, exec_lo, s37
	s_and_saveexec_b32 s37, s18
	s_cbranch_execz .LBB50_99
.LBB50_67:                              ;   in Loop: Header=BB50_48 Depth=1
	ds_load_b32 v12, v3 offset:49224
	s_wait_dscnt 0x0
	v_add_nc_u32_e32 v11, v12, v11
	s_or_b32 exec_lo, exec_lo, s37
	s_and_saveexec_b32 s37, s19
	s_cbranch_execnz .LBB50_100
.LBB50_68:                              ;   in Loop: Header=BB50_48 Depth=1
	s_or_b32 exec_lo, exec_lo, s37
	s_and_saveexec_b32 s37, s20
	s_cbranch_execz .LBB50_101
.LBB50_69:                              ;   in Loop: Header=BB50_48 Depth=1
	ds_load_b32 v12, v3 offset:49232
	s_wait_dscnt 0x0
	v_add_nc_u32_e32 v11, v12, v11
	s_or_b32 exec_lo, exec_lo, s37
	s_and_saveexec_b32 s37, s21
	s_cbranch_execnz .LBB50_102
.LBB50_70:                              ;   in Loop: Header=BB50_48 Depth=1
	s_or_b32 exec_lo, exec_lo, s37
	s_and_saveexec_b32 s37, s22
	s_cbranch_execz .LBB50_103
.LBB50_71:                              ;   in Loop: Header=BB50_48 Depth=1
	ds_load_b32 v12, v3 offset:49240
	s_wait_dscnt 0x0
	v_add_nc_u32_e32 v11, v12, v11
	s_or_b32 exec_lo, exec_lo, s37
	s_and_saveexec_b32 s37, s23
	s_cbranch_execnz .LBB50_104
.LBB50_72:                              ;   in Loop: Header=BB50_48 Depth=1
	s_or_b32 exec_lo, exec_lo, s37
	s_and_saveexec_b32 s37, s24
	s_cbranch_execz .LBB50_105
.LBB50_73:                              ;   in Loop: Header=BB50_48 Depth=1
	ds_load_b32 v12, v3 offset:49248
	s_wait_dscnt 0x0
	v_add_nc_u32_e32 v11, v12, v11
	s_or_b32 exec_lo, exec_lo, s37
	s_and_saveexec_b32 s37, s25
	s_cbranch_execnz .LBB50_106
.LBB50_74:                              ;   in Loop: Header=BB50_48 Depth=1
	s_or_b32 exec_lo, exec_lo, s37
	s_and_saveexec_b32 s37, s26
	s_cbranch_execz .LBB50_107
.LBB50_75:                              ;   in Loop: Header=BB50_48 Depth=1
	ds_load_b32 v12, v3 offset:49256
	s_wait_dscnt 0x0
	v_add_nc_u32_e32 v11, v12, v11
	s_or_b32 exec_lo, exec_lo, s37
	s_and_saveexec_b32 s37, s27
	s_cbranch_execnz .LBB50_108
.LBB50_76:                              ;   in Loop: Header=BB50_48 Depth=1
	s_or_b32 exec_lo, exec_lo, s37
	s_and_saveexec_b32 s37, s28
	s_cbranch_execz .LBB50_109
.LBB50_77:                              ;   in Loop: Header=BB50_48 Depth=1
	ds_load_b32 v12, v3 offset:49264
	s_wait_dscnt 0x0
	v_add_nc_u32_e32 v11, v12, v11
	s_or_b32 exec_lo, exec_lo, s37
	s_and_saveexec_b32 s37, s29
	s_cbranch_execnz .LBB50_110
.LBB50_78:                              ;   in Loop: Header=BB50_48 Depth=1
	s_or_b32 exec_lo, exec_lo, s37
	s_and_saveexec_b32 s37, s30
	s_cbranch_execz .LBB50_111
.LBB50_79:                              ;   in Loop: Header=BB50_48 Depth=1
	ds_load_b32 v12, v3 offset:49272
	s_wait_dscnt 0x0
	v_add_nc_u32_e32 v11, v12, v11
	s_or_b32 exec_lo, exec_lo, s37
	s_and_saveexec_b32 s37, s31
	s_cbranch_execnz .LBB50_112
.LBB50_80:                              ;   in Loop: Header=BB50_48 Depth=1
	s_or_b32 exec_lo, exec_lo, s37
	s_and_saveexec_b32 s31, vcc_lo
	s_cbranch_execz .LBB50_47
	s_branch .LBB50_113
.LBB50_81:                              ;   in Loop: Header=BB50_48 Depth=1
	s_or_b32 exec_lo, exec_lo, s37
	s_and_saveexec_b32 s37, s1
	s_cbranch_execz .LBB50_50
.LBB50_82:                              ;   in Loop: Header=BB50_48 Depth=1
	ds_load_b32 v12, v3 offset:49156
	s_wait_dscnt 0x0
	v_add_nc_u32_e32 v11, v12, v11
	s_or_b32 exec_lo, exec_lo, s37
	s_and_saveexec_b32 s37, s2
	s_cbranch_execnz .LBB50_51
.LBB50_83:                              ;   in Loop: Header=BB50_48 Depth=1
	s_or_b32 exec_lo, exec_lo, s37
	s_and_saveexec_b32 s37, s3
	s_cbranch_execz .LBB50_52
.LBB50_84:                              ;   in Loop: Header=BB50_48 Depth=1
	ds_load_b32 v12, v3 offset:49164
	s_wait_dscnt 0x0
	v_add_nc_u32_e32 v11, v12, v11
	s_or_b32 exec_lo, exec_lo, s37
	s_and_saveexec_b32 s37, s4
	s_cbranch_execnz .LBB50_53
.LBB50_85:                              ;   in Loop: Header=BB50_48 Depth=1
	s_or_b32 exec_lo, exec_lo, s37
	s_and_saveexec_b32 s37, s5
	s_cbranch_execz .LBB50_54
.LBB50_86:                              ;   in Loop: Header=BB50_48 Depth=1
	ds_load_b32 v12, v3 offset:49172
	s_wait_dscnt 0x0
	v_add_nc_u32_e32 v11, v12, v11
	s_or_b32 exec_lo, exec_lo, s37
	s_and_saveexec_b32 s37, s6
	s_cbranch_execnz .LBB50_55
.LBB50_87:                              ;   in Loop: Header=BB50_48 Depth=1
	s_or_b32 exec_lo, exec_lo, s37
	s_and_saveexec_b32 s37, s7
	s_cbranch_execz .LBB50_56
.LBB50_88:                              ;   in Loop: Header=BB50_48 Depth=1
	ds_load_b32 v12, v3 offset:49180
	s_wait_dscnt 0x0
	v_add_nc_u32_e32 v11, v12, v11
	s_or_b32 exec_lo, exec_lo, s37
	s_and_saveexec_b32 s37, s8
	s_cbranch_execnz .LBB50_57
.LBB50_89:                              ;   in Loop: Header=BB50_48 Depth=1
	s_or_b32 exec_lo, exec_lo, s37
	s_and_saveexec_b32 s37, s9
	s_cbranch_execz .LBB50_58
.LBB50_90:                              ;   in Loop: Header=BB50_48 Depth=1
	ds_load_b32 v12, v3 offset:49188
	s_wait_dscnt 0x0
	v_add_nc_u32_e32 v11, v12, v11
	s_or_b32 exec_lo, exec_lo, s37
	s_and_saveexec_b32 s37, s10
	s_cbranch_execnz .LBB50_59
.LBB50_91:                              ;   in Loop: Header=BB50_48 Depth=1
	s_or_b32 exec_lo, exec_lo, s37
	s_and_saveexec_b32 s37, s11
	s_cbranch_execz .LBB50_60
.LBB50_92:                              ;   in Loop: Header=BB50_48 Depth=1
	ds_load_b32 v12, v3 offset:49196
	s_wait_dscnt 0x0
	v_add_nc_u32_e32 v11, v12, v11
	s_or_b32 exec_lo, exec_lo, s37
	s_and_saveexec_b32 s37, s12
	s_cbranch_execnz .LBB50_61
.LBB50_93:                              ;   in Loop: Header=BB50_48 Depth=1
	s_or_b32 exec_lo, exec_lo, s37
	s_and_saveexec_b32 s37, s13
	s_cbranch_execz .LBB50_62
.LBB50_94:                              ;   in Loop: Header=BB50_48 Depth=1
	ds_load_b32 v12, v3 offset:49204
	s_wait_dscnt 0x0
	v_add_nc_u32_e32 v11, v12, v11
	s_or_b32 exec_lo, exec_lo, s37
	s_and_saveexec_b32 s37, s14
	s_cbranch_execnz .LBB50_63
.LBB50_95:                              ;   in Loop: Header=BB50_48 Depth=1
	s_or_b32 exec_lo, exec_lo, s37
	s_and_saveexec_b32 s37, s15
	s_cbranch_execz .LBB50_64
.LBB50_96:                              ;   in Loop: Header=BB50_48 Depth=1
	ds_load_b32 v12, v3 offset:49212
	s_wait_dscnt 0x0
	v_add_nc_u32_e32 v11, v12, v11
	s_or_b32 exec_lo, exec_lo, s37
	s_and_saveexec_b32 s37, s16
	s_cbranch_execnz .LBB50_65
.LBB50_97:                              ;   in Loop: Header=BB50_48 Depth=1
	s_or_b32 exec_lo, exec_lo, s37
	s_and_saveexec_b32 s37, s17
	s_cbranch_execz .LBB50_66
.LBB50_98:                              ;   in Loop: Header=BB50_48 Depth=1
	ds_load_b32 v12, v3 offset:49220
	s_wait_dscnt 0x0
	v_add_nc_u32_e32 v11, v12, v11
	s_or_b32 exec_lo, exec_lo, s37
	s_and_saveexec_b32 s37, s18
	s_cbranch_execnz .LBB50_67
.LBB50_99:                              ;   in Loop: Header=BB50_48 Depth=1
	s_or_b32 exec_lo, exec_lo, s37
	s_and_saveexec_b32 s37, s19
	s_cbranch_execz .LBB50_68
.LBB50_100:                             ;   in Loop: Header=BB50_48 Depth=1
	ds_load_b32 v12, v3 offset:49228
	s_wait_dscnt 0x0
	v_add_nc_u32_e32 v11, v12, v11
	s_or_b32 exec_lo, exec_lo, s37
	s_and_saveexec_b32 s37, s20
	s_cbranch_execnz .LBB50_69
.LBB50_101:                             ;   in Loop: Header=BB50_48 Depth=1
	s_or_b32 exec_lo, exec_lo, s37
	s_and_saveexec_b32 s37, s21
	s_cbranch_execz .LBB50_70
.LBB50_102:                             ;   in Loop: Header=BB50_48 Depth=1
	ds_load_b32 v12, v3 offset:49236
	s_wait_dscnt 0x0
	v_add_nc_u32_e32 v11, v12, v11
	s_or_b32 exec_lo, exec_lo, s37
	s_and_saveexec_b32 s37, s22
	s_cbranch_execnz .LBB50_71
.LBB50_103:                             ;   in Loop: Header=BB50_48 Depth=1
	s_or_b32 exec_lo, exec_lo, s37
	s_and_saveexec_b32 s37, s23
	s_cbranch_execz .LBB50_72
.LBB50_104:                             ;   in Loop: Header=BB50_48 Depth=1
	ds_load_b32 v12, v3 offset:49244
	s_wait_dscnt 0x0
	v_add_nc_u32_e32 v11, v12, v11
	s_or_b32 exec_lo, exec_lo, s37
	s_and_saveexec_b32 s37, s24
	s_cbranch_execnz .LBB50_73
.LBB50_105:                             ;   in Loop: Header=BB50_48 Depth=1
	s_or_b32 exec_lo, exec_lo, s37
	s_and_saveexec_b32 s37, s25
	s_cbranch_execz .LBB50_74
.LBB50_106:                             ;   in Loop: Header=BB50_48 Depth=1
	ds_load_b32 v12, v3 offset:49252
	s_wait_dscnt 0x0
	v_add_nc_u32_e32 v11, v12, v11
	s_or_b32 exec_lo, exec_lo, s37
	s_and_saveexec_b32 s37, s26
	s_cbranch_execnz .LBB50_75
.LBB50_107:                             ;   in Loop: Header=BB50_48 Depth=1
	s_or_b32 exec_lo, exec_lo, s37
	s_and_saveexec_b32 s37, s27
	s_cbranch_execz .LBB50_76
.LBB50_108:                             ;   in Loop: Header=BB50_48 Depth=1
	ds_load_b32 v12, v3 offset:49260
	s_wait_dscnt 0x0
	v_add_nc_u32_e32 v11, v12, v11
	s_or_b32 exec_lo, exec_lo, s37
	s_and_saveexec_b32 s37, s28
	s_cbranch_execnz .LBB50_77
.LBB50_109:                             ;   in Loop: Header=BB50_48 Depth=1
	s_or_b32 exec_lo, exec_lo, s37
	s_and_saveexec_b32 s37, s29
	s_cbranch_execz .LBB50_78
.LBB50_110:                             ;   in Loop: Header=BB50_48 Depth=1
	ds_load_b32 v12, v3 offset:49268
	s_wait_dscnt 0x0
	v_add_nc_u32_e32 v11, v12, v11
	s_or_b32 exec_lo, exec_lo, s37
	s_and_saveexec_b32 s37, s30
	s_cbranch_execnz .LBB50_79
.LBB50_111:                             ;   in Loop: Header=BB50_48 Depth=1
	s_or_b32 exec_lo, exec_lo, s37
	s_and_saveexec_b32 s37, s31
	s_cbranch_execz .LBB50_80
.LBB50_112:                             ;   in Loop: Header=BB50_48 Depth=1
	s_delay_alu instid0(VALU_DEP_1) | instskip(SKIP_1) | instid1(VALU_DEP_2)
	v_add3_u32 v12, v9, -1, v11
	v_add_lshl_u32 v13, v9, v11, 3
	v_lshl_add_u32 v12, v12, 2, 0
	s_delay_alu instid0(VALU_DEP_2)
	v_add3_u32 v13, 0, v13, 0x3ff8
	ds_store_b32 v12, v10
	ds_store_2addr_b32 v13, v4, v5 offset1:1
	s_or_b32 exec_lo, exec_lo, s37
	s_and_saveexec_b32 s31, vcc_lo
	s_cbranch_execz .LBB50_47
.LBB50_113:                             ;   in Loop: Header=BB50_48 Depth=1
	ds_store_b32 v3, v11 offset:49276
	s_branch .LBB50_47
.LBB50_114:
	s_or_b32 exec_lo, exec_lo, s36
	s_wait_kmcnt 0x0
	s_ashr_i32 s43, s42, 31
	s_delay_alu instid0(SALU_CYCLE_1) | instskip(NEXT) | instid1(SALU_CYCLE_1)
	s_lshl_b64 s[0:1], s[42:43], 2
	s_add_nc_u64 s[2:3], s[40:41], s[0:1]
	s_load_b64 s[0:1], s[2:3], 0x0
	s_wait_kmcnt 0x0
	s_sub_co_i32 s4, s1, s0
	s_mov_b32 s1, exec_lo
	v_cmpx_gt_i32_e64 s4, v0
	s_cbranch_execz .LBB50_128
; %bb.115:
	v_sub_co_u32 v1, s1, s4, 2
	s_sub_co_i32 s2, s0, s38
	s_xor_b32 s6, s1, -1
	s_and_b32 s5, s4, -2
	v_readfirstlane_b32 s3, v1
	s_lshr_b32 s0, s3, 1
	s_mov_b32 s3, 0
	s_add_co_i32 s0, s0, 1
	s_mov_b32 s11, s3
	s_and_b32 s1, s0, 7
	s_and_b32 s7, s0, -8
	s_cmp_lg_u32 s1, 0
	v_cmp_lt_u32_e64 s0, 13, v1
	s_cselect_b32 s8, -1, 0
	s_cmp_lg_u32 s4, s5
	s_cselect_b32 s9, -1, 0
	s_lshl_b32 s10, s1, 3
	s_branch .LBB50_117
.LBB50_116:                             ;   in Loop: Header=BB50_117 Depth=1
	v_add_nc_u32_e32 v0, 0x400, v0
	s_wait_dscnt 0x0
	global_store_b64 v4, v[2:3], s[34:35] scale_offset
	v_cmp_le_i32_e32 vcc_lo, s4, v0
	s_or_b32 s11, vcc_lo, s11
	s_wait_xcnt 0x0
	s_and_not1_b32 exec_lo, exec_lo, s11
	s_cbranch_execz .LBB50_128
.LBB50_117:                             ; =>This Loop Header: Depth=1
                                        ;     Child Loop BB50_120 Depth 2
                                        ;     Child Loop BB50_123 Depth 2
	;; [unrolled: 1-line block ×3, first 2 shown]
	v_dual_mov_b32 v4, s2 :: v_dual_lshlrev_b32 v1, 2, v0
	s_and_not1_b32 vcc_lo, exec_lo, s6
	s_mov_b32 s1, 0
	s_mov_b32 s12, -1
	s_delay_alu instid0(VALU_DEP_1) | instskip(NEXT) | instid1(VALU_DEP_1)
	v_add_nc_u32_e32 v2, 0, v1
	v_add3_u32 v3, v2, v1, 0x4000
	ds_load_b32 v1, v2
	ds_load_2addr_b32 v[2:3], v3 offset1:1
	s_cbranch_vccnz .LBB50_125
; %bb.118:                              ;   in Loop: Header=BB50_117 Depth=1
	v_mov_b64_e32 v[4:5], s[2:3]
	s_and_not1_b32 vcc_lo, exec_lo, s0
	s_mov_b32 s12, 0
	s_cbranch_vccnz .LBB50_121
; %bb.119:                              ;   in Loop: Header=BB50_117 Depth=1
	v_dual_mov_b32 v4, s2 :: v_dual_mov_b32 v5, 0
	s_mov_b32 s13, 0
	s_mov_b32 s14, s7
.LBB50_120:                             ;   Parent Loop BB50_117 Depth=1
                                        ; =>  This Inner Loop Header: Depth=2
	v_mov_b32_e32 v20, s13
	s_add_co_i32 s14, s14, -8
	s_add_co_i32 s12, s12, 16
	s_add_co_i32 s13, s13, 64
	s_cmp_lg_u32 s14, 0
	ds_load_2addr_b32 v[6:7], v20 offset1:1
	ds_load_2addr_b32 v[8:9], v20 offset0:2 offset1:3
	ds_load_2addr_b32 v[10:11], v20 offset0:4 offset1:5
	;; [unrolled: 1-line block ×7, first 2 shown]
	s_wait_dscnt 0x7
	v_cmp_gt_i32_e32 vcc_lo, v1, v7
	s_wait_dscnt 0x5
	v_cmp_gt_i32_e64 s1, v1, v10
	v_cndmask_b32_e64 v7, 0, 1, vcc_lo
	v_cmp_gt_i32_e32 vcc_lo, v1, v6
	v_cndmask_b32_e64 v6, 0, 1, vcc_lo
	v_cmp_gt_i32_e32 vcc_lo, v1, v8
	v_cndmask_b32_e64 v8, 0, 1, s1
	v_cmp_gt_i32_e64 s1, v1, v11
	s_delay_alu instid0(VALU_DEP_4) | instskip(NEXT) | instid1(VALU_DEP_2)
	v_add_co_ci_u32_e64 v4, null, v4, v6, vcc_lo
	v_cndmask_b32_e64 v10, 0, 1, s1
	s_wait_dscnt 0x4
	v_cmp_gt_i32_e64 s1, v1, v13
	s_wait_dscnt 0x2
	v_cmp_gt_i32_e32 vcc_lo, v1, v16
	s_delay_alu instid0(VALU_DEP_2) | instskip(SKIP_4) | instid1(VALU_DEP_3)
	v_cndmask_b32_e64 v11, 0, 1, s1
	v_cmp_gt_i32_e64 s1, v1, v12
	v_add_co_ci_u32_e64 v4, null, v4, v8, vcc_lo
	s_wait_dscnt 0x1
	v_cmp_gt_i32_e32 vcc_lo, v1, v18
	v_cndmask_b32_e64 v12, 0, 1, s1
	v_cmp_gt_i32_e64 s1, v1, v14
	s_delay_alu instid0(VALU_DEP_2) | instskip(NEXT) | instid1(VALU_DEP_2)
	v_add_co_ci_u32_e64 v4, null, v4, v12, vcc_lo
	v_cndmask_b32_e64 v13, 0, 1, s1
	v_cmp_gt_i32_e64 s1, v1, v15
	s_wait_dscnt 0x0
	v_cmp_gt_i32_e32 vcc_lo, v1, v20
	s_delay_alu instid0(VALU_DEP_2) | instskip(SKIP_2) | instid1(VALU_DEP_2)
	v_cndmask_b32_e64 v14, 0, 1, s1
	v_cmp_gt_i32_e64 s1, v1, v9
	v_add_co_ci_u32_e64 v4, null, v4, v13, vcc_lo
	v_add_co_ci_u32_e64 v5, null, v5, v7, s1
	v_cmp_gt_i32_e64 s1, v1, v17
	s_delay_alu instid0(VALU_DEP_1) | instskip(SKIP_1) | instid1(VALU_DEP_1)
	v_add_co_ci_u32_e64 v5, null, v5, v10, s1
	v_cmp_gt_i32_e64 s1, v1, v19
	v_add_co_ci_u32_e64 v5, null, v5, v11, s1
	v_cmp_gt_i32_e64 s1, v1, v21
	s_delay_alu instid0(VALU_DEP_1)
	v_add_co_ci_u32_e64 v5, null, v5, v14, s1
	s_cbranch_scc1 .LBB50_120
.LBB50_121:                             ;   in Loop: Header=BB50_117 Depth=1
	s_and_not1_b32 vcc_lo, exec_lo, s8
	s_cbranch_vccnz .LBB50_124
; %bb.122:                              ;   in Loop: Header=BB50_117 Depth=1
	s_lshl_b32 s1, s12, 2
	s_mov_b32 s12, s10
	s_add_co_i32 s1, s1, 0
.LBB50_123:                             ;   Parent Loop BB50_117 Depth=1
                                        ; =>  This Inner Loop Header: Depth=2
	s_delay_alu instid0(SALU_CYCLE_1)
	v_mov_b32_e32 v6, s1
	s_add_co_i32 s12, s12, -8
	s_add_co_i32 s1, s1, 8
	s_cmp_lg_u32 s12, 0
	ds_load_2addr_b32 v[6:7], v6 offset1:1
	s_wait_dscnt 0x0
	v_cmp_gt_i32_e32 vcc_lo, v1, v7
	v_add_co_ci_u32_e64 v5, null, 0, v5, vcc_lo
	v_cmp_gt_i32_e32 vcc_lo, v1, v6
	v_add_co_ci_u32_e64 v4, null, 0, v4, vcc_lo
	s_cbranch_scc1 .LBB50_123
.LBB50_124:                             ;   in Loop: Header=BB50_117 Depth=1
	s_delay_alu instid0(VALU_DEP_1)
	v_add_nc_u32_e32 v4, v4, v5
	s_mov_b32 s1, s5
	s_mov_b32 s12, s9
.LBB50_125:                             ;   in Loop: Header=BB50_117 Depth=1
	s_delay_alu instid0(SALU_CYCLE_1)
	s_and_b32 vcc_lo, exec_lo, s12
	s_cbranch_vccz .LBB50_116
; %bb.126:                              ;   in Loop: Header=BB50_117 Depth=1
	s_lshl_b32 s12, s1, 2
	s_delay_alu instid0(SALU_CYCLE_1)
	s_add_co_i32 s12, s12, 0
.LBB50_127:                             ;   Parent Loop BB50_117 Depth=1
                                        ; =>  This Inner Loop Header: Depth=2
	s_delay_alu instid0(SALU_CYCLE_1)
	v_mov_b32_e32 v5, s12
	s_add_co_i32 s1, s1, 1
	s_add_co_i32 s12, s12, 4
	s_cmp_ge_i32 s1, s4
	ds_load_b32 v5, v5
	s_wait_dscnt 0x0
	v_cmp_gt_i32_e32 vcc_lo, v1, v5
	v_add_co_ci_u32_e64 v4, null, 0, v4, vcc_lo
	s_cbranch_scc0 .LBB50_127
	s_branch .LBB50_116
.LBB50_128:
	s_endpgm
	.section	.rodata,"a",@progbits
	.p2align	6, 0x0
	.amdhsa_kernel _ZN9rocsparseL41csrgemm_numeric_fill_block_per_row_kernelILj1024ELj64ELj4096ELj137ELj32Eii21rocsparse_complex_numIfEEEvT5_PKS3_S5_NS_24const_host_device_scalarIT6_EEPKT4_S5_PKS7_SB_S5_SD_S8_SB_S5_SD_SB_S5_PS7_21rocsparse_index_base_SF_SF_SF_bbb
		.amdhsa_group_segment_fixed_size 0
		.amdhsa_private_segment_fixed_size 0
		.amdhsa_kernarg_size 156
		.amdhsa_user_sgpr_count 2
		.amdhsa_user_sgpr_dispatch_ptr 0
		.amdhsa_user_sgpr_queue_ptr 0
		.amdhsa_user_sgpr_kernarg_segment_ptr 1
		.amdhsa_user_sgpr_dispatch_id 0
		.amdhsa_user_sgpr_kernarg_preload_length 0
		.amdhsa_user_sgpr_kernarg_preload_offset 0
		.amdhsa_user_sgpr_private_segment_size 0
		.amdhsa_wavefront_size32 1
		.amdhsa_uses_dynamic_stack 0
		.amdhsa_enable_private_segment 0
		.amdhsa_system_sgpr_workgroup_id_x 1
		.amdhsa_system_sgpr_workgroup_id_y 0
		.amdhsa_system_sgpr_workgroup_id_z 0
		.amdhsa_system_sgpr_workgroup_info 0
		.amdhsa_system_vgpr_workitem_id 0
		.amdhsa_next_free_vgpr 22
		.amdhsa_next_free_sgpr 44
		.amdhsa_named_barrier_count 0
		.amdhsa_reserve_vcc 1
		.amdhsa_float_round_mode_32 0
		.amdhsa_float_round_mode_16_64 0
		.amdhsa_float_denorm_mode_32 3
		.amdhsa_float_denorm_mode_16_64 3
		.amdhsa_fp16_overflow 0
		.amdhsa_memory_ordered 1
		.amdhsa_forward_progress 1
		.amdhsa_inst_pref_size 35
		.amdhsa_round_robin_scheduling 0
		.amdhsa_exception_fp_ieee_invalid_op 0
		.amdhsa_exception_fp_denorm_src 0
		.amdhsa_exception_fp_ieee_div_zero 0
		.amdhsa_exception_fp_ieee_overflow 0
		.amdhsa_exception_fp_ieee_underflow 0
		.amdhsa_exception_fp_ieee_inexact 0
		.amdhsa_exception_int_div_zero 0
	.end_amdhsa_kernel
	.section	.text._ZN9rocsparseL41csrgemm_numeric_fill_block_per_row_kernelILj1024ELj64ELj4096ELj137ELj32Eii21rocsparse_complex_numIfEEEvT5_PKS3_S5_NS_24const_host_device_scalarIT6_EEPKT4_S5_PKS7_SB_S5_SD_S8_SB_S5_SD_SB_S5_PS7_21rocsparse_index_base_SF_SF_SF_bbb,"axG",@progbits,_ZN9rocsparseL41csrgemm_numeric_fill_block_per_row_kernelILj1024ELj64ELj4096ELj137ELj32Eii21rocsparse_complex_numIfEEEvT5_PKS3_S5_NS_24const_host_device_scalarIT6_EEPKT4_S5_PKS7_SB_S5_SD_S8_SB_S5_SD_SB_S5_PS7_21rocsparse_index_base_SF_SF_SF_bbb,comdat
.Lfunc_end50:
	.size	_ZN9rocsparseL41csrgemm_numeric_fill_block_per_row_kernelILj1024ELj64ELj4096ELj137ELj32Eii21rocsparse_complex_numIfEEEvT5_PKS3_S5_NS_24const_host_device_scalarIT6_EEPKT4_S5_PKS7_SB_S5_SD_S8_SB_S5_SD_SB_S5_PS7_21rocsparse_index_base_SF_SF_SF_bbb, .Lfunc_end50-_ZN9rocsparseL41csrgemm_numeric_fill_block_per_row_kernelILj1024ELj64ELj4096ELj137ELj32Eii21rocsparse_complex_numIfEEEvT5_PKS3_S5_NS_24const_host_device_scalarIT6_EEPKT4_S5_PKS7_SB_S5_SD_S8_SB_S5_SD_SB_S5_PS7_21rocsparse_index_base_SF_SF_SF_bbb
                                        ; -- End function
	.set _ZN9rocsparseL41csrgemm_numeric_fill_block_per_row_kernelILj1024ELj64ELj4096ELj137ELj32Eii21rocsparse_complex_numIfEEEvT5_PKS3_S5_NS_24const_host_device_scalarIT6_EEPKT4_S5_PKS7_SB_S5_SD_S8_SB_S5_SD_SB_S5_PS7_21rocsparse_index_base_SF_SF_SF_bbb.num_vgpr, 22
	.set _ZN9rocsparseL41csrgemm_numeric_fill_block_per_row_kernelILj1024ELj64ELj4096ELj137ELj32Eii21rocsparse_complex_numIfEEEvT5_PKS3_S5_NS_24const_host_device_scalarIT6_EEPKT4_S5_PKS7_SB_S5_SD_S8_SB_S5_SD_SB_S5_PS7_21rocsparse_index_base_SF_SF_SF_bbb.num_agpr, 0
	.set _ZN9rocsparseL41csrgemm_numeric_fill_block_per_row_kernelILj1024ELj64ELj4096ELj137ELj32Eii21rocsparse_complex_numIfEEEvT5_PKS3_S5_NS_24const_host_device_scalarIT6_EEPKT4_S5_PKS7_SB_S5_SD_S8_SB_S5_SD_SB_S5_PS7_21rocsparse_index_base_SF_SF_SF_bbb.numbered_sgpr, 44
	.set _ZN9rocsparseL41csrgemm_numeric_fill_block_per_row_kernelILj1024ELj64ELj4096ELj137ELj32Eii21rocsparse_complex_numIfEEEvT5_PKS3_S5_NS_24const_host_device_scalarIT6_EEPKT4_S5_PKS7_SB_S5_SD_S8_SB_S5_SD_SB_S5_PS7_21rocsparse_index_base_SF_SF_SF_bbb.num_named_barrier, 0
	.set _ZN9rocsparseL41csrgemm_numeric_fill_block_per_row_kernelILj1024ELj64ELj4096ELj137ELj32Eii21rocsparse_complex_numIfEEEvT5_PKS3_S5_NS_24const_host_device_scalarIT6_EEPKT4_S5_PKS7_SB_S5_SD_S8_SB_S5_SD_SB_S5_PS7_21rocsparse_index_base_SF_SF_SF_bbb.private_seg_size, 0
	.set _ZN9rocsparseL41csrgemm_numeric_fill_block_per_row_kernelILj1024ELj64ELj4096ELj137ELj32Eii21rocsparse_complex_numIfEEEvT5_PKS3_S5_NS_24const_host_device_scalarIT6_EEPKT4_S5_PKS7_SB_S5_SD_S8_SB_S5_SD_SB_S5_PS7_21rocsparse_index_base_SF_SF_SF_bbb.uses_vcc, 1
	.set _ZN9rocsparseL41csrgemm_numeric_fill_block_per_row_kernelILj1024ELj64ELj4096ELj137ELj32Eii21rocsparse_complex_numIfEEEvT5_PKS3_S5_NS_24const_host_device_scalarIT6_EEPKT4_S5_PKS7_SB_S5_SD_S8_SB_S5_SD_SB_S5_PS7_21rocsparse_index_base_SF_SF_SF_bbb.uses_flat_scratch, 0
	.set _ZN9rocsparseL41csrgemm_numeric_fill_block_per_row_kernelILj1024ELj64ELj4096ELj137ELj32Eii21rocsparse_complex_numIfEEEvT5_PKS3_S5_NS_24const_host_device_scalarIT6_EEPKT4_S5_PKS7_SB_S5_SD_S8_SB_S5_SD_SB_S5_PS7_21rocsparse_index_base_SF_SF_SF_bbb.has_dyn_sized_stack, 0
	.set _ZN9rocsparseL41csrgemm_numeric_fill_block_per_row_kernelILj1024ELj64ELj4096ELj137ELj32Eii21rocsparse_complex_numIfEEEvT5_PKS3_S5_NS_24const_host_device_scalarIT6_EEPKT4_S5_PKS7_SB_S5_SD_S8_SB_S5_SD_SB_S5_PS7_21rocsparse_index_base_SF_SF_SF_bbb.has_recursion, 0
	.set _ZN9rocsparseL41csrgemm_numeric_fill_block_per_row_kernelILj1024ELj64ELj4096ELj137ELj32Eii21rocsparse_complex_numIfEEEvT5_PKS3_S5_NS_24const_host_device_scalarIT6_EEPKT4_S5_PKS7_SB_S5_SD_S8_SB_S5_SD_SB_S5_PS7_21rocsparse_index_base_SF_SF_SF_bbb.has_indirect_call, 0
	.section	.AMDGPU.csdata,"",@progbits
; Kernel info:
; codeLenInByte = 4428
; TotalNumSgprs: 46
; NumVgprs: 22
; ScratchSize: 0
; MemoryBound: 0
; FloatMode: 240
; IeeeMode: 1
; LDSByteSize: 0 bytes/workgroup (compile time only)
; SGPRBlocks: 0
; VGPRBlocks: 1
; NumSGPRsForWavesPerEU: 46
; NumVGPRsForWavesPerEU: 22
; NamedBarCnt: 0
; Occupancy: 16
; WaveLimiterHint : 1
; COMPUTE_PGM_RSRC2:SCRATCH_EN: 0
; COMPUTE_PGM_RSRC2:USER_SGPR: 2
; COMPUTE_PGM_RSRC2:TRAP_HANDLER: 0
; COMPUTE_PGM_RSRC2:TGID_X_EN: 1
; COMPUTE_PGM_RSRC2:TGID_Y_EN: 0
; COMPUTE_PGM_RSRC2:TGID_Z_EN: 0
; COMPUTE_PGM_RSRC2:TIDIG_COMP_CNT: 0
	.section	.text._ZN9rocsparseL41csrgemm_numeric_fill_block_per_row_kernelILj1024ELj64ELj4096ELj137ELj64Eii21rocsparse_complex_numIfEEEvT5_PKS3_S5_NS_24const_host_device_scalarIT6_EEPKT4_S5_PKS7_SB_S5_SD_S8_SB_S5_SD_SB_S5_PS7_21rocsparse_index_base_SF_SF_SF_bbb,"axG",@progbits,_ZN9rocsparseL41csrgemm_numeric_fill_block_per_row_kernelILj1024ELj64ELj4096ELj137ELj64Eii21rocsparse_complex_numIfEEEvT5_PKS3_S5_NS_24const_host_device_scalarIT6_EEPKT4_S5_PKS7_SB_S5_SD_S8_SB_S5_SD_SB_S5_PS7_21rocsparse_index_base_SF_SF_SF_bbb,comdat
	.globl	_ZN9rocsparseL41csrgemm_numeric_fill_block_per_row_kernelILj1024ELj64ELj4096ELj137ELj64Eii21rocsparse_complex_numIfEEEvT5_PKS3_S5_NS_24const_host_device_scalarIT6_EEPKT4_S5_PKS7_SB_S5_SD_S8_SB_S5_SD_SB_S5_PS7_21rocsparse_index_base_SF_SF_SF_bbb ; -- Begin function _ZN9rocsparseL41csrgemm_numeric_fill_block_per_row_kernelILj1024ELj64ELj4096ELj137ELj64Eii21rocsparse_complex_numIfEEEvT5_PKS3_S5_NS_24const_host_device_scalarIT6_EEPKT4_S5_PKS7_SB_S5_SD_S8_SB_S5_SD_SB_S5_PS7_21rocsparse_index_base_SF_SF_SF_bbb
	.p2align	8
	.type	_ZN9rocsparseL41csrgemm_numeric_fill_block_per_row_kernelILj1024ELj64ELj4096ELj137ELj64Eii21rocsparse_complex_numIfEEEvT5_PKS3_S5_NS_24const_host_device_scalarIT6_EEPKT4_S5_PKS7_SB_S5_SD_S8_SB_S5_SD_SB_S5_PS7_21rocsparse_index_base_SF_SF_SF_bbb,@function
_ZN9rocsparseL41csrgemm_numeric_fill_block_per_row_kernelILj1024ELj64ELj4096ELj137ELj64Eii21rocsparse_complex_numIfEEEvT5_PKS3_S5_NS_24const_host_device_scalarIT6_EEPKT4_S5_PKS7_SB_S5_SD_S8_SB_S5_SD_SB_S5_PS7_21rocsparse_index_base_SF_SF_SF_bbb: ; @_ZN9rocsparseL41csrgemm_numeric_fill_block_per_row_kernelILj1024ELj64ELj4096ELj137ELj64Eii21rocsparse_complex_numIfEEEvT5_PKS3_S5_NS_24const_host_device_scalarIT6_EEPKT4_S5_PKS7_SB_S5_SD_S8_SB_S5_SD_SB_S5_PS7_21rocsparse_index_base_SF_SF_SF_bbb
; %bb.0:
	s_clause 0x7
	s_load_b32 s33, s[0:1], 0x98
	s_load_b128 s[16:19], s[0:1], 0x88
	s_load_b64 s[24:25], s[0:1], 0x80
	s_load_b128 s[4:7], s[0:1], 0x60
	s_load_b128 s[20:23], s[0:1], 0x8
	s_load_b64 s[2:3], s[0:1], 0x28
	s_load_b128 s[8:11], s[0:1], 0x40
	s_load_b64 s[36:37], s[0:1], 0x50
	s_mov_b32 s29, 0
	s_mov_b32 s39, 0
	s_wait_kmcnt 0x0
	s_bitcmp1_b32 s33, 0
	s_cselect_b32 s41, -1, 0
	s_bitcmp1_b32 s33, 16
	s_cselect_b32 s12, -1, 0
	s_delay_alu instid0(SALU_CYCLE_1) | instskip(SKIP_2) | instid1(VALU_DEP_1)
	s_xor_b32 s12, s12, -1
	s_bitcmp0_b32 s33, 0
	v_cndmask_b32_e64 v1, 0, 1, s12
	v_cmp_ne_u32_e32 vcc_lo, 1, v1
	s_cbranch_scc1 .LBB51_5
; %bb.1:
	s_load_b64 s[28:29], s[0:1], 0x18
	s_and_b32 vcc_lo, exec_lo, vcc_lo
	s_wait_kmcnt 0x0
	s_mov_b32 s39, s28
	s_cbranch_vccnz .LBB51_3
; %bb.2:
	s_load_b32 s39, s[28:29], 0x0
.LBB51_3:
	s_and_not1_b32 vcc_lo, exec_lo, s12
	s_cbranch_vccnz .LBB51_5
; %bb.4:
	s_wait_xcnt 0x0
	s_load_b32 s29, s[28:29], 0x4
.LBB51_5:
	s_clause 0x3
	s_load_b64 s[26:27], s[0:1], 0x70
	s_load_b64 s[30:31], s[0:1], 0x58
	;; [unrolled: 1-line block ×3, first 2 shown]
	s_load_b128 s[12:15], s[0:1], 0x30
	s_bitcmp1_b32 s33, 8
	s_mov_b32 s38, 0
	s_cselect_b32 s40, -1, 0
	s_wait_xcnt 0x0
	s_bfe_u32 s28, s33, 0x10008
	s_mov_b32 s33, 0
	s_cmp_eq_u32 s28, 0
	s_cbranch_scc1 .LBB51_11
; %bb.6:
	v_cmp_ne_u32_e32 vcc_lo, 1, v1
	s_mov_b32 s33, s36
	s_cbranch_vccnz .LBB51_8
; %bb.7:
	s_load_b32 s33, s[36:37], 0x0
.LBB51_8:
	v_cmp_ne_u32_e32 vcc_lo, 1, v1
	s_cbranch_vccnz .LBB51_10
; %bb.9:
	s_wait_xcnt 0x0
	s_load_b32 s37, s[36:37], 0x4
.LBB51_10:
	s_wait_kmcnt 0x0
	s_mov_b32 s38, s37
.LBB51_11:
	s_load_b32 s28, s[0:1], 0x0
	v_lshl_add_u32 v1, v0, 2, 0
	v_lshlrev_b32_e32 v2, 3, v0
	v_or_b32_e32 v6, 0xfffffc00, v0
	s_wait_xcnt 0x0
	s_mov_b32 s0, 0
	v_mov_b32_e32 v3, v1
	v_add3_u32 v7, v2, 0, 0x4000
	v_dual_mov_b32 v2, 0 :: v_dual_mov_b32 v4, v6
	s_wait_kmcnt 0x0
	s_delay_alu instid0(VALU_DEP_2)
	v_dual_mov_b32 v8, v7 :: v_dual_mov_b32 v5, s28
.LBB51_12:                              ; =>This Inner Loop Header: Depth=1
	s_delay_alu instid0(VALU_DEP_2)
	v_add_nc_u32_e32 v4, 0x400, v4
	ds_store_b32 v3, v5
	ds_store_2addr_b32 v8, v2, v2 offset1:1
	v_add_nc_u32_e32 v8, 0x2000, v8
	v_add_nc_u32_e32 v3, 0x1000, v3
	v_cmp_lt_u32_e32 vcc_lo, 0xbff, v4
	s_or_b32 s0, vcc_lo, s0
	s_delay_alu instid0(SALU_CYCLE_1)
	s_and_not1_b32 exec_lo, exec_lo, s0
	s_cbranch_execnz .LBB51_12
; %bb.13:
	s_or_b32 exec_lo, exec_lo, s0
	s_wait_dscnt 0x0
	s_barrier_signal -1
	s_barrier_wait -1
	s_load_b32 s0, s[20:21], 0x0
	s_bfe_u32 s1, ttmp6, 0x4000c
	s_wait_xcnt 0x0
	s_and_b32 s20, ttmp6, 15
	s_add_co_i32 s1, s1, 1
	s_getreg_b32 s21, hwreg(HW_REG_IB_STS2, 6, 4)
	s_mul_i32 s1, ttmp9, s1
	v_lshrrev_b32_e32 v8, 6, v0
	s_add_co_i32 s20, s20, s1
	s_cmp_eq_u32 s21, 0
	s_cselect_b32 s1, ttmp9, s20
	s_and_b32 vcc_lo, exec_lo, s41
	s_wait_kmcnt 0x0
	s_add_co_i32 s0, s0, s1
	s_load_b32 s20, s[22:23], s0 offset:0x0 scale_offset
	s_cbranch_vccz .LBB51_31
; %bb.14:
	s_wait_kmcnt 0x0
	s_ashr_i32 s21, s20, 31
	v_subrev_nc_u32_e32 v2, s16, v8
	s_lshl_b64 s[0:1], s[20:21], 2
	s_delay_alu instid0(SALU_CYCLE_1)
	s_add_nc_u64 s[0:1], s[34:35], s[0:1]
	s_load_b64 s[22:23], s[0:1], 0x0
	s_wait_xcnt 0x0
	s_mov_b32 s1, exec_lo
	s_wait_kmcnt 0x0
	v_add_nc_u32_e32 v2, s22, v2
	s_sub_co_i32 s0, s23, s16
	s_delay_alu instid0(VALU_DEP_1) | instid1(SALU_CYCLE_1)
	v_cmpx_gt_i32_e64 s0, v2
	s_cbranch_execz .LBB51_30
; %bb.15:
	v_and_b32_e32 v3, 63, v0
	s_mov_b32 s21, 0
	s_delay_alu instid0(VALU_DEP_1)
	v_subrev_nc_u32_e32 v9, s17, v3
	s_branch .LBB51_17
.LBB51_16:                              ;   in Loop: Header=BB51_17 Depth=1
	s_or_b32 exec_lo, exec_lo, s22
	v_add_nc_u32_e32 v2, 16, v2
	s_delay_alu instid0(VALU_DEP_1) | instskip(SKIP_1) | instid1(SALU_CYCLE_1)
	v_cmp_le_i32_e32 vcc_lo, s0, v2
	s_or_b32 s21, vcc_lo, s21
	s_and_not1_b32 exec_lo, exec_lo, s21
	s_cbranch_execz .LBB51_30
.LBB51_17:                              ; =>This Loop Header: Depth=1
                                        ;     Child Loop BB51_21 Depth 2
                                        ;       Child Loop BB51_24 Depth 3
	global_load_b32 v3, v2, s[2:3] scale_offset
	s_mov_b32 s22, exec_lo
	s_wait_loadcnt 0x0
	v_subrev_nc_u32_e32 v4, s16, v3
	s_delay_alu instid0(VALU_DEP_1) | instskip(NEXT) | instid1(VALU_DEP_1)
	v_ashrrev_i32_e32 v5, 31, v4
	v_lshl_add_u64 v[4:5], v[4:5], 2, s[14:15]
	global_load_b64 v[4:5], v[4:5], off
	s_wait_loadcnt 0x0
	v_subrev_nc_u32_e32 v10, s17, v5
	v_add_nc_u32_e32 v11, v4, v9
	s_wait_xcnt 0x0
	s_delay_alu instid0(VALU_DEP_1)
	v_cmpx_lt_i32_e64 v11, v10
	s_cbranch_execz .LBB51_16
; %bb.18:                               ;   in Loop: Header=BB51_17 Depth=1
	v_ashrrev_i32_e32 v3, 31, v2
	s_mov_b32 s23, 0
	s_delay_alu instid0(VALU_DEP_1) | instskip(SKIP_3) | instid1(VALU_DEP_1)
	v_lshl_add_u64 v[4:5], v[2:3], 3, s[12:13]
	global_load_b64 v[4:5], v[4:5], off
	s_wait_loadcnt 0x0
	v_mul_f32_e64 v3, v5, -s29
	v_dual_mul_f32 v12, s39, v5 :: v_dual_fmac_f32 v3, s39, v4
	s_delay_alu instid0(VALU_DEP_1)
	v_fmac_f32_e32 v12, s29, v4
	s_branch .LBB51_21
.LBB51_19:                              ;   in Loop: Header=BB51_21 Depth=2
	s_or_b32 exec_lo, exec_lo, s35
.LBB51_20:                              ;   in Loop: Header=BB51_21 Depth=2
	s_delay_alu instid0(SALU_CYCLE_1) | instskip(SKIP_3) | instid1(VALU_DEP_2)
	s_or_b32 exec_lo, exec_lo, s34
	s_wait_loadcnt 0x0
	v_dual_mul_f32 v14, v5, -v12 :: v_dual_mul_f32 v5, v3, v5
	v_lshl_add_u32 v13, v13, 3, 0
	v_dual_fmac_f32 v14, v3, v4 :: v_dual_add_nc_u32 v11, 64, v11
	s_delay_alu instid0(VALU_DEP_3) | instskip(SKIP_4) | instid1(SALU_CYCLE_1)
	v_fmac_f32_e32 v5, v12, v4
	ds_add_f32 v13, v14 offset:16384
	ds_add_f32 v13, v5 offset:16388
	v_cmp_ge_i32_e32 vcc_lo, v11, v10
	s_or_b32 s23, vcc_lo, s23
	s_and_not1_b32 exec_lo, exec_lo, s23
	s_cbranch_execz .LBB51_16
.LBB51_21:                              ;   Parent Loop BB51_17 Depth=1
                                        ; =>  This Loop Header: Depth=2
                                        ;       Child Loop BB51_24 Depth 3
	s_clause 0x1
	global_load_b32 v13, v11, s[8:9] scale_offset
	global_load_b64 v[4:5], v11, s[10:11] scale_offset
	s_mov_b32 s34, exec_lo
	s_wait_loadcnt 0x1
	v_subrev_nc_u32_e32 v14, s17, v13
	s_delay_alu instid0(VALU_DEP_1) | instskip(NEXT) | instid1(VALU_DEP_1)
	v_mul_lo_u32 v13, 0x89, v14
	v_and_b32_e32 v13, 0xfff, v13
	s_delay_alu instid0(VALU_DEP_1)
	v_lshl_add_u32 v15, v13, 2, 0
	ds_load_b32 v16, v15
	s_wait_dscnt 0x0
	s_wait_xcnt 0x0
	v_cmpx_ne_u32_e64 v16, v14
	s_cbranch_execz .LBB51_20
; %bb.22:                               ;   in Loop: Header=BB51_21 Depth=2
	s_mov_b32 s35, 0
	s_branch .LBB51_24
.LBB51_23:                              ;   in Loop: Header=BB51_24 Depth=3
	s_or_b32 exec_lo, exec_lo, s41
	s_delay_alu instid0(SALU_CYCLE_1) | instskip(NEXT) | instid1(SALU_CYCLE_1)
	s_and_b32 s36, exec_lo, s37
	s_or_b32 s35, s36, s35
	s_delay_alu instid0(SALU_CYCLE_1)
	s_and_not1_b32 exec_lo, exec_lo, s35
	s_cbranch_execz .LBB51_19
.LBB51_24:                              ;   Parent Loop BB51_17 Depth=1
                                        ;     Parent Loop BB51_21 Depth=2
                                        ; =>    This Inner Loop Header: Depth=3
	s_mov_b32 s36, 0
	s_mov_b32 s37, exec_lo
	v_cmpx_ne_u32_e64 s28, v16
	s_xor_b32 s37, exec_lo, s37
	s_cbranch_execz .LBB51_26
; %bb.25:                               ;   in Loop: Header=BB51_24 Depth=3
	v_add_nc_u32_e32 v13, 1, v13
	s_mov_b32 s36, exec_lo
                                        ; implicit-def: $vgpr15
	s_delay_alu instid0(VALU_DEP_1)
	v_and_b32_e32 v13, 0xfff, v13
	s_and_not1_saveexec_b32 s37, s37
	s_cbranch_execz .LBB51_28
	s_branch .LBB51_27
.LBB51_26:                              ;   in Loop: Header=BB51_24 Depth=3
	s_and_not1_saveexec_b32 s37, s37
	s_cbranch_execz .LBB51_28
.LBB51_27:                              ;   in Loop: Header=BB51_24 Depth=3
	v_mov_b32_e32 v16, s28
	s_and_not1_b32 s36, s36, exec_lo
	ds_cmpstore_rtn_b32 v15, v15, v14, v16
	s_wait_dscnt 0x0
	v_cmp_ne_u32_e32 vcc_lo, s28, v15
	s_and_b32 s41, vcc_lo, exec_lo
	s_delay_alu instid0(SALU_CYCLE_1)
	s_or_b32 s36, s36, s41
.LBB51_28:                              ;   in Loop: Header=BB51_24 Depth=3
	s_or_b32 exec_lo, exec_lo, s37
	s_mov_b32 s37, -1
                                        ; implicit-def: $vgpr15
                                        ; implicit-def: $vgpr16
	s_and_saveexec_b32 s41, s36
	s_cbranch_execz .LBB51_23
; %bb.29:                               ;   in Loop: Header=BB51_24 Depth=3
	v_lshl_add_u32 v15, v13, 2, 0
	ds_load_b32 v16, v15
	s_wait_dscnt 0x0
	v_cmp_eq_u32_e32 vcc_lo, v16, v14
	s_or_not1_b32 s37, vcc_lo, exec_lo
	s_branch .LBB51_23
.LBB51_30:
	s_or_b32 exec_lo, exec_lo, s1
.LBB51_31:
	s_delay_alu instid0(SALU_CYCLE_1)
	s_and_not1_b32 vcc_lo, exec_lo, s40
	s_cbranch_vccnz .LBB51_46
; %bb.32:
	s_wait_kmcnt 0x0
	s_ashr_i32 s21, s20, 31
	v_subrev_nc_u32_e32 v2, s19, v0
	s_lshl_b64 s[0:1], s[20:21], 2
	s_delay_alu instid0(SALU_CYCLE_1)
	s_add_nc_u64 s[0:1], s[30:31], s[0:1]
	s_load_b64 s[2:3], s[0:1], 0x0
	s_wait_xcnt 0x0
	s_mov_b32 s1, exec_lo
	s_wait_kmcnt 0x0
	v_add_nc_u32_e32 v4, s2, v2
	s_sub_co_i32 s0, s3, s19
	s_delay_alu instid0(VALU_DEP_1) | instid1(SALU_CYCLE_1)
	v_cmpx_gt_i32_e64 s0, v4
	s_cbranch_execz .LBB51_45
; %bb.33:
	s_mov_b32 s2, 0
	s_branch .LBB51_36
.LBB51_34:                              ;   in Loop: Header=BB51_36 Depth=1
	s_or_b32 exec_lo, exec_lo, s8
.LBB51_35:                              ;   in Loop: Header=BB51_36 Depth=1
	s_delay_alu instid0(SALU_CYCLE_1) | instskip(SKIP_4) | instid1(VALU_DEP_3)
	s_or_b32 exec_lo, exec_lo, s3
	s_wait_loadcnt 0x0
	v_mul_f32_e64 v9, v3, -s38
	v_mul_f32_e32 v3, s33, v3
	v_lshl_add_u32 v5, v5, 3, 0
	v_dual_fmac_f32 v9, s33, v2 :: v_dual_add_nc_u32 v4, 0x400, v4
	s_delay_alu instid0(VALU_DEP_3) | instskip(SKIP_4) | instid1(SALU_CYCLE_1)
	v_fmac_f32_e32 v3, s38, v2
	ds_add_f32 v5, v9 offset:16384
	ds_add_f32 v5, v3 offset:16388
	v_cmp_le_i32_e32 vcc_lo, s0, v4
	s_or_b32 s2, vcc_lo, s2
	s_and_not1_b32 exec_lo, exec_lo, s2
	s_cbranch_execz .LBB51_45
.LBB51_36:                              ; =>This Loop Header: Depth=1
                                        ;     Child Loop BB51_39 Depth 2
	s_clause 0x1
	global_load_b32 v5, v4, s[4:5] scale_offset
	global_load_b64 v[2:3], v4, s[6:7] scale_offset
	s_mov_b32 s3, exec_lo
	s_wait_loadcnt 0x1
	v_subrev_nc_u32_e32 v9, s19, v5
	s_delay_alu instid0(VALU_DEP_1) | instskip(NEXT) | instid1(VALU_DEP_1)
	v_mul_lo_u32 v5, 0x89, v9
	v_and_b32_e32 v5, 0xfff, v5
	s_delay_alu instid0(VALU_DEP_1)
	v_lshl_add_u32 v10, v5, 2, 0
	ds_load_b32 v11, v10
	s_wait_dscnt 0x0
	s_wait_xcnt 0x0
	v_cmpx_ne_u32_e64 v11, v9
	s_cbranch_execz .LBB51_35
; %bb.37:                               ;   in Loop: Header=BB51_36 Depth=1
	s_mov_b32 s8, 0
	s_branch .LBB51_39
.LBB51_38:                              ;   in Loop: Header=BB51_39 Depth=2
	s_or_b32 exec_lo, exec_lo, s11
	s_delay_alu instid0(SALU_CYCLE_1) | instskip(NEXT) | instid1(SALU_CYCLE_1)
	s_and_b32 s9, exec_lo, s10
	s_or_b32 s8, s9, s8
	s_delay_alu instid0(SALU_CYCLE_1)
	s_and_not1_b32 exec_lo, exec_lo, s8
	s_cbranch_execz .LBB51_34
.LBB51_39:                              ;   Parent Loop BB51_36 Depth=1
                                        ; =>  This Inner Loop Header: Depth=2
	s_mov_b32 s9, 0
	s_mov_b32 s10, exec_lo
	v_cmpx_ne_u32_e64 s28, v11
	s_xor_b32 s10, exec_lo, s10
	s_cbranch_execz .LBB51_41
; %bb.40:                               ;   in Loop: Header=BB51_39 Depth=2
	v_add_nc_u32_e32 v5, 1, v5
	s_mov_b32 s9, exec_lo
                                        ; implicit-def: $vgpr10
	s_delay_alu instid0(VALU_DEP_1)
	v_and_b32_e32 v5, 0xfff, v5
	s_and_not1_saveexec_b32 s10, s10
	s_cbranch_execz .LBB51_43
	s_branch .LBB51_42
.LBB51_41:                              ;   in Loop: Header=BB51_39 Depth=2
	s_and_not1_saveexec_b32 s10, s10
	s_cbranch_execz .LBB51_43
.LBB51_42:                              ;   in Loop: Header=BB51_39 Depth=2
	v_mov_b32_e32 v11, s28
	s_and_not1_b32 s9, s9, exec_lo
	ds_cmpstore_rtn_b32 v10, v10, v9, v11
	s_wait_dscnt 0x0
	v_cmp_ne_u32_e32 vcc_lo, s28, v10
	s_and_b32 s11, vcc_lo, exec_lo
	s_delay_alu instid0(SALU_CYCLE_1)
	s_or_b32 s9, s9, s11
.LBB51_43:                              ;   in Loop: Header=BB51_39 Depth=2
	s_or_b32 exec_lo, exec_lo, s10
	s_mov_b32 s10, -1
                                        ; implicit-def: $vgpr10
                                        ; implicit-def: $vgpr11
	s_and_saveexec_b32 s11, s9
	s_cbranch_execz .LBB51_38
; %bb.44:                               ;   in Loop: Header=BB51_39 Depth=2
	v_lshl_add_u32 v10, v5, 2, 0
	ds_load_b32 v11, v10
	s_wait_dscnt 0x0
	v_cmp_eq_u32_e32 vcc_lo, v11, v9
	s_or_not1_b32 s10, vcc_lo, exec_lo
	s_branch .LBB51_38
.LBB51_45:
	s_or_b32 exec_lo, exec_lo, s1
.LBB51_46:
	v_mbcnt_lo_u32_b32 v2, -1, 0
	v_mov_b32_e32 v3, 0
	v_lshl_add_u32 v8, v8, 2, 0
	s_wait_xcnt 0x0
	v_cmp_lt_u32_e64 s0, 63, v0
	v_cmp_lt_u32_e64 s1, 0x7f, v0
	v_xor_b32_e32 v2, 31, v2
	v_cmp_lt_u32_e64 s2, 0xbf, v0
	v_cmp_lt_u32_e64 s3, 0xff, v0
	;; [unrolled: 1-line block ×4, first 2 shown]
	v_lshrrev_b32_e64 v2, v2, -1
	v_cmp_lt_u32_e64 s6, 0x1bf, v0
	v_cmp_lt_u32_e64 s7, 0x1ff, v0
	;; [unrolled: 1-line block ×9, first 2 shown]
	v_mov_b32_e32 v9, 0
	s_mov_b32 s16, 0
	s_wait_dscnt 0x0
	v_cmp_eq_u32_e32 vcc_lo, 0x3ff, v0
	s_barrier_signal -1
	s_barrier_wait -1
	s_branch .LBB51_48
.LBB51_47:                              ;   in Loop: Header=BB51_48 Depth=1
	s_or_b32 exec_lo, exec_lo, s15
	s_wait_dscnt 0x0
	s_barrier_signal -1
	s_barrier_wait -1
	ds_load_b32 v4, v3 offset:49212
	v_add_nc_u32_e32 v6, 0x400, v6
	v_add_nc_u32_e32 v7, 0x2000, v7
	;; [unrolled: 1-line block ×3, first 2 shown]
	s_delay_alu instid0(VALU_DEP_3)
	v_cmp_lt_u32_e64 s15, 0xbff, v6
	s_or_b32 s16, s15, s16
	s_wait_dscnt 0x0
	v_add_nc_u32_e32 v9, v4, v9
	s_and_not1_b32 exec_lo, exec_lo, s16
	s_cbranch_execz .LBB51_82
.LBB51_48:                              ; =>This Inner Loop Header: Depth=1
	ds_load_b32 v10, v1
	ds_load_2addr_b32 v[4:5], v7 offset1:1
	s_wait_dscnt 0x0
	s_barrier_signal -1
	s_barrier_wait -1
	v_cmp_gt_i32_e64 s15, s28, v10
	s_bcnt1_i32_b32 s17, s15
	s_delay_alu instid0(SALU_CYCLE_1) | instskip(NEXT) | instid1(VALU_DEP_1)
	v_dual_mov_b32 v12, s17 :: v_dual_bitop2_b32 v11, s15, v2 bitop3:0x40
	v_bcnt_u32_b32 v11, v11, 0
	ds_store_b32 v8, v12 offset:49152
	s_wait_dscnt 0x0
	s_barrier_signal -1
	s_barrier_wait -1
	s_and_saveexec_b32 s17, s0
	s_cbranch_execz .LBB51_65
; %bb.49:                               ;   in Loop: Header=BB51_48 Depth=1
	ds_load_b32 v12, v3 offset:49152
	s_wait_dscnt 0x0
	v_add_nc_u32_e32 v11, v12, v11
	s_or_b32 exec_lo, exec_lo, s17
	s_and_saveexec_b32 s17, s1
	s_cbranch_execnz .LBB51_66
.LBB51_50:                              ;   in Loop: Header=BB51_48 Depth=1
	s_or_b32 exec_lo, exec_lo, s17
	s_and_saveexec_b32 s17, s2
	s_cbranch_execz .LBB51_67
.LBB51_51:                              ;   in Loop: Header=BB51_48 Depth=1
	ds_load_b32 v12, v3 offset:49160
	s_wait_dscnt 0x0
	v_add_nc_u32_e32 v11, v12, v11
	s_or_b32 exec_lo, exec_lo, s17
	s_and_saveexec_b32 s17, s3
	s_cbranch_execnz .LBB51_68
.LBB51_52:                              ;   in Loop: Header=BB51_48 Depth=1
	s_or_b32 exec_lo, exec_lo, s17
	s_and_saveexec_b32 s17, s4
	s_cbranch_execz .LBB51_69
.LBB51_53:                              ;   in Loop: Header=BB51_48 Depth=1
	ds_load_b32 v12, v3 offset:49168
	s_wait_dscnt 0x0
	v_add_nc_u32_e32 v11, v12, v11
	s_or_b32 exec_lo, exec_lo, s17
	s_and_saveexec_b32 s17, s5
	s_cbranch_execnz .LBB51_70
.LBB51_54:                              ;   in Loop: Header=BB51_48 Depth=1
	s_or_b32 exec_lo, exec_lo, s17
	s_and_saveexec_b32 s17, s6
	s_cbranch_execz .LBB51_71
.LBB51_55:                              ;   in Loop: Header=BB51_48 Depth=1
	ds_load_b32 v12, v3 offset:49176
	s_wait_dscnt 0x0
	v_add_nc_u32_e32 v11, v12, v11
	s_or_b32 exec_lo, exec_lo, s17
	s_and_saveexec_b32 s17, s7
	s_cbranch_execnz .LBB51_72
.LBB51_56:                              ;   in Loop: Header=BB51_48 Depth=1
	s_or_b32 exec_lo, exec_lo, s17
	s_and_saveexec_b32 s17, s8
	s_cbranch_execz .LBB51_73
.LBB51_57:                              ;   in Loop: Header=BB51_48 Depth=1
	ds_load_b32 v12, v3 offset:49184
	s_wait_dscnt 0x0
	v_add_nc_u32_e32 v11, v12, v11
	s_or_b32 exec_lo, exec_lo, s17
	s_and_saveexec_b32 s17, s9
	s_cbranch_execnz .LBB51_74
.LBB51_58:                              ;   in Loop: Header=BB51_48 Depth=1
	s_or_b32 exec_lo, exec_lo, s17
	s_and_saveexec_b32 s17, s10
	s_cbranch_execz .LBB51_75
.LBB51_59:                              ;   in Loop: Header=BB51_48 Depth=1
	ds_load_b32 v12, v3 offset:49192
	s_wait_dscnt 0x0
	v_add_nc_u32_e32 v11, v12, v11
	s_or_b32 exec_lo, exec_lo, s17
	s_and_saveexec_b32 s17, s11
	s_cbranch_execnz .LBB51_76
.LBB51_60:                              ;   in Loop: Header=BB51_48 Depth=1
	s_or_b32 exec_lo, exec_lo, s17
	s_and_saveexec_b32 s17, s12
	s_cbranch_execz .LBB51_77
.LBB51_61:                              ;   in Loop: Header=BB51_48 Depth=1
	ds_load_b32 v12, v3 offset:49200
	s_wait_dscnt 0x0
	v_add_nc_u32_e32 v11, v12, v11
	s_or_b32 exec_lo, exec_lo, s17
	s_and_saveexec_b32 s17, s13
	s_cbranch_execnz .LBB51_78
.LBB51_62:                              ;   in Loop: Header=BB51_48 Depth=1
	s_or_b32 exec_lo, exec_lo, s17
	s_and_saveexec_b32 s17, s14
	s_cbranch_execz .LBB51_79
.LBB51_63:                              ;   in Loop: Header=BB51_48 Depth=1
	ds_load_b32 v12, v3 offset:49208
	s_wait_dscnt 0x0
	v_add_nc_u32_e32 v11, v12, v11
	s_or_b32 exec_lo, exec_lo, s17
	s_and_saveexec_b32 s17, s15
	s_cbranch_execnz .LBB51_80
.LBB51_64:                              ;   in Loop: Header=BB51_48 Depth=1
	s_or_b32 exec_lo, exec_lo, s17
	s_and_saveexec_b32 s15, vcc_lo
	s_cbranch_execz .LBB51_47
	s_branch .LBB51_81
.LBB51_65:                              ;   in Loop: Header=BB51_48 Depth=1
	s_or_b32 exec_lo, exec_lo, s17
	s_and_saveexec_b32 s17, s1
	s_cbranch_execz .LBB51_50
.LBB51_66:                              ;   in Loop: Header=BB51_48 Depth=1
	ds_load_b32 v12, v3 offset:49156
	s_wait_dscnt 0x0
	v_add_nc_u32_e32 v11, v12, v11
	s_or_b32 exec_lo, exec_lo, s17
	s_and_saveexec_b32 s17, s2
	s_cbranch_execnz .LBB51_51
.LBB51_67:                              ;   in Loop: Header=BB51_48 Depth=1
	s_or_b32 exec_lo, exec_lo, s17
	s_and_saveexec_b32 s17, s3
	s_cbranch_execz .LBB51_52
.LBB51_68:                              ;   in Loop: Header=BB51_48 Depth=1
	ds_load_b32 v12, v3 offset:49164
	s_wait_dscnt 0x0
	v_add_nc_u32_e32 v11, v12, v11
	s_or_b32 exec_lo, exec_lo, s17
	s_and_saveexec_b32 s17, s4
	s_cbranch_execnz .LBB51_53
.LBB51_69:                              ;   in Loop: Header=BB51_48 Depth=1
	s_or_b32 exec_lo, exec_lo, s17
	s_and_saveexec_b32 s17, s5
	s_cbranch_execz .LBB51_54
.LBB51_70:                              ;   in Loop: Header=BB51_48 Depth=1
	ds_load_b32 v12, v3 offset:49172
	s_wait_dscnt 0x0
	v_add_nc_u32_e32 v11, v12, v11
	s_or_b32 exec_lo, exec_lo, s17
	s_and_saveexec_b32 s17, s6
	s_cbranch_execnz .LBB51_55
.LBB51_71:                              ;   in Loop: Header=BB51_48 Depth=1
	s_or_b32 exec_lo, exec_lo, s17
	s_and_saveexec_b32 s17, s7
	s_cbranch_execz .LBB51_56
.LBB51_72:                              ;   in Loop: Header=BB51_48 Depth=1
	ds_load_b32 v12, v3 offset:49180
	s_wait_dscnt 0x0
	v_add_nc_u32_e32 v11, v12, v11
	s_or_b32 exec_lo, exec_lo, s17
	s_and_saveexec_b32 s17, s8
	s_cbranch_execnz .LBB51_57
.LBB51_73:                              ;   in Loop: Header=BB51_48 Depth=1
	s_or_b32 exec_lo, exec_lo, s17
	s_and_saveexec_b32 s17, s9
	s_cbranch_execz .LBB51_58
.LBB51_74:                              ;   in Loop: Header=BB51_48 Depth=1
	ds_load_b32 v12, v3 offset:49188
	s_wait_dscnt 0x0
	v_add_nc_u32_e32 v11, v12, v11
	s_or_b32 exec_lo, exec_lo, s17
	s_and_saveexec_b32 s17, s10
	s_cbranch_execnz .LBB51_59
.LBB51_75:                              ;   in Loop: Header=BB51_48 Depth=1
	s_or_b32 exec_lo, exec_lo, s17
	s_and_saveexec_b32 s17, s11
	s_cbranch_execz .LBB51_60
.LBB51_76:                              ;   in Loop: Header=BB51_48 Depth=1
	ds_load_b32 v12, v3 offset:49196
	s_wait_dscnt 0x0
	v_add_nc_u32_e32 v11, v12, v11
	s_or_b32 exec_lo, exec_lo, s17
	s_and_saveexec_b32 s17, s12
	s_cbranch_execnz .LBB51_61
.LBB51_77:                              ;   in Loop: Header=BB51_48 Depth=1
	s_or_b32 exec_lo, exec_lo, s17
	s_and_saveexec_b32 s17, s13
	s_cbranch_execz .LBB51_62
.LBB51_78:                              ;   in Loop: Header=BB51_48 Depth=1
	ds_load_b32 v12, v3 offset:49204
	s_wait_dscnt 0x0
	v_add_nc_u32_e32 v11, v12, v11
	s_or_b32 exec_lo, exec_lo, s17
	s_and_saveexec_b32 s17, s14
	s_cbranch_execnz .LBB51_63
.LBB51_79:                              ;   in Loop: Header=BB51_48 Depth=1
	s_or_b32 exec_lo, exec_lo, s17
	s_and_saveexec_b32 s17, s15
	s_cbranch_execz .LBB51_64
.LBB51_80:                              ;   in Loop: Header=BB51_48 Depth=1
	s_delay_alu instid0(VALU_DEP_1) | instskip(SKIP_1) | instid1(VALU_DEP_2)
	v_add3_u32 v12, v9, -1, v11
	v_add_lshl_u32 v13, v9, v11, 3
	v_lshl_add_u32 v12, v12, 2, 0
	s_delay_alu instid0(VALU_DEP_2)
	v_add3_u32 v13, 0, v13, 0x3ff8
	ds_store_b32 v12, v10
	ds_store_2addr_b32 v13, v4, v5 offset1:1
	s_or_b32 exec_lo, exec_lo, s17
	s_and_saveexec_b32 s15, vcc_lo
	s_cbranch_execz .LBB51_47
.LBB51_81:                              ;   in Loop: Header=BB51_48 Depth=1
	ds_store_b32 v3, v11 offset:49212
	s_branch .LBB51_47
.LBB51_82:
	s_or_b32 exec_lo, exec_lo, s16
	s_wait_kmcnt 0x0
	s_ashr_i32 s21, s20, 31
	s_delay_alu instid0(SALU_CYCLE_1) | instskip(NEXT) | instid1(SALU_CYCLE_1)
	s_lshl_b64 s[0:1], s[20:21], 2
	s_add_nc_u64 s[2:3], s[26:27], s[0:1]
	s_load_b64 s[0:1], s[2:3], 0x0
	s_wait_kmcnt 0x0
	s_sub_co_i32 s4, s1, s0
	s_mov_b32 s1, exec_lo
	v_cmpx_gt_i32_e64 s4, v0
	s_cbranch_execz .LBB51_96
; %bb.83:
	v_sub_co_u32 v1, s1, s4, 2
	s_sub_co_i32 s2, s0, s18
	s_xor_b32 s6, s1, -1
	s_and_b32 s5, s4, -2
	v_readfirstlane_b32 s3, v1
	s_lshr_b32 s0, s3, 1
	s_mov_b32 s3, 0
	s_add_co_i32 s0, s0, 1
	s_mov_b32 s11, s3
	s_and_b32 s1, s0, 7
	s_and_b32 s7, s0, -8
	s_cmp_lg_u32 s1, 0
	v_cmp_lt_u32_e64 s0, 13, v1
	s_cselect_b32 s8, -1, 0
	s_cmp_lg_u32 s4, s5
	s_cselect_b32 s9, -1, 0
	s_lshl_b32 s10, s1, 3
	s_branch .LBB51_85
.LBB51_84:                              ;   in Loop: Header=BB51_85 Depth=1
	v_add_nc_u32_e32 v0, 0x400, v0
	s_wait_dscnt 0x0
	global_store_b64 v4, v[2:3], s[24:25] scale_offset
	v_cmp_le_i32_e32 vcc_lo, s4, v0
	s_or_b32 s11, vcc_lo, s11
	s_wait_xcnt 0x0
	s_and_not1_b32 exec_lo, exec_lo, s11
	s_cbranch_execz .LBB51_96
.LBB51_85:                              ; =>This Loop Header: Depth=1
                                        ;     Child Loop BB51_88 Depth 2
                                        ;     Child Loop BB51_91 Depth 2
	;; [unrolled: 1-line block ×3, first 2 shown]
	v_dual_mov_b32 v4, s2 :: v_dual_lshlrev_b32 v1, 2, v0
	s_and_not1_b32 vcc_lo, exec_lo, s6
	s_mov_b32 s1, 0
	s_mov_b32 s12, -1
	s_delay_alu instid0(VALU_DEP_1) | instskip(NEXT) | instid1(VALU_DEP_1)
	v_add_nc_u32_e32 v2, 0, v1
	v_add3_u32 v3, v2, v1, 0x4000
	ds_load_b32 v1, v2
	ds_load_2addr_b32 v[2:3], v3 offset1:1
	s_cbranch_vccnz .LBB51_93
; %bb.86:                               ;   in Loop: Header=BB51_85 Depth=1
	v_mov_b64_e32 v[4:5], s[2:3]
	s_and_not1_b32 vcc_lo, exec_lo, s0
	s_mov_b32 s12, 0
	s_cbranch_vccnz .LBB51_89
; %bb.87:                               ;   in Loop: Header=BB51_85 Depth=1
	v_dual_mov_b32 v4, s2 :: v_dual_mov_b32 v5, 0
	s_mov_b32 s13, 0
	s_mov_b32 s14, s7
.LBB51_88:                              ;   Parent Loop BB51_85 Depth=1
                                        ; =>  This Inner Loop Header: Depth=2
	v_mov_b32_e32 v20, s13
	s_add_co_i32 s14, s14, -8
	s_add_co_i32 s12, s12, 16
	s_add_co_i32 s13, s13, 64
	s_cmp_lg_u32 s14, 0
	ds_load_2addr_b32 v[6:7], v20 offset1:1
	ds_load_2addr_b32 v[8:9], v20 offset0:2 offset1:3
	ds_load_2addr_b32 v[10:11], v20 offset0:4 offset1:5
	ds_load_2addr_b32 v[12:13], v20 offset0:8 offset1:9
	ds_load_2addr_b32 v[14:15], v20 offset0:12 offset1:13
	ds_load_2addr_b32 v[16:17], v20 offset0:6 offset1:7
	ds_load_2addr_b32 v[18:19], v20 offset0:10 offset1:11
	ds_load_2addr_b32 v[20:21], v20 offset0:14 offset1:15
	s_wait_dscnt 0x7
	v_cmp_gt_i32_e32 vcc_lo, v1, v7
	s_wait_dscnt 0x5
	v_cmp_gt_i32_e64 s1, v1, v10
	v_cndmask_b32_e64 v7, 0, 1, vcc_lo
	v_cmp_gt_i32_e32 vcc_lo, v1, v6
	v_cndmask_b32_e64 v6, 0, 1, vcc_lo
	v_cmp_gt_i32_e32 vcc_lo, v1, v8
	v_cndmask_b32_e64 v8, 0, 1, s1
	v_cmp_gt_i32_e64 s1, v1, v11
	s_delay_alu instid0(VALU_DEP_4) | instskip(NEXT) | instid1(VALU_DEP_2)
	v_add_co_ci_u32_e64 v4, null, v4, v6, vcc_lo
	v_cndmask_b32_e64 v10, 0, 1, s1
	s_wait_dscnt 0x4
	v_cmp_gt_i32_e64 s1, v1, v13
	s_wait_dscnt 0x2
	v_cmp_gt_i32_e32 vcc_lo, v1, v16
	s_delay_alu instid0(VALU_DEP_2) | instskip(SKIP_4) | instid1(VALU_DEP_3)
	v_cndmask_b32_e64 v11, 0, 1, s1
	v_cmp_gt_i32_e64 s1, v1, v12
	v_add_co_ci_u32_e64 v4, null, v4, v8, vcc_lo
	s_wait_dscnt 0x1
	v_cmp_gt_i32_e32 vcc_lo, v1, v18
	v_cndmask_b32_e64 v12, 0, 1, s1
	v_cmp_gt_i32_e64 s1, v1, v14
	s_delay_alu instid0(VALU_DEP_2) | instskip(NEXT) | instid1(VALU_DEP_2)
	v_add_co_ci_u32_e64 v4, null, v4, v12, vcc_lo
	v_cndmask_b32_e64 v13, 0, 1, s1
	v_cmp_gt_i32_e64 s1, v1, v15
	s_wait_dscnt 0x0
	v_cmp_gt_i32_e32 vcc_lo, v1, v20
	s_delay_alu instid0(VALU_DEP_2) | instskip(SKIP_2) | instid1(VALU_DEP_2)
	v_cndmask_b32_e64 v14, 0, 1, s1
	v_cmp_gt_i32_e64 s1, v1, v9
	v_add_co_ci_u32_e64 v4, null, v4, v13, vcc_lo
	v_add_co_ci_u32_e64 v5, null, v5, v7, s1
	v_cmp_gt_i32_e64 s1, v1, v17
	s_delay_alu instid0(VALU_DEP_1) | instskip(SKIP_1) | instid1(VALU_DEP_1)
	v_add_co_ci_u32_e64 v5, null, v5, v10, s1
	v_cmp_gt_i32_e64 s1, v1, v19
	v_add_co_ci_u32_e64 v5, null, v5, v11, s1
	v_cmp_gt_i32_e64 s1, v1, v21
	s_delay_alu instid0(VALU_DEP_1)
	v_add_co_ci_u32_e64 v5, null, v5, v14, s1
	s_cbranch_scc1 .LBB51_88
.LBB51_89:                              ;   in Loop: Header=BB51_85 Depth=1
	s_and_not1_b32 vcc_lo, exec_lo, s8
	s_cbranch_vccnz .LBB51_92
; %bb.90:                               ;   in Loop: Header=BB51_85 Depth=1
	s_lshl_b32 s1, s12, 2
	s_mov_b32 s12, s10
	s_add_co_i32 s1, s1, 0
.LBB51_91:                              ;   Parent Loop BB51_85 Depth=1
                                        ; =>  This Inner Loop Header: Depth=2
	s_delay_alu instid0(SALU_CYCLE_1)
	v_mov_b32_e32 v6, s1
	s_add_co_i32 s12, s12, -8
	s_add_co_i32 s1, s1, 8
	s_cmp_lg_u32 s12, 0
	ds_load_2addr_b32 v[6:7], v6 offset1:1
	s_wait_dscnt 0x0
	v_cmp_gt_i32_e32 vcc_lo, v1, v7
	v_add_co_ci_u32_e64 v5, null, 0, v5, vcc_lo
	v_cmp_gt_i32_e32 vcc_lo, v1, v6
	v_add_co_ci_u32_e64 v4, null, 0, v4, vcc_lo
	s_cbranch_scc1 .LBB51_91
.LBB51_92:                              ;   in Loop: Header=BB51_85 Depth=1
	s_delay_alu instid0(VALU_DEP_1)
	v_add_nc_u32_e32 v4, v4, v5
	s_mov_b32 s1, s5
	s_mov_b32 s12, s9
.LBB51_93:                              ;   in Loop: Header=BB51_85 Depth=1
	s_delay_alu instid0(SALU_CYCLE_1)
	s_and_b32 vcc_lo, exec_lo, s12
	s_cbranch_vccz .LBB51_84
; %bb.94:                               ;   in Loop: Header=BB51_85 Depth=1
	s_lshl_b32 s12, s1, 2
	s_delay_alu instid0(SALU_CYCLE_1)
	s_add_co_i32 s12, s12, 0
.LBB51_95:                              ;   Parent Loop BB51_85 Depth=1
                                        ; =>  This Inner Loop Header: Depth=2
	s_delay_alu instid0(SALU_CYCLE_1)
	v_mov_b32_e32 v5, s12
	s_add_co_i32 s1, s1, 1
	s_add_co_i32 s12, s12, 4
	s_cmp_ge_i32 s1, s4
	ds_load_b32 v5, v5
	s_wait_dscnt 0x0
	v_cmp_gt_i32_e32 vcc_lo, v1, v5
	v_add_co_ci_u32_e64 v4, null, 0, v4, vcc_lo
	s_cbranch_scc0 .LBB51_95
	s_branch .LBB51_84
.LBB51_96:
	s_endpgm
	.section	.rodata,"a",@progbits
	.p2align	6, 0x0
	.amdhsa_kernel _ZN9rocsparseL41csrgemm_numeric_fill_block_per_row_kernelILj1024ELj64ELj4096ELj137ELj64Eii21rocsparse_complex_numIfEEEvT5_PKS3_S5_NS_24const_host_device_scalarIT6_EEPKT4_S5_PKS7_SB_S5_SD_S8_SB_S5_SD_SB_S5_PS7_21rocsparse_index_base_SF_SF_SF_bbb
		.amdhsa_group_segment_fixed_size 0
		.amdhsa_private_segment_fixed_size 0
		.amdhsa_kernarg_size 156
		.amdhsa_user_sgpr_count 2
		.amdhsa_user_sgpr_dispatch_ptr 0
		.amdhsa_user_sgpr_queue_ptr 0
		.amdhsa_user_sgpr_kernarg_segment_ptr 1
		.amdhsa_user_sgpr_dispatch_id 0
		.amdhsa_user_sgpr_kernarg_preload_length 0
		.amdhsa_user_sgpr_kernarg_preload_offset 0
		.amdhsa_user_sgpr_private_segment_size 0
		.amdhsa_wavefront_size32 1
		.amdhsa_uses_dynamic_stack 0
		.amdhsa_enable_private_segment 0
		.amdhsa_system_sgpr_workgroup_id_x 1
		.amdhsa_system_sgpr_workgroup_id_y 0
		.amdhsa_system_sgpr_workgroup_id_z 0
		.amdhsa_system_sgpr_workgroup_info 0
		.amdhsa_system_vgpr_workitem_id 0
		.amdhsa_next_free_vgpr 22
		.amdhsa_next_free_sgpr 42
		.amdhsa_named_barrier_count 0
		.amdhsa_reserve_vcc 1
		.amdhsa_float_round_mode_32 0
		.amdhsa_float_round_mode_16_64 0
		.amdhsa_float_denorm_mode_32 3
		.amdhsa_float_denorm_mode_16_64 3
		.amdhsa_fp16_overflow 0
		.amdhsa_memory_ordered 1
		.amdhsa_forward_progress 1
		.amdhsa_inst_pref_size 28
		.amdhsa_round_robin_scheduling 0
		.amdhsa_exception_fp_ieee_invalid_op 0
		.amdhsa_exception_fp_denorm_src 0
		.amdhsa_exception_fp_ieee_div_zero 0
		.amdhsa_exception_fp_ieee_overflow 0
		.amdhsa_exception_fp_ieee_underflow 0
		.amdhsa_exception_fp_ieee_inexact 0
		.amdhsa_exception_int_div_zero 0
	.end_amdhsa_kernel
	.section	.text._ZN9rocsparseL41csrgemm_numeric_fill_block_per_row_kernelILj1024ELj64ELj4096ELj137ELj64Eii21rocsparse_complex_numIfEEEvT5_PKS3_S5_NS_24const_host_device_scalarIT6_EEPKT4_S5_PKS7_SB_S5_SD_S8_SB_S5_SD_SB_S5_PS7_21rocsparse_index_base_SF_SF_SF_bbb,"axG",@progbits,_ZN9rocsparseL41csrgemm_numeric_fill_block_per_row_kernelILj1024ELj64ELj4096ELj137ELj64Eii21rocsparse_complex_numIfEEEvT5_PKS3_S5_NS_24const_host_device_scalarIT6_EEPKT4_S5_PKS7_SB_S5_SD_S8_SB_S5_SD_SB_S5_PS7_21rocsparse_index_base_SF_SF_SF_bbb,comdat
.Lfunc_end51:
	.size	_ZN9rocsparseL41csrgemm_numeric_fill_block_per_row_kernelILj1024ELj64ELj4096ELj137ELj64Eii21rocsparse_complex_numIfEEEvT5_PKS3_S5_NS_24const_host_device_scalarIT6_EEPKT4_S5_PKS7_SB_S5_SD_S8_SB_S5_SD_SB_S5_PS7_21rocsparse_index_base_SF_SF_SF_bbb, .Lfunc_end51-_ZN9rocsparseL41csrgemm_numeric_fill_block_per_row_kernelILj1024ELj64ELj4096ELj137ELj64Eii21rocsparse_complex_numIfEEEvT5_PKS3_S5_NS_24const_host_device_scalarIT6_EEPKT4_S5_PKS7_SB_S5_SD_S8_SB_S5_SD_SB_S5_PS7_21rocsparse_index_base_SF_SF_SF_bbb
                                        ; -- End function
	.set _ZN9rocsparseL41csrgemm_numeric_fill_block_per_row_kernelILj1024ELj64ELj4096ELj137ELj64Eii21rocsparse_complex_numIfEEEvT5_PKS3_S5_NS_24const_host_device_scalarIT6_EEPKT4_S5_PKS7_SB_S5_SD_S8_SB_S5_SD_SB_S5_PS7_21rocsparse_index_base_SF_SF_SF_bbb.num_vgpr, 22
	.set _ZN9rocsparseL41csrgemm_numeric_fill_block_per_row_kernelILj1024ELj64ELj4096ELj137ELj64Eii21rocsparse_complex_numIfEEEvT5_PKS3_S5_NS_24const_host_device_scalarIT6_EEPKT4_S5_PKS7_SB_S5_SD_S8_SB_S5_SD_SB_S5_PS7_21rocsparse_index_base_SF_SF_SF_bbb.num_agpr, 0
	.set _ZN9rocsparseL41csrgemm_numeric_fill_block_per_row_kernelILj1024ELj64ELj4096ELj137ELj64Eii21rocsparse_complex_numIfEEEvT5_PKS3_S5_NS_24const_host_device_scalarIT6_EEPKT4_S5_PKS7_SB_S5_SD_S8_SB_S5_SD_SB_S5_PS7_21rocsparse_index_base_SF_SF_SF_bbb.numbered_sgpr, 42
	.set _ZN9rocsparseL41csrgemm_numeric_fill_block_per_row_kernelILj1024ELj64ELj4096ELj137ELj64Eii21rocsparse_complex_numIfEEEvT5_PKS3_S5_NS_24const_host_device_scalarIT6_EEPKT4_S5_PKS7_SB_S5_SD_S8_SB_S5_SD_SB_S5_PS7_21rocsparse_index_base_SF_SF_SF_bbb.num_named_barrier, 0
	.set _ZN9rocsparseL41csrgemm_numeric_fill_block_per_row_kernelILj1024ELj64ELj4096ELj137ELj64Eii21rocsparse_complex_numIfEEEvT5_PKS3_S5_NS_24const_host_device_scalarIT6_EEPKT4_S5_PKS7_SB_S5_SD_S8_SB_S5_SD_SB_S5_PS7_21rocsparse_index_base_SF_SF_SF_bbb.private_seg_size, 0
	.set _ZN9rocsparseL41csrgemm_numeric_fill_block_per_row_kernelILj1024ELj64ELj4096ELj137ELj64Eii21rocsparse_complex_numIfEEEvT5_PKS3_S5_NS_24const_host_device_scalarIT6_EEPKT4_S5_PKS7_SB_S5_SD_S8_SB_S5_SD_SB_S5_PS7_21rocsparse_index_base_SF_SF_SF_bbb.uses_vcc, 1
	.set _ZN9rocsparseL41csrgemm_numeric_fill_block_per_row_kernelILj1024ELj64ELj4096ELj137ELj64Eii21rocsparse_complex_numIfEEEvT5_PKS3_S5_NS_24const_host_device_scalarIT6_EEPKT4_S5_PKS7_SB_S5_SD_S8_SB_S5_SD_SB_S5_PS7_21rocsparse_index_base_SF_SF_SF_bbb.uses_flat_scratch, 0
	.set _ZN9rocsparseL41csrgemm_numeric_fill_block_per_row_kernelILj1024ELj64ELj4096ELj137ELj64Eii21rocsparse_complex_numIfEEEvT5_PKS3_S5_NS_24const_host_device_scalarIT6_EEPKT4_S5_PKS7_SB_S5_SD_S8_SB_S5_SD_SB_S5_PS7_21rocsparse_index_base_SF_SF_SF_bbb.has_dyn_sized_stack, 0
	.set _ZN9rocsparseL41csrgemm_numeric_fill_block_per_row_kernelILj1024ELj64ELj4096ELj137ELj64Eii21rocsparse_complex_numIfEEEvT5_PKS3_S5_NS_24const_host_device_scalarIT6_EEPKT4_S5_PKS7_SB_S5_SD_S8_SB_S5_SD_SB_S5_PS7_21rocsparse_index_base_SF_SF_SF_bbb.has_recursion, 0
	.set _ZN9rocsparseL41csrgemm_numeric_fill_block_per_row_kernelILj1024ELj64ELj4096ELj137ELj64Eii21rocsparse_complex_numIfEEEvT5_PKS3_S5_NS_24const_host_device_scalarIT6_EEPKT4_S5_PKS7_SB_S5_SD_S8_SB_S5_SD_SB_S5_PS7_21rocsparse_index_base_SF_SF_SF_bbb.has_indirect_call, 0
	.section	.AMDGPU.csdata,"",@progbits
; Kernel info:
; codeLenInByte = 3580
; TotalNumSgprs: 44
; NumVgprs: 22
; ScratchSize: 0
; MemoryBound: 0
; FloatMode: 240
; IeeeMode: 1
; LDSByteSize: 0 bytes/workgroup (compile time only)
; SGPRBlocks: 0
; VGPRBlocks: 1
; NumSGPRsForWavesPerEU: 44
; NumVGPRsForWavesPerEU: 22
; NamedBarCnt: 0
; Occupancy: 16
; WaveLimiterHint : 1
; COMPUTE_PGM_RSRC2:SCRATCH_EN: 0
; COMPUTE_PGM_RSRC2:USER_SGPR: 2
; COMPUTE_PGM_RSRC2:TRAP_HANDLER: 0
; COMPUTE_PGM_RSRC2:TGID_X_EN: 1
; COMPUTE_PGM_RSRC2:TGID_Y_EN: 0
; COMPUTE_PGM_RSRC2:TGID_Z_EN: 0
; COMPUTE_PGM_RSRC2:TIDIG_COMP_CNT: 0
	.section	.text._ZN9rocsparseL41csrgemm_numeric_fill_block_per_row_kernelILj1024ELj64ELj8192ELj137ELj32Eii21rocsparse_complex_numIfEEEvT5_PKS3_S5_NS_24const_host_device_scalarIT6_EEPKT4_S5_PKS7_SB_S5_SD_S8_SB_S5_SD_SB_S5_PS7_21rocsparse_index_base_SF_SF_SF_bbb,"axG",@progbits,_ZN9rocsparseL41csrgemm_numeric_fill_block_per_row_kernelILj1024ELj64ELj8192ELj137ELj32Eii21rocsparse_complex_numIfEEEvT5_PKS3_S5_NS_24const_host_device_scalarIT6_EEPKT4_S5_PKS7_SB_S5_SD_S8_SB_S5_SD_SB_S5_PS7_21rocsparse_index_base_SF_SF_SF_bbb,comdat
	.globl	_ZN9rocsparseL41csrgemm_numeric_fill_block_per_row_kernelILj1024ELj64ELj8192ELj137ELj32Eii21rocsparse_complex_numIfEEEvT5_PKS3_S5_NS_24const_host_device_scalarIT6_EEPKT4_S5_PKS7_SB_S5_SD_S8_SB_S5_SD_SB_S5_PS7_21rocsparse_index_base_SF_SF_SF_bbb ; -- Begin function _ZN9rocsparseL41csrgemm_numeric_fill_block_per_row_kernelILj1024ELj64ELj8192ELj137ELj32Eii21rocsparse_complex_numIfEEEvT5_PKS3_S5_NS_24const_host_device_scalarIT6_EEPKT4_S5_PKS7_SB_S5_SD_S8_SB_S5_SD_SB_S5_PS7_21rocsparse_index_base_SF_SF_SF_bbb
	.p2align	8
	.type	_ZN9rocsparseL41csrgemm_numeric_fill_block_per_row_kernelILj1024ELj64ELj8192ELj137ELj32Eii21rocsparse_complex_numIfEEEvT5_PKS3_S5_NS_24const_host_device_scalarIT6_EEPKT4_S5_PKS7_SB_S5_SD_S8_SB_S5_SD_SB_S5_PS7_21rocsparse_index_base_SF_SF_SF_bbb,@function
_ZN9rocsparseL41csrgemm_numeric_fill_block_per_row_kernelILj1024ELj64ELj8192ELj137ELj32Eii21rocsparse_complex_numIfEEEvT5_PKS3_S5_NS_24const_host_device_scalarIT6_EEPKT4_S5_PKS7_SB_S5_SD_S8_SB_S5_SD_SB_S5_PS7_21rocsparse_index_base_SF_SF_SF_bbb: ; @_ZN9rocsparseL41csrgemm_numeric_fill_block_per_row_kernelILj1024ELj64ELj8192ELj137ELj32Eii21rocsparse_complex_numIfEEEvT5_PKS3_S5_NS_24const_host_device_scalarIT6_EEPKT4_S5_PKS7_SB_S5_SD_S8_SB_S5_SD_SB_S5_PS7_21rocsparse_index_base_SF_SF_SF_bbb
; %bb.0:
	s_clause 0x7
	s_load_b32 s28, s[0:1], 0x98
	s_load_b128 s[36:39], s[0:1], 0x88
	s_load_b64 s[34:35], s[0:1], 0x80
	s_load_b128 s[4:7], s[0:1], 0x60
	s_load_b128 s[16:19], s[0:1], 0x8
	s_load_b64 s[2:3], s[0:1], 0x28
	s_load_b128 s[8:11], s[0:1], 0x40
	s_load_b64 s[26:27], s[0:1], 0x50
	s_mov_b32 s21, 0
	s_mov_b32 s29, 0
	s_wait_kmcnt 0x0
	s_bitcmp1_b32 s28, 0
	s_cselect_b32 s31, -1, 0
	s_bitcmp1_b32 s28, 16
	s_cselect_b32 s12, -1, 0
	s_delay_alu instid0(SALU_CYCLE_1) | instskip(SKIP_2) | instid1(VALU_DEP_1)
	s_xor_b32 s12, s12, -1
	s_bitcmp0_b32 s28, 0
	v_cndmask_b32_e64 v1, 0, 1, s12
	v_cmp_ne_u32_e32 vcc_lo, 1, v1
	s_cbranch_scc1 .LBB52_5
; %bb.1:
	s_load_b64 s[20:21], s[0:1], 0x18
	s_and_b32 vcc_lo, exec_lo, vcc_lo
	s_wait_kmcnt 0x0
	s_mov_b32 s29, s20
	s_cbranch_vccnz .LBB52_3
; %bb.2:
	s_load_b32 s29, s[20:21], 0x0
.LBB52_3:
	s_and_not1_b32 vcc_lo, exec_lo, s12
	s_cbranch_vccnz .LBB52_5
; %bb.4:
	s_wait_xcnt 0x0
	s_load_b32 s21, s[20:21], 0x4
.LBB52_5:
	s_clause 0x3
	s_load_b64 s[40:41], s[0:1], 0x70
	s_load_b64 s[22:23], s[0:1], 0x58
	;; [unrolled: 1-line block ×3, first 2 shown]
	s_load_b128 s[12:15], s[0:1], 0x30
	s_bitcmp1_b32 s28, 8
	s_wait_xcnt 0x0
	s_mov_b32 s20, 0
	s_cselect_b32 s30, -1, 0
	s_bfe_u32 s28, s28, 0x10008
	s_delay_alu instid0(SALU_CYCLE_1)
	s_cmp_eq_u32 s28, 0
	s_mov_b32 s28, 0
	s_cbranch_scc1 .LBB52_11
; %bb.6:
	v_cmp_ne_u32_e32 vcc_lo, 1, v1
	s_mov_b32 s20, s26
	s_cbranch_vccnz .LBB52_8
; %bb.7:
	s_load_b32 s20, s[26:27], 0x0
.LBB52_8:
	v_cmp_ne_u32_e32 vcc_lo, 1, v1
	s_cbranch_vccnz .LBB52_10
; %bb.9:
	s_wait_xcnt 0x0
	s_load_b32 s27, s[26:27], 0x4
.LBB52_10:
	s_wait_kmcnt 0x0
	s_mov_b32 s28, s27
.LBB52_11:
	s_load_b32 s33, s[0:1], 0x0
	v_dual_lshlrev_b32 v2, 2, v0 :: v_dual_lshlrev_b32 v7, 3, v0
	s_wait_xcnt 0x0
	s_bfe_u32 s1, ttmp6, 0x4000c
	v_mov_b32_e32 v4, 0
	s_add_co_i32 s1, s1, 1
	v_add_nc_u32_e32 v1, 0, v2
	v_add3_u32 v3, 0x8000, 0, v7
	s_mul_i32 s1, ttmp9, s1
	s_delay_alu instid0(VALU_DEP_2) | instskip(SKIP_1) | instid1(VALU_DEP_2)
	v_add_nc_u32_e32 v2, v1, v2
	s_wait_kmcnt 0x0
	v_dual_mov_b32 v10, s33 :: v_dual_add_nc_u32 v5, 0x8000, v3
	s_delay_alu instid0(VALU_DEP_2)
	v_dual_mov_b32 v11, s33 :: v_dual_add_nc_u32 v6, 0x8000, v2
	v_dual_mov_b32 v13, s33 :: v_dual_add_nc_u32 v8, 0xa000, v2
	;; [unrolled: 1-line block ×3, first 2 shown]
	ds_store_2addr_b32 v6, v4, v4 offset1:1
	v_mov_b32_e32 v6, s33
	v_add_nc_u32_e32 v2, 0xe000, v2
	v_mov_b32_e32 v14, s33
	ds_store_2addr_stride64_b32 v1, v10, v6 offset1:16
	ds_store_2addr_b32 v8, v4, v4 offset1:1
	ds_store_2addr_b32 v9, v4, v4 offset1:1
	ds_store_2addr_stride64_b32 v1, v11, v12 offset0:32 offset1:48
	ds_store_2addr_b32 v2, v4, v4 offset1:1
	ds_store_b32 v1, v13 offset:16384
	ds_store_2addr_b32 v5, v4, v4 offset1:1
	ds_store_b32 v1, v14 offset:20480
	v_dual_mov_b32 v5, s33 :: v_dual_add_nc_u32 v2, 0xa000, v3
	v_add_nc_u32_e32 v6, 0xc000, v3
	v_dual_mov_b32 v8, s33 :: v_dual_add_nc_u32 v3, 0xe000, v3
	ds_store_2addr_b32 v2, v4, v4 offset1:1
	ds_store_b32 v1, v5 offset:24576
	ds_store_2addr_b32 v6, v4, v4 offset1:1
	ds_store_b32 v1, v8 offset:28672
	ds_store_2addr_b32 v3, v4, v4 offset1:1
	s_wait_dscnt 0x0
	s_barrier_signal -1
	s_barrier_wait -1
	s_load_b32 s0, s[16:17], 0x0
	s_wait_xcnt 0x0
	s_and_b32 s16, ttmp6, 15
	s_getreg_b32 s17, hwreg(HW_REG_IB_STS2, 6, 4)
	s_add_co_i32 s16, s16, s1
	s_cmp_eq_u32 s17, 0
	s_cselect_b32 s1, ttmp9, s16
	s_and_not1_b32 vcc_lo, exec_lo, s31
	s_wait_kmcnt 0x0
	s_add_co_i32 s0, s0, s1
	s_load_b32 s42, s[18:19], s0 offset:0x0 scale_offset
	s_cbranch_vccnz .LBB52_29
; %bb.12:
	s_wait_kmcnt 0x0
	s_ashr_i32 s43, s42, 31
	v_lshrrev_b32_e32 v2, 6, v0
	s_lshl_b64 s[0:1], s[42:43], 2
	s_delay_alu instid0(SALU_CYCLE_1) | instskip(NEXT) | instid1(VALU_DEP_1)
	s_add_nc_u64 s[0:1], s[24:25], s[0:1]
	v_subrev_nc_u32_e32 v2, s36, v2
	s_load_b64 s[16:17], s[0:1], 0x0
	s_wait_xcnt 0x0
	s_mov_b32 s1, exec_lo
	s_wait_kmcnt 0x0
	v_add_nc_u32_e32 v2, s16, v2
	s_sub_co_i32 s0, s17, s36
	s_delay_alu instid0(VALU_DEP_1) | instid1(SALU_CYCLE_1)
	v_cmpx_gt_i32_e64 s0, v2
	s_cbranch_execz .LBB52_28
; %bb.13:
	v_and_b32_e32 v3, 63, v0
	s_mov_b32 s16, 0
	s_delay_alu instid0(VALU_DEP_1)
	v_subrev_nc_u32_e32 v6, s37, v3
	s_branch .LBB52_15
.LBB52_14:                              ;   in Loop: Header=BB52_15 Depth=1
	s_or_b32 exec_lo, exec_lo, s17
	v_add_nc_u32_e32 v2, 16, v2
	s_delay_alu instid0(VALU_DEP_1) | instskip(SKIP_1) | instid1(SALU_CYCLE_1)
	v_cmp_le_i32_e32 vcc_lo, s0, v2
	s_or_b32 s16, vcc_lo, s16
	s_and_not1_b32 exec_lo, exec_lo, s16
	s_cbranch_execz .LBB52_28
.LBB52_15:                              ; =>This Loop Header: Depth=1
                                        ;     Child Loop BB52_19 Depth 2
                                        ;       Child Loop BB52_22 Depth 3
	global_load_b32 v3, v2, s[2:3] scale_offset
	s_mov_b32 s17, exec_lo
	s_wait_loadcnt 0x0
	v_subrev_nc_u32_e32 v4, s36, v3
	s_delay_alu instid0(VALU_DEP_1) | instskip(NEXT) | instid1(VALU_DEP_1)
	v_ashrrev_i32_e32 v5, 31, v4
	v_lshl_add_u64 v[4:5], v[4:5], 2, s[14:15]
	global_load_b64 v[4:5], v[4:5], off
	s_wait_loadcnt 0x0
	v_subrev_nc_u32_e32 v8, s37, v5
	v_add_nc_u32_e32 v9, v4, v6
	s_wait_xcnt 0x0
	s_delay_alu instid0(VALU_DEP_1)
	v_cmpx_lt_i32_e64 v9, v8
	s_cbranch_execz .LBB52_14
; %bb.16:                               ;   in Loop: Header=BB52_15 Depth=1
	v_ashrrev_i32_e32 v3, 31, v2
	s_mov_b32 s18, 0
	s_delay_alu instid0(VALU_DEP_1) | instskip(SKIP_3) | instid1(VALU_DEP_1)
	v_lshl_add_u64 v[4:5], v[2:3], 3, s[12:13]
	global_load_b64 v[4:5], v[4:5], off
	s_wait_loadcnt 0x0
	v_mul_f32_e64 v3, v5, -s21
	v_dual_mul_f32 v10, s29, v5 :: v_dual_fmac_f32 v3, s29, v4
	s_delay_alu instid0(VALU_DEP_1)
	v_fmac_f32_e32 v10, s21, v4
	s_branch .LBB52_19
.LBB52_17:                              ;   in Loop: Header=BB52_19 Depth=2
	s_or_b32 exec_lo, exec_lo, s24
.LBB52_18:                              ;   in Loop: Header=BB52_19 Depth=2
	s_delay_alu instid0(SALU_CYCLE_1) | instskip(SKIP_3) | instid1(VALU_DEP_2)
	s_or_b32 exec_lo, exec_lo, s19
	s_wait_loadcnt 0x0
	v_dual_mul_f32 v12, v5, -v10 :: v_dual_mul_f32 v5, v3, v5
	v_lshl_add_u32 v11, v11, 3, 0
	v_dual_fmac_f32 v12, v3, v4 :: v_dual_add_nc_u32 v9, 64, v9
	s_delay_alu instid0(VALU_DEP_3) | instskip(SKIP_4) | instid1(SALU_CYCLE_1)
	v_fmac_f32_e32 v5, v10, v4
	ds_add_f32 v11, v12 offset:32768
	ds_add_f32 v11, v5 offset:32772
	v_cmp_ge_i32_e32 vcc_lo, v9, v8
	s_or_b32 s18, vcc_lo, s18
	s_and_not1_b32 exec_lo, exec_lo, s18
	s_cbranch_execz .LBB52_14
.LBB52_19:                              ;   Parent Loop BB52_15 Depth=1
                                        ; =>  This Loop Header: Depth=2
                                        ;       Child Loop BB52_22 Depth 3
	s_clause 0x1
	global_load_b32 v11, v9, s[8:9] scale_offset
	global_load_b64 v[4:5], v9, s[10:11] scale_offset
	s_mov_b32 s19, exec_lo
	s_wait_loadcnt 0x1
	v_subrev_nc_u32_e32 v12, s37, v11
	s_delay_alu instid0(VALU_DEP_1) | instskip(NEXT) | instid1(VALU_DEP_1)
	v_mul_lo_u32 v11, 0x89, v12
	v_and_b32_e32 v11, 0x1fff, v11
	s_delay_alu instid0(VALU_DEP_1)
	v_lshl_add_u32 v13, v11, 2, 0
	ds_load_b32 v14, v13
	s_wait_dscnt 0x0
	s_wait_xcnt 0x0
	v_cmpx_ne_u32_e64 v14, v12
	s_cbranch_execz .LBB52_18
; %bb.20:                               ;   in Loop: Header=BB52_19 Depth=2
	s_mov_b32 s24, 0
	s_branch .LBB52_22
.LBB52_21:                              ;   in Loop: Header=BB52_22 Depth=3
	s_or_b32 exec_lo, exec_lo, s27
	s_delay_alu instid0(SALU_CYCLE_1) | instskip(NEXT) | instid1(SALU_CYCLE_1)
	s_and_b32 s25, exec_lo, s26
	s_or_b32 s24, s25, s24
	s_delay_alu instid0(SALU_CYCLE_1)
	s_and_not1_b32 exec_lo, exec_lo, s24
	s_cbranch_execz .LBB52_17
.LBB52_22:                              ;   Parent Loop BB52_15 Depth=1
                                        ;     Parent Loop BB52_19 Depth=2
                                        ; =>    This Inner Loop Header: Depth=3
	s_mov_b32 s25, 0
	s_mov_b32 s26, exec_lo
	v_cmpx_ne_u32_e64 s33, v14
	s_xor_b32 s26, exec_lo, s26
	s_cbranch_execz .LBB52_24
; %bb.23:                               ;   in Loop: Header=BB52_22 Depth=3
	v_add_nc_u32_e32 v11, 1, v11
	s_mov_b32 s25, exec_lo
                                        ; implicit-def: $vgpr13
	s_delay_alu instid0(VALU_DEP_1)
	v_and_b32_e32 v11, 0x1fff, v11
	s_and_not1_saveexec_b32 s26, s26
	s_cbranch_execz .LBB52_26
	s_branch .LBB52_25
.LBB52_24:                              ;   in Loop: Header=BB52_22 Depth=3
	s_and_not1_saveexec_b32 s26, s26
	s_cbranch_execz .LBB52_26
.LBB52_25:                              ;   in Loop: Header=BB52_22 Depth=3
	v_mov_b32_e32 v14, s33
	s_and_not1_b32 s25, s25, exec_lo
	ds_cmpstore_rtn_b32 v13, v13, v12, v14
	s_wait_dscnt 0x0
	v_cmp_ne_u32_e32 vcc_lo, s33, v13
	s_and_b32 s27, vcc_lo, exec_lo
	s_delay_alu instid0(SALU_CYCLE_1)
	s_or_b32 s25, s25, s27
.LBB52_26:                              ;   in Loop: Header=BB52_22 Depth=3
	s_or_b32 exec_lo, exec_lo, s26
	s_mov_b32 s26, -1
                                        ; implicit-def: $vgpr13
                                        ; implicit-def: $vgpr14
	s_and_saveexec_b32 s27, s25
	s_cbranch_execz .LBB52_21
; %bb.27:                               ;   in Loop: Header=BB52_22 Depth=3
	v_lshl_add_u32 v13, v11, 2, 0
	ds_load_b32 v14, v13
	s_wait_dscnt 0x0
	v_cmp_eq_u32_e32 vcc_lo, v14, v12
	s_or_not1_b32 s26, vcc_lo, exec_lo
	s_branch .LBB52_21
.LBB52_28:
	s_or_b32 exec_lo, exec_lo, s1
.LBB52_29:
	s_delay_alu instid0(SALU_CYCLE_1)
	s_and_not1_b32 vcc_lo, exec_lo, s30
	s_cbranch_vccnz .LBB52_44
; %bb.30:
	s_wait_kmcnt 0x0
	s_ashr_i32 s43, s42, 31
	v_subrev_nc_u32_e32 v2, s39, v0
	s_lshl_b64 s[0:1], s[42:43], 2
	s_delay_alu instid0(SALU_CYCLE_1)
	s_add_nc_u64 s[0:1], s[22:23], s[0:1]
	s_load_b64 s[2:3], s[0:1], 0x0
	s_wait_xcnt 0x0
	s_mov_b32 s1, exec_lo
	s_wait_kmcnt 0x0
	v_add_nc_u32_e32 v4, s2, v2
	s_sub_co_i32 s0, s3, s39
	s_delay_alu instid0(VALU_DEP_1) | instid1(SALU_CYCLE_1)
	v_cmpx_gt_i32_e64 s0, v4
	s_cbranch_execz .LBB52_43
; %bb.31:
	s_mov_b32 s2, 0
	s_branch .LBB52_34
.LBB52_32:                              ;   in Loop: Header=BB52_34 Depth=1
	s_or_b32 exec_lo, exec_lo, s8
.LBB52_33:                              ;   in Loop: Header=BB52_34 Depth=1
	s_delay_alu instid0(SALU_CYCLE_1)
	s_or_b32 exec_lo, exec_lo, s3
	s_wait_loadcnt 0x0
	v_mul_f32_e64 v6, v3, -s28
	v_mul_f32_e32 v3, s20, v3
	v_lshl_add_u32 v5, v5, 3, 0
	v_add_nc_u32_e32 v4, 0x400, v4
	s_delay_alu instid0(VALU_DEP_3) | instskip(SKIP_4) | instid1(SALU_CYCLE_1)
	v_dual_fmac_f32 v6, s20, v2 :: v_dual_fmac_f32 v3, s28, v2
	ds_add_f32 v5, v6 offset:32768
	ds_add_f32 v5, v3 offset:32772
	v_cmp_le_i32_e32 vcc_lo, s0, v4
	s_or_b32 s2, vcc_lo, s2
	s_and_not1_b32 exec_lo, exec_lo, s2
	s_cbranch_execz .LBB52_43
.LBB52_34:                              ; =>This Loop Header: Depth=1
                                        ;     Child Loop BB52_37 Depth 2
	s_clause 0x1
	global_load_b32 v5, v4, s[4:5] scale_offset
	global_load_b64 v[2:3], v4, s[6:7] scale_offset
	s_mov_b32 s3, exec_lo
	s_wait_loadcnt 0x1
	v_subrev_nc_u32_e32 v6, s39, v5
	s_delay_alu instid0(VALU_DEP_1) | instskip(NEXT) | instid1(VALU_DEP_1)
	v_mul_lo_u32 v5, 0x89, v6
	v_and_b32_e32 v5, 0x1fff, v5
	s_delay_alu instid0(VALU_DEP_1)
	v_lshl_add_u32 v8, v5, 2, 0
	ds_load_b32 v9, v8
	s_wait_dscnt 0x0
	s_wait_xcnt 0x0
	v_cmpx_ne_u32_e64 v9, v6
	s_cbranch_execz .LBB52_33
; %bb.35:                               ;   in Loop: Header=BB52_34 Depth=1
	s_mov_b32 s8, 0
	s_branch .LBB52_37
.LBB52_36:                              ;   in Loop: Header=BB52_37 Depth=2
	s_or_b32 exec_lo, exec_lo, s11
	s_delay_alu instid0(SALU_CYCLE_1) | instskip(NEXT) | instid1(SALU_CYCLE_1)
	s_and_b32 s9, exec_lo, s10
	s_or_b32 s8, s9, s8
	s_delay_alu instid0(SALU_CYCLE_1)
	s_and_not1_b32 exec_lo, exec_lo, s8
	s_cbranch_execz .LBB52_32
.LBB52_37:                              ;   Parent Loop BB52_34 Depth=1
                                        ; =>  This Inner Loop Header: Depth=2
	s_mov_b32 s9, 0
	s_mov_b32 s10, exec_lo
	v_cmpx_ne_u32_e64 s33, v9
	s_xor_b32 s10, exec_lo, s10
	s_cbranch_execz .LBB52_39
; %bb.38:                               ;   in Loop: Header=BB52_37 Depth=2
	v_add_nc_u32_e32 v5, 1, v5
	s_mov_b32 s9, exec_lo
                                        ; implicit-def: $vgpr8
	s_delay_alu instid0(VALU_DEP_1)
	v_and_b32_e32 v5, 0x1fff, v5
	s_and_not1_saveexec_b32 s10, s10
	s_cbranch_execz .LBB52_41
	s_branch .LBB52_40
.LBB52_39:                              ;   in Loop: Header=BB52_37 Depth=2
	s_and_not1_saveexec_b32 s10, s10
	s_cbranch_execz .LBB52_41
.LBB52_40:                              ;   in Loop: Header=BB52_37 Depth=2
	v_mov_b32_e32 v9, s33
	s_and_not1_b32 s9, s9, exec_lo
	ds_cmpstore_rtn_b32 v8, v8, v6, v9
	s_wait_dscnt 0x0
	v_cmp_ne_u32_e32 vcc_lo, s33, v8
	s_and_b32 s11, vcc_lo, exec_lo
	s_delay_alu instid0(SALU_CYCLE_1)
	s_or_b32 s9, s9, s11
.LBB52_41:                              ;   in Loop: Header=BB52_37 Depth=2
	s_or_b32 exec_lo, exec_lo, s10
	s_mov_b32 s10, -1
                                        ; implicit-def: $vgpr8
                                        ; implicit-def: $vgpr9
	s_and_saveexec_b32 s11, s9
	s_cbranch_execz .LBB52_36
; %bb.42:                               ;   in Loop: Header=BB52_37 Depth=2
	v_lshl_add_u32 v8, v5, 2, 0
	ds_load_b32 v9, v8
	s_wait_dscnt 0x0
	v_cmp_eq_u32_e32 vcc_lo, v9, v6
	s_or_not1_b32 s10, vcc_lo, exec_lo
	s_branch .LBB52_36
.LBB52_43:
	s_or_b32 exec_lo, exec_lo, s1
.LBB52_44:
	v_mbcnt_lo_u32_b32 v2, -1, 0
	v_lshrrev_b32_e32 v3, 3, v0
	s_wait_xcnt 0x0
	v_cmp_lt_u32_e64 s0, 31, v0
	v_cmp_lt_u32_e64 s1, 63, v0
	;; [unrolled: 1-line block ×3, first 2 shown]
	v_xor_b32_e32 v2, 31, v2
	v_and_b32_e32 v4, 0x7c, v3
	v_mov_b32_e32 v3, 0
	v_cmp_lt_u32_e64 s3, 0x7f, v0
	v_cmp_lt_u32_e64 s4, 0x9f, v0
	v_lshrrev_b32_e64 v2, v2, -1
	v_add3_u32 v6, 0x18000, 0, v4
	v_cmp_lt_u32_e64 s5, 0xbf, v0
	v_cmp_lt_u32_e64 s6, 0xdf, v0
	v_cmp_lt_u32_e64 s7, 0xff, v0
	v_cmp_lt_u32_e64 s8, 0x11f, v0
	v_cmp_lt_u32_e64 s9, 0x13f, v0
	v_cmp_lt_u32_e64 s10, 0x15f, v0
	v_cmp_lt_u32_e64 s11, 0x17f, v0
	v_cmp_lt_u32_e64 s12, 0x19f, v0
	v_cmp_lt_u32_e64 s13, 0x1bf, v0
	v_cmp_lt_u32_e64 s14, 0x1df, v0
	v_cmp_lt_u32_e64 s15, 0x1ff, v0
	v_cmp_lt_u32_e64 s16, 0x21f, v0
	v_cmp_lt_u32_e64 s17, 0x23f, v0
	v_cmp_lt_u32_e64 s18, 0x25f, v0
	v_cmp_lt_u32_e64 s19, 0x27f, v0
	v_cmp_lt_u32_e64 s20, 0x29f, v0
	v_cmp_lt_u32_e64 s21, 0x2bf, v0
	v_cmp_lt_u32_e64 s22, 0x2df, v0
	v_cmp_lt_u32_e64 s23, 0x2ff, v0
	v_cmp_lt_u32_e64 s24, 0x31f, v0
	v_cmp_lt_u32_e64 s25, 0x33f, v0
	v_cmp_lt_u32_e64 s26, 0x35f, v0
	v_cmp_lt_u32_e64 s27, 0x37f, v0
	v_cmp_lt_u32_e64 s28, 0x39f, v0
	v_cmp_lt_u32_e64 s29, 0x3bf, v0
	v_cmp_lt_u32_e64 s30, 0x3df, v0
	v_add3_u32 v7, v7, 0, 0x8000
	v_or_b32_e32 v8, 0xfffffc00, v0
	s_mov_b32 s36, 0
	s_add_co_i32 s37, 0, 0x18000
	s_add_co_i32 s39, 0, 0x18004
	;; [unrolled: 1-line block ×32, first 2 shown]
	s_wait_dscnt 0x0
	s_barrier_signal -1
	s_barrier_wait -1
	v_cmp_eq_u32_e32 vcc_lo, 0x3ff, v0
	s_branch .LBB52_46
.LBB52_45:                              ;   in Loop: Header=BB52_46 Depth=1
	s_or_b32 exec_lo, exec_lo, s31
	v_dual_mov_b32 v4, s72 :: v_dual_add_nc_u32 v7, 0x2000, v7
	s_wait_dscnt 0x0
	s_barrier_signal -1
	s_barrier_wait -1
	ds_load_b32 v4, v4
	v_add_nc_u32_e32 v8, 0x400, v8
	v_add_nc_u32_e32 v1, 0x1000, v1
	s_delay_alu instid0(VALU_DEP_2)
	v_cmp_lt_u32_e64 s31, 0x1bff, v8
	s_or_b32 s36, s31, s36
	s_wait_dscnt 0x0
	v_add_nc_u32_e32 v3, v4, v3
	s_and_not1_b32 exec_lo, exec_lo, s36
	s_cbranch_execz .LBB52_112
.LBB52_46:                              ; =>This Inner Loop Header: Depth=1
	ds_load_b32 v9, v1
	ds_load_2addr_b32 v[4:5], v7 offset1:1
	s_wait_dscnt 0x0
	s_barrier_signal -1
	s_barrier_wait -1
	v_cmp_gt_i32_e64 s31, s33, v9
	s_bcnt1_i32_b32 s73, s31
	s_delay_alu instid0(SALU_CYCLE_1) | instskip(NEXT) | instid1(VALU_DEP_1)
	v_dual_mov_b32 v11, s73 :: v_dual_bitop2_b32 v10, s31, v2 bitop3:0x40
	v_bcnt_u32_b32 v10, v10, 0
	ds_store_b32 v6, v11
	s_wait_dscnt 0x0
	s_barrier_signal -1
	s_barrier_wait -1
	s_and_saveexec_b32 s73, s0
	s_cbranch_execz .LBB52_79
; %bb.47:                               ;   in Loop: Header=BB52_46 Depth=1
	v_mov_b32_e32 v11, s37
	ds_load_b32 v11, v11
	s_wait_dscnt 0x0
	v_add_nc_u32_e32 v10, v11, v10
	s_or_b32 exec_lo, exec_lo, s73
	s_and_saveexec_b32 s73, s1
	s_cbranch_execnz .LBB52_80
.LBB52_48:                              ;   in Loop: Header=BB52_46 Depth=1
	s_or_b32 exec_lo, exec_lo, s73
	s_and_saveexec_b32 s73, s2
	s_cbranch_execz .LBB52_81
.LBB52_49:                              ;   in Loop: Header=BB52_46 Depth=1
	v_mov_b32_e32 v11, s43
	ds_load_b32 v11, v11
	s_wait_dscnt 0x0
	v_add_nc_u32_e32 v10, v11, v10
	s_or_b32 exec_lo, exec_lo, s73
	s_and_saveexec_b32 s73, s3
	s_cbranch_execnz .LBB52_82
.LBB52_50:                              ;   in Loop: Header=BB52_46 Depth=1
	s_or_b32 exec_lo, exec_lo, s73
	s_and_saveexec_b32 s73, s4
	s_cbranch_execz .LBB52_83
.LBB52_51:                              ;   in Loop: Header=BB52_46 Depth=1
	v_mov_b32_e32 v11, s45
	ds_load_b32 v11, v11
	s_wait_dscnt 0x0
	v_add_nc_u32_e32 v10, v11, v10
	s_or_b32 exec_lo, exec_lo, s73
	s_and_saveexec_b32 s73, s5
	s_cbranch_execnz .LBB52_84
.LBB52_52:                              ;   in Loop: Header=BB52_46 Depth=1
	s_or_b32 exec_lo, exec_lo, s73
	s_and_saveexec_b32 s73, s6
	s_cbranch_execz .LBB52_85
.LBB52_53:                              ;   in Loop: Header=BB52_46 Depth=1
	v_mov_b32_e32 v11, s47
	ds_load_b32 v11, v11
	s_wait_dscnt 0x0
	v_add_nc_u32_e32 v10, v11, v10
	s_or_b32 exec_lo, exec_lo, s73
	s_and_saveexec_b32 s73, s7
	s_cbranch_execnz .LBB52_86
.LBB52_54:                              ;   in Loop: Header=BB52_46 Depth=1
	s_or_b32 exec_lo, exec_lo, s73
	s_and_saveexec_b32 s73, s8
	s_cbranch_execz .LBB52_87
.LBB52_55:                              ;   in Loop: Header=BB52_46 Depth=1
	v_mov_b32_e32 v11, s49
	ds_load_b32 v11, v11
	s_wait_dscnt 0x0
	v_add_nc_u32_e32 v10, v11, v10
	s_or_b32 exec_lo, exec_lo, s73
	s_and_saveexec_b32 s73, s9
	s_cbranch_execnz .LBB52_88
.LBB52_56:                              ;   in Loop: Header=BB52_46 Depth=1
	s_or_b32 exec_lo, exec_lo, s73
	s_and_saveexec_b32 s73, s10
	s_cbranch_execz .LBB52_89
.LBB52_57:                              ;   in Loop: Header=BB52_46 Depth=1
	v_mov_b32_e32 v11, s51
	ds_load_b32 v11, v11
	s_wait_dscnt 0x0
	v_add_nc_u32_e32 v10, v11, v10
	s_or_b32 exec_lo, exec_lo, s73
	s_and_saveexec_b32 s73, s11
	s_cbranch_execnz .LBB52_90
.LBB52_58:                              ;   in Loop: Header=BB52_46 Depth=1
	s_or_b32 exec_lo, exec_lo, s73
	s_and_saveexec_b32 s73, s12
	s_cbranch_execz .LBB52_91
.LBB52_59:                              ;   in Loop: Header=BB52_46 Depth=1
	v_mov_b32_e32 v11, s53
	ds_load_b32 v11, v11
	s_wait_dscnt 0x0
	v_add_nc_u32_e32 v10, v11, v10
	s_or_b32 exec_lo, exec_lo, s73
	s_and_saveexec_b32 s73, s13
	s_cbranch_execnz .LBB52_92
.LBB52_60:                              ;   in Loop: Header=BB52_46 Depth=1
	s_or_b32 exec_lo, exec_lo, s73
	s_and_saveexec_b32 s73, s14
	s_cbranch_execz .LBB52_93
.LBB52_61:                              ;   in Loop: Header=BB52_46 Depth=1
	v_mov_b32_e32 v11, s55
	ds_load_b32 v11, v11
	s_wait_dscnt 0x0
	v_add_nc_u32_e32 v10, v11, v10
	s_or_b32 exec_lo, exec_lo, s73
	s_and_saveexec_b32 s73, s15
	s_cbranch_execnz .LBB52_94
.LBB52_62:                              ;   in Loop: Header=BB52_46 Depth=1
	s_or_b32 exec_lo, exec_lo, s73
	s_and_saveexec_b32 s73, s16
	s_cbranch_execz .LBB52_95
.LBB52_63:                              ;   in Loop: Header=BB52_46 Depth=1
	v_mov_b32_e32 v11, s57
	ds_load_b32 v11, v11
	s_wait_dscnt 0x0
	v_add_nc_u32_e32 v10, v11, v10
	s_or_b32 exec_lo, exec_lo, s73
	s_and_saveexec_b32 s73, s17
	s_cbranch_execnz .LBB52_96
.LBB52_64:                              ;   in Loop: Header=BB52_46 Depth=1
	s_or_b32 exec_lo, exec_lo, s73
	s_and_saveexec_b32 s73, s18
	s_cbranch_execz .LBB52_97
.LBB52_65:                              ;   in Loop: Header=BB52_46 Depth=1
	v_mov_b32_e32 v11, s59
	ds_load_b32 v11, v11
	s_wait_dscnt 0x0
	v_add_nc_u32_e32 v10, v11, v10
	s_or_b32 exec_lo, exec_lo, s73
	s_and_saveexec_b32 s73, s19
	s_cbranch_execnz .LBB52_98
.LBB52_66:                              ;   in Loop: Header=BB52_46 Depth=1
	s_or_b32 exec_lo, exec_lo, s73
	s_and_saveexec_b32 s73, s20
	s_cbranch_execz .LBB52_99
.LBB52_67:                              ;   in Loop: Header=BB52_46 Depth=1
	v_mov_b32_e32 v11, s61
	ds_load_b32 v11, v11
	s_wait_dscnt 0x0
	v_add_nc_u32_e32 v10, v11, v10
	s_or_b32 exec_lo, exec_lo, s73
	s_and_saveexec_b32 s73, s21
	s_cbranch_execnz .LBB52_100
.LBB52_68:                              ;   in Loop: Header=BB52_46 Depth=1
	s_or_b32 exec_lo, exec_lo, s73
	s_and_saveexec_b32 s73, s22
	s_cbranch_execz .LBB52_101
.LBB52_69:                              ;   in Loop: Header=BB52_46 Depth=1
	v_mov_b32_e32 v11, s63
	ds_load_b32 v11, v11
	s_wait_dscnt 0x0
	v_add_nc_u32_e32 v10, v11, v10
	s_or_b32 exec_lo, exec_lo, s73
	s_and_saveexec_b32 s73, s23
	s_cbranch_execnz .LBB52_102
.LBB52_70:                              ;   in Loop: Header=BB52_46 Depth=1
	s_or_b32 exec_lo, exec_lo, s73
	s_and_saveexec_b32 s73, s24
	s_cbranch_execz .LBB52_103
.LBB52_71:                              ;   in Loop: Header=BB52_46 Depth=1
	v_mov_b32_e32 v11, s65
	ds_load_b32 v11, v11
	s_wait_dscnt 0x0
	v_add_nc_u32_e32 v10, v11, v10
	s_or_b32 exec_lo, exec_lo, s73
	s_and_saveexec_b32 s73, s25
	s_cbranch_execnz .LBB52_104
.LBB52_72:                              ;   in Loop: Header=BB52_46 Depth=1
	s_or_b32 exec_lo, exec_lo, s73
	s_and_saveexec_b32 s73, s26
	s_cbranch_execz .LBB52_105
.LBB52_73:                              ;   in Loop: Header=BB52_46 Depth=1
	v_mov_b32_e32 v11, s67
	ds_load_b32 v11, v11
	s_wait_dscnt 0x0
	v_add_nc_u32_e32 v10, v11, v10
	s_or_b32 exec_lo, exec_lo, s73
	s_and_saveexec_b32 s73, s27
	s_cbranch_execnz .LBB52_106
.LBB52_74:                              ;   in Loop: Header=BB52_46 Depth=1
	s_or_b32 exec_lo, exec_lo, s73
	s_and_saveexec_b32 s73, s28
	s_cbranch_execz .LBB52_107
.LBB52_75:                              ;   in Loop: Header=BB52_46 Depth=1
	v_mov_b32_e32 v11, s69
	ds_load_b32 v11, v11
	s_wait_dscnt 0x0
	v_add_nc_u32_e32 v10, v11, v10
	s_or_b32 exec_lo, exec_lo, s73
	s_and_saveexec_b32 s73, s29
	s_cbranch_execnz .LBB52_108
.LBB52_76:                              ;   in Loop: Header=BB52_46 Depth=1
	s_or_b32 exec_lo, exec_lo, s73
	s_and_saveexec_b32 s73, s30
	s_cbranch_execz .LBB52_109
.LBB52_77:                              ;   in Loop: Header=BB52_46 Depth=1
	v_mov_b32_e32 v11, s71
	ds_load_b32 v11, v11
	s_wait_dscnt 0x0
	v_add_nc_u32_e32 v10, v11, v10
	s_or_b32 exec_lo, exec_lo, s73
	s_and_saveexec_b32 s73, s31
	s_cbranch_execnz .LBB52_110
.LBB52_78:                              ;   in Loop: Header=BB52_46 Depth=1
	s_or_b32 exec_lo, exec_lo, s73
	s_and_saveexec_b32 s31, vcc_lo
	s_cbranch_execz .LBB52_45
	s_branch .LBB52_111
.LBB52_79:                              ;   in Loop: Header=BB52_46 Depth=1
	s_or_b32 exec_lo, exec_lo, s73
	s_and_saveexec_b32 s73, s1
	s_cbranch_execz .LBB52_48
.LBB52_80:                              ;   in Loop: Header=BB52_46 Depth=1
	v_mov_b32_e32 v11, s39
	ds_load_b32 v11, v11
	s_wait_dscnt 0x0
	v_add_nc_u32_e32 v10, v11, v10
	s_or_b32 exec_lo, exec_lo, s73
	s_and_saveexec_b32 s73, s2
	s_cbranch_execnz .LBB52_49
.LBB52_81:                              ;   in Loop: Header=BB52_46 Depth=1
	s_or_b32 exec_lo, exec_lo, s73
	s_and_saveexec_b32 s73, s3
	s_cbranch_execz .LBB52_50
.LBB52_82:                              ;   in Loop: Header=BB52_46 Depth=1
	v_mov_b32_e32 v11, s44
	ds_load_b32 v11, v11
	s_wait_dscnt 0x0
	v_add_nc_u32_e32 v10, v11, v10
	s_or_b32 exec_lo, exec_lo, s73
	s_and_saveexec_b32 s73, s4
	s_cbranch_execnz .LBB52_51
.LBB52_83:                              ;   in Loop: Header=BB52_46 Depth=1
	s_or_b32 exec_lo, exec_lo, s73
	s_and_saveexec_b32 s73, s5
	s_cbranch_execz .LBB52_52
.LBB52_84:                              ;   in Loop: Header=BB52_46 Depth=1
	v_mov_b32_e32 v11, s46
	ds_load_b32 v11, v11
	s_wait_dscnt 0x0
	v_add_nc_u32_e32 v10, v11, v10
	s_or_b32 exec_lo, exec_lo, s73
	s_and_saveexec_b32 s73, s6
	s_cbranch_execnz .LBB52_53
.LBB52_85:                              ;   in Loop: Header=BB52_46 Depth=1
	s_or_b32 exec_lo, exec_lo, s73
	s_and_saveexec_b32 s73, s7
	s_cbranch_execz .LBB52_54
.LBB52_86:                              ;   in Loop: Header=BB52_46 Depth=1
	v_mov_b32_e32 v11, s48
	ds_load_b32 v11, v11
	s_wait_dscnt 0x0
	v_add_nc_u32_e32 v10, v11, v10
	s_or_b32 exec_lo, exec_lo, s73
	s_and_saveexec_b32 s73, s8
	s_cbranch_execnz .LBB52_55
.LBB52_87:                              ;   in Loop: Header=BB52_46 Depth=1
	s_or_b32 exec_lo, exec_lo, s73
	s_and_saveexec_b32 s73, s9
	s_cbranch_execz .LBB52_56
.LBB52_88:                              ;   in Loop: Header=BB52_46 Depth=1
	v_mov_b32_e32 v11, s50
	ds_load_b32 v11, v11
	s_wait_dscnt 0x0
	v_add_nc_u32_e32 v10, v11, v10
	s_or_b32 exec_lo, exec_lo, s73
	s_and_saveexec_b32 s73, s10
	s_cbranch_execnz .LBB52_57
.LBB52_89:                              ;   in Loop: Header=BB52_46 Depth=1
	s_or_b32 exec_lo, exec_lo, s73
	s_and_saveexec_b32 s73, s11
	s_cbranch_execz .LBB52_58
.LBB52_90:                              ;   in Loop: Header=BB52_46 Depth=1
	v_mov_b32_e32 v11, s52
	ds_load_b32 v11, v11
	s_wait_dscnt 0x0
	v_add_nc_u32_e32 v10, v11, v10
	s_or_b32 exec_lo, exec_lo, s73
	s_and_saveexec_b32 s73, s12
	s_cbranch_execnz .LBB52_59
.LBB52_91:                              ;   in Loop: Header=BB52_46 Depth=1
	s_or_b32 exec_lo, exec_lo, s73
	s_and_saveexec_b32 s73, s13
	s_cbranch_execz .LBB52_60
.LBB52_92:                              ;   in Loop: Header=BB52_46 Depth=1
	v_mov_b32_e32 v11, s54
	ds_load_b32 v11, v11
	s_wait_dscnt 0x0
	v_add_nc_u32_e32 v10, v11, v10
	s_or_b32 exec_lo, exec_lo, s73
	s_and_saveexec_b32 s73, s14
	s_cbranch_execnz .LBB52_61
.LBB52_93:                              ;   in Loop: Header=BB52_46 Depth=1
	s_or_b32 exec_lo, exec_lo, s73
	s_and_saveexec_b32 s73, s15
	s_cbranch_execz .LBB52_62
.LBB52_94:                              ;   in Loop: Header=BB52_46 Depth=1
	v_mov_b32_e32 v11, s56
	ds_load_b32 v11, v11
	s_wait_dscnt 0x0
	v_add_nc_u32_e32 v10, v11, v10
	s_or_b32 exec_lo, exec_lo, s73
	s_and_saveexec_b32 s73, s16
	s_cbranch_execnz .LBB52_63
.LBB52_95:                              ;   in Loop: Header=BB52_46 Depth=1
	s_or_b32 exec_lo, exec_lo, s73
	s_and_saveexec_b32 s73, s17
	s_cbranch_execz .LBB52_64
.LBB52_96:                              ;   in Loop: Header=BB52_46 Depth=1
	v_mov_b32_e32 v11, s58
	ds_load_b32 v11, v11
	s_wait_dscnt 0x0
	v_add_nc_u32_e32 v10, v11, v10
	s_or_b32 exec_lo, exec_lo, s73
	s_and_saveexec_b32 s73, s18
	s_cbranch_execnz .LBB52_65
.LBB52_97:                              ;   in Loop: Header=BB52_46 Depth=1
	s_or_b32 exec_lo, exec_lo, s73
	s_and_saveexec_b32 s73, s19
	s_cbranch_execz .LBB52_66
.LBB52_98:                              ;   in Loop: Header=BB52_46 Depth=1
	v_mov_b32_e32 v11, s60
	ds_load_b32 v11, v11
	s_wait_dscnt 0x0
	v_add_nc_u32_e32 v10, v11, v10
	s_or_b32 exec_lo, exec_lo, s73
	s_and_saveexec_b32 s73, s20
	s_cbranch_execnz .LBB52_67
.LBB52_99:                              ;   in Loop: Header=BB52_46 Depth=1
	s_or_b32 exec_lo, exec_lo, s73
	s_and_saveexec_b32 s73, s21
	s_cbranch_execz .LBB52_68
.LBB52_100:                             ;   in Loop: Header=BB52_46 Depth=1
	v_mov_b32_e32 v11, s62
	ds_load_b32 v11, v11
	s_wait_dscnt 0x0
	v_add_nc_u32_e32 v10, v11, v10
	s_or_b32 exec_lo, exec_lo, s73
	s_and_saveexec_b32 s73, s22
	s_cbranch_execnz .LBB52_69
.LBB52_101:                             ;   in Loop: Header=BB52_46 Depth=1
	s_or_b32 exec_lo, exec_lo, s73
	s_and_saveexec_b32 s73, s23
	s_cbranch_execz .LBB52_70
.LBB52_102:                             ;   in Loop: Header=BB52_46 Depth=1
	v_mov_b32_e32 v11, s64
	ds_load_b32 v11, v11
	s_wait_dscnt 0x0
	v_add_nc_u32_e32 v10, v11, v10
	s_or_b32 exec_lo, exec_lo, s73
	s_and_saveexec_b32 s73, s24
	s_cbranch_execnz .LBB52_71
.LBB52_103:                             ;   in Loop: Header=BB52_46 Depth=1
	s_or_b32 exec_lo, exec_lo, s73
	s_and_saveexec_b32 s73, s25
	s_cbranch_execz .LBB52_72
.LBB52_104:                             ;   in Loop: Header=BB52_46 Depth=1
	v_mov_b32_e32 v11, s66
	ds_load_b32 v11, v11
	s_wait_dscnt 0x0
	v_add_nc_u32_e32 v10, v11, v10
	s_or_b32 exec_lo, exec_lo, s73
	s_and_saveexec_b32 s73, s26
	s_cbranch_execnz .LBB52_73
.LBB52_105:                             ;   in Loop: Header=BB52_46 Depth=1
	s_or_b32 exec_lo, exec_lo, s73
	s_and_saveexec_b32 s73, s27
	s_cbranch_execz .LBB52_74
.LBB52_106:                             ;   in Loop: Header=BB52_46 Depth=1
	v_mov_b32_e32 v11, s68
	ds_load_b32 v11, v11
	s_wait_dscnt 0x0
	v_add_nc_u32_e32 v10, v11, v10
	s_or_b32 exec_lo, exec_lo, s73
	s_and_saveexec_b32 s73, s28
	s_cbranch_execnz .LBB52_75
.LBB52_107:                             ;   in Loop: Header=BB52_46 Depth=1
	s_or_b32 exec_lo, exec_lo, s73
	s_and_saveexec_b32 s73, s29
	s_cbranch_execz .LBB52_76
.LBB52_108:                             ;   in Loop: Header=BB52_46 Depth=1
	v_mov_b32_e32 v11, s70
	ds_load_b32 v11, v11
	s_wait_dscnt 0x0
	v_add_nc_u32_e32 v10, v11, v10
	s_or_b32 exec_lo, exec_lo, s73
	s_and_saveexec_b32 s73, s30
	s_cbranch_execnz .LBB52_77
.LBB52_109:                             ;   in Loop: Header=BB52_46 Depth=1
	s_or_b32 exec_lo, exec_lo, s73
	s_and_saveexec_b32 s73, s31
	s_cbranch_execz .LBB52_78
.LBB52_110:                             ;   in Loop: Header=BB52_46 Depth=1
	s_delay_alu instid0(VALU_DEP_1) | instskip(SKIP_1) | instid1(VALU_DEP_2)
	v_add3_u32 v11, v3, -1, v10
	v_add_lshl_u32 v12, v3, v10, 3
	v_lshl_add_u32 v11, v11, 2, 0
	s_delay_alu instid0(VALU_DEP_2)
	v_add3_u32 v12, 0, v12, 0x7ff8
	ds_store_b32 v11, v9
	ds_store_2addr_b32 v12, v4, v5 offset1:1
	s_or_b32 exec_lo, exec_lo, s73
	s_and_saveexec_b32 s31, vcc_lo
	s_cbranch_execz .LBB52_45
.LBB52_111:                             ;   in Loop: Header=BB52_46 Depth=1
	v_mov_b32_e32 v4, s72
	ds_store_b32 v4, v10
	s_branch .LBB52_45
.LBB52_112:
	s_or_b32 exec_lo, exec_lo, s36
	s_wait_kmcnt 0x0
	s_ashr_i32 s43, s42, 31
	s_delay_alu instid0(SALU_CYCLE_1) | instskip(NEXT) | instid1(SALU_CYCLE_1)
	s_lshl_b64 s[0:1], s[42:43], 2
	s_add_nc_u64 s[2:3], s[40:41], s[0:1]
	s_load_b64 s[0:1], s[2:3], 0x0
	s_wait_kmcnt 0x0
	s_sub_co_i32 s4, s1, s0
	s_mov_b32 s1, exec_lo
	v_cmpx_gt_i32_e64 s4, v0
	s_cbranch_execz .LBB52_126
; %bb.113:
	v_sub_co_u32 v1, s1, s4, 2
	s_sub_co_i32 s2, s0, s38
	s_xor_b32 s6, s1, -1
	s_and_b32 s5, s4, -2
	v_readfirstlane_b32 s3, v1
	s_lshr_b32 s0, s3, 1
	s_mov_b32 s3, 0
	s_add_co_i32 s0, s0, 1
	s_mov_b32 s11, s3
	s_and_b32 s1, s0, 7
	s_and_b32 s7, s0, -8
	s_cmp_lg_u32 s1, 0
	v_cmp_lt_u32_e64 s0, 13, v1
	s_cselect_b32 s8, -1, 0
	s_cmp_lg_u32 s4, s5
	s_cselect_b32 s9, -1, 0
	s_lshl_b32 s10, s1, 3
	s_branch .LBB52_115
.LBB52_114:                             ;   in Loop: Header=BB52_115 Depth=1
	v_add_nc_u32_e32 v0, 0x400, v0
	s_wait_dscnt 0x0
	global_store_b64 v4, v[2:3], s[34:35] scale_offset
	v_cmp_le_i32_e32 vcc_lo, s4, v0
	s_or_b32 s11, vcc_lo, s11
	s_wait_xcnt 0x0
	s_and_not1_b32 exec_lo, exec_lo, s11
	s_cbranch_execz .LBB52_126
.LBB52_115:                             ; =>This Loop Header: Depth=1
                                        ;     Child Loop BB52_118 Depth 2
                                        ;     Child Loop BB52_121 Depth 2
	;; [unrolled: 1-line block ×3, first 2 shown]
	v_dual_mov_b32 v4, s2 :: v_dual_lshlrev_b32 v1, 2, v0
	s_and_not1_b32 vcc_lo, exec_lo, s6
	s_mov_b32 s1, 0
	s_mov_b32 s12, -1
	s_delay_alu instid0(VALU_DEP_1) | instskip(NEXT) | instid1(VALU_DEP_1)
	v_add_nc_u32_e32 v2, 0, v1
	v_add3_u32 v3, v2, v1, 0x8000
	ds_load_b32 v1, v2
	ds_load_2addr_b32 v[2:3], v3 offset1:1
	s_cbranch_vccnz .LBB52_123
; %bb.116:                              ;   in Loop: Header=BB52_115 Depth=1
	v_mov_b64_e32 v[4:5], s[2:3]
	s_and_not1_b32 vcc_lo, exec_lo, s0
	s_mov_b32 s12, 0
	s_cbranch_vccnz .LBB52_119
; %bb.117:                              ;   in Loop: Header=BB52_115 Depth=1
	v_dual_mov_b32 v4, s2 :: v_dual_mov_b32 v5, 0
	s_mov_b32 s13, 0
	s_mov_b32 s14, s7
.LBB52_118:                             ;   Parent Loop BB52_115 Depth=1
                                        ; =>  This Inner Loop Header: Depth=2
	v_mov_b32_e32 v20, s13
	s_add_co_i32 s14, s14, -8
	s_add_co_i32 s12, s12, 16
	s_add_co_i32 s13, s13, 64
	s_cmp_lg_u32 s14, 0
	ds_load_2addr_b32 v[6:7], v20 offset1:1
	ds_load_2addr_b32 v[8:9], v20 offset0:2 offset1:3
	ds_load_2addr_b32 v[10:11], v20 offset0:4 offset1:5
	;; [unrolled: 1-line block ×7, first 2 shown]
	s_wait_dscnt 0x7
	v_cmp_gt_i32_e32 vcc_lo, v1, v7
	s_wait_dscnt 0x5
	v_cmp_gt_i32_e64 s1, v1, v10
	v_cndmask_b32_e64 v7, 0, 1, vcc_lo
	v_cmp_gt_i32_e32 vcc_lo, v1, v6
	v_cndmask_b32_e64 v6, 0, 1, vcc_lo
	v_cmp_gt_i32_e32 vcc_lo, v1, v8
	v_cndmask_b32_e64 v8, 0, 1, s1
	v_cmp_gt_i32_e64 s1, v1, v11
	s_delay_alu instid0(VALU_DEP_4) | instskip(NEXT) | instid1(VALU_DEP_2)
	v_add_co_ci_u32_e64 v4, null, v4, v6, vcc_lo
	v_cndmask_b32_e64 v10, 0, 1, s1
	s_wait_dscnt 0x4
	v_cmp_gt_i32_e64 s1, v1, v13
	s_wait_dscnt 0x2
	v_cmp_gt_i32_e32 vcc_lo, v1, v16
	s_delay_alu instid0(VALU_DEP_2) | instskip(SKIP_4) | instid1(VALU_DEP_3)
	v_cndmask_b32_e64 v11, 0, 1, s1
	v_cmp_gt_i32_e64 s1, v1, v12
	v_add_co_ci_u32_e64 v4, null, v4, v8, vcc_lo
	s_wait_dscnt 0x1
	v_cmp_gt_i32_e32 vcc_lo, v1, v18
	v_cndmask_b32_e64 v12, 0, 1, s1
	v_cmp_gt_i32_e64 s1, v1, v14
	s_delay_alu instid0(VALU_DEP_2) | instskip(NEXT) | instid1(VALU_DEP_2)
	v_add_co_ci_u32_e64 v4, null, v4, v12, vcc_lo
	v_cndmask_b32_e64 v13, 0, 1, s1
	v_cmp_gt_i32_e64 s1, v1, v15
	s_wait_dscnt 0x0
	v_cmp_gt_i32_e32 vcc_lo, v1, v20
	s_delay_alu instid0(VALU_DEP_2) | instskip(SKIP_2) | instid1(VALU_DEP_2)
	v_cndmask_b32_e64 v14, 0, 1, s1
	v_cmp_gt_i32_e64 s1, v1, v9
	v_add_co_ci_u32_e64 v4, null, v4, v13, vcc_lo
	v_add_co_ci_u32_e64 v5, null, v5, v7, s1
	v_cmp_gt_i32_e64 s1, v1, v17
	s_delay_alu instid0(VALU_DEP_1) | instskip(SKIP_1) | instid1(VALU_DEP_1)
	v_add_co_ci_u32_e64 v5, null, v5, v10, s1
	v_cmp_gt_i32_e64 s1, v1, v19
	v_add_co_ci_u32_e64 v5, null, v5, v11, s1
	v_cmp_gt_i32_e64 s1, v1, v21
	s_delay_alu instid0(VALU_DEP_1)
	v_add_co_ci_u32_e64 v5, null, v5, v14, s1
	s_cbranch_scc1 .LBB52_118
.LBB52_119:                             ;   in Loop: Header=BB52_115 Depth=1
	s_and_not1_b32 vcc_lo, exec_lo, s8
	s_cbranch_vccnz .LBB52_122
; %bb.120:                              ;   in Loop: Header=BB52_115 Depth=1
	s_lshl_b32 s1, s12, 2
	s_mov_b32 s12, s10
	s_add_co_i32 s1, s1, 0
.LBB52_121:                             ;   Parent Loop BB52_115 Depth=1
                                        ; =>  This Inner Loop Header: Depth=2
	s_delay_alu instid0(SALU_CYCLE_1)
	v_mov_b32_e32 v6, s1
	s_add_co_i32 s12, s12, -8
	s_add_co_i32 s1, s1, 8
	s_cmp_lg_u32 s12, 0
	ds_load_2addr_b32 v[6:7], v6 offset1:1
	s_wait_dscnt 0x0
	v_cmp_gt_i32_e32 vcc_lo, v1, v7
	v_add_co_ci_u32_e64 v5, null, 0, v5, vcc_lo
	v_cmp_gt_i32_e32 vcc_lo, v1, v6
	v_add_co_ci_u32_e64 v4, null, 0, v4, vcc_lo
	s_cbranch_scc1 .LBB52_121
.LBB52_122:                             ;   in Loop: Header=BB52_115 Depth=1
	s_delay_alu instid0(VALU_DEP_1)
	v_add_nc_u32_e32 v4, v4, v5
	s_mov_b32 s1, s5
	s_mov_b32 s12, s9
.LBB52_123:                             ;   in Loop: Header=BB52_115 Depth=1
	s_delay_alu instid0(SALU_CYCLE_1)
	s_and_b32 vcc_lo, exec_lo, s12
	s_cbranch_vccz .LBB52_114
; %bb.124:                              ;   in Loop: Header=BB52_115 Depth=1
	s_lshl_b32 s12, s1, 2
	s_delay_alu instid0(SALU_CYCLE_1)
	s_add_co_i32 s12, s12, 0
.LBB52_125:                             ;   Parent Loop BB52_115 Depth=1
                                        ; =>  This Inner Loop Header: Depth=2
	s_delay_alu instid0(SALU_CYCLE_1)
	v_mov_b32_e32 v5, s12
	s_add_co_i32 s1, s1, 1
	s_add_co_i32 s12, s12, 4
	s_cmp_ge_i32 s1, s4
	ds_load_b32 v5, v5
	s_wait_dscnt 0x0
	v_cmp_gt_i32_e32 vcc_lo, v1, v5
	v_add_co_ci_u32_e64 v4, null, 0, v4, vcc_lo
	s_cbranch_scc0 .LBB52_125
	s_branch .LBB52_114
.LBB52_126:
	s_endpgm
	.section	.rodata,"a",@progbits
	.p2align	6, 0x0
	.amdhsa_kernel _ZN9rocsparseL41csrgemm_numeric_fill_block_per_row_kernelILj1024ELj64ELj8192ELj137ELj32Eii21rocsparse_complex_numIfEEEvT5_PKS3_S5_NS_24const_host_device_scalarIT6_EEPKT4_S5_PKS7_SB_S5_SD_S8_SB_S5_SD_SB_S5_PS7_21rocsparse_index_base_SF_SF_SF_bbb
		.amdhsa_group_segment_fixed_size 0
		.amdhsa_private_segment_fixed_size 0
		.amdhsa_kernarg_size 156
		.amdhsa_user_sgpr_count 2
		.amdhsa_user_sgpr_dispatch_ptr 0
		.amdhsa_user_sgpr_queue_ptr 0
		.amdhsa_user_sgpr_kernarg_segment_ptr 1
		.amdhsa_user_sgpr_dispatch_id 0
		.amdhsa_user_sgpr_kernarg_preload_length 0
		.amdhsa_user_sgpr_kernarg_preload_offset 0
		.amdhsa_user_sgpr_private_segment_size 0
		.amdhsa_wavefront_size32 1
		.amdhsa_uses_dynamic_stack 0
		.amdhsa_enable_private_segment 0
		.amdhsa_system_sgpr_workgroup_id_x 1
		.amdhsa_system_sgpr_workgroup_id_y 0
		.amdhsa_system_sgpr_workgroup_id_z 0
		.amdhsa_system_sgpr_workgroup_info 0
		.amdhsa_system_vgpr_workitem_id 0
		.amdhsa_next_free_vgpr 22
		.amdhsa_next_free_sgpr 74
		.amdhsa_named_barrier_count 0
		.amdhsa_reserve_vcc 1
		.amdhsa_float_round_mode_32 0
		.amdhsa_float_round_mode_16_64 0
		.amdhsa_float_denorm_mode_32 3
		.amdhsa_float_denorm_mode_16_64 3
		.amdhsa_fp16_overflow 0
		.amdhsa_memory_ordered 1
		.amdhsa_forward_progress 1
		.amdhsa_inst_pref_size 39
		.amdhsa_round_robin_scheduling 0
		.amdhsa_exception_fp_ieee_invalid_op 0
		.amdhsa_exception_fp_denorm_src 0
		.amdhsa_exception_fp_ieee_div_zero 0
		.amdhsa_exception_fp_ieee_overflow 0
		.amdhsa_exception_fp_ieee_underflow 0
		.amdhsa_exception_fp_ieee_inexact 0
		.amdhsa_exception_int_div_zero 0
	.end_amdhsa_kernel
	.section	.text._ZN9rocsparseL41csrgemm_numeric_fill_block_per_row_kernelILj1024ELj64ELj8192ELj137ELj32Eii21rocsparse_complex_numIfEEEvT5_PKS3_S5_NS_24const_host_device_scalarIT6_EEPKT4_S5_PKS7_SB_S5_SD_S8_SB_S5_SD_SB_S5_PS7_21rocsparse_index_base_SF_SF_SF_bbb,"axG",@progbits,_ZN9rocsparseL41csrgemm_numeric_fill_block_per_row_kernelILj1024ELj64ELj8192ELj137ELj32Eii21rocsparse_complex_numIfEEEvT5_PKS3_S5_NS_24const_host_device_scalarIT6_EEPKT4_S5_PKS7_SB_S5_SD_S8_SB_S5_SD_SB_S5_PS7_21rocsparse_index_base_SF_SF_SF_bbb,comdat
.Lfunc_end52:
	.size	_ZN9rocsparseL41csrgemm_numeric_fill_block_per_row_kernelILj1024ELj64ELj8192ELj137ELj32Eii21rocsparse_complex_numIfEEEvT5_PKS3_S5_NS_24const_host_device_scalarIT6_EEPKT4_S5_PKS7_SB_S5_SD_S8_SB_S5_SD_SB_S5_PS7_21rocsparse_index_base_SF_SF_SF_bbb, .Lfunc_end52-_ZN9rocsparseL41csrgemm_numeric_fill_block_per_row_kernelILj1024ELj64ELj8192ELj137ELj32Eii21rocsparse_complex_numIfEEEvT5_PKS3_S5_NS_24const_host_device_scalarIT6_EEPKT4_S5_PKS7_SB_S5_SD_S8_SB_S5_SD_SB_S5_PS7_21rocsparse_index_base_SF_SF_SF_bbb
                                        ; -- End function
	.set _ZN9rocsparseL41csrgemm_numeric_fill_block_per_row_kernelILj1024ELj64ELj8192ELj137ELj32Eii21rocsparse_complex_numIfEEEvT5_PKS3_S5_NS_24const_host_device_scalarIT6_EEPKT4_S5_PKS7_SB_S5_SD_S8_SB_S5_SD_SB_S5_PS7_21rocsparse_index_base_SF_SF_SF_bbb.num_vgpr, 22
	.set _ZN9rocsparseL41csrgemm_numeric_fill_block_per_row_kernelILj1024ELj64ELj8192ELj137ELj32Eii21rocsparse_complex_numIfEEEvT5_PKS3_S5_NS_24const_host_device_scalarIT6_EEPKT4_S5_PKS7_SB_S5_SD_S8_SB_S5_SD_SB_S5_PS7_21rocsparse_index_base_SF_SF_SF_bbb.num_agpr, 0
	.set _ZN9rocsparseL41csrgemm_numeric_fill_block_per_row_kernelILj1024ELj64ELj8192ELj137ELj32Eii21rocsparse_complex_numIfEEEvT5_PKS3_S5_NS_24const_host_device_scalarIT6_EEPKT4_S5_PKS7_SB_S5_SD_S8_SB_S5_SD_SB_S5_PS7_21rocsparse_index_base_SF_SF_SF_bbb.numbered_sgpr, 74
	.set _ZN9rocsparseL41csrgemm_numeric_fill_block_per_row_kernelILj1024ELj64ELj8192ELj137ELj32Eii21rocsparse_complex_numIfEEEvT5_PKS3_S5_NS_24const_host_device_scalarIT6_EEPKT4_S5_PKS7_SB_S5_SD_S8_SB_S5_SD_SB_S5_PS7_21rocsparse_index_base_SF_SF_SF_bbb.num_named_barrier, 0
	.set _ZN9rocsparseL41csrgemm_numeric_fill_block_per_row_kernelILj1024ELj64ELj8192ELj137ELj32Eii21rocsparse_complex_numIfEEEvT5_PKS3_S5_NS_24const_host_device_scalarIT6_EEPKT4_S5_PKS7_SB_S5_SD_S8_SB_S5_SD_SB_S5_PS7_21rocsparse_index_base_SF_SF_SF_bbb.private_seg_size, 0
	.set _ZN9rocsparseL41csrgemm_numeric_fill_block_per_row_kernelILj1024ELj64ELj8192ELj137ELj32Eii21rocsparse_complex_numIfEEEvT5_PKS3_S5_NS_24const_host_device_scalarIT6_EEPKT4_S5_PKS7_SB_S5_SD_S8_SB_S5_SD_SB_S5_PS7_21rocsparse_index_base_SF_SF_SF_bbb.uses_vcc, 1
	.set _ZN9rocsparseL41csrgemm_numeric_fill_block_per_row_kernelILj1024ELj64ELj8192ELj137ELj32Eii21rocsparse_complex_numIfEEEvT5_PKS3_S5_NS_24const_host_device_scalarIT6_EEPKT4_S5_PKS7_SB_S5_SD_S8_SB_S5_SD_SB_S5_PS7_21rocsparse_index_base_SF_SF_SF_bbb.uses_flat_scratch, 0
	.set _ZN9rocsparseL41csrgemm_numeric_fill_block_per_row_kernelILj1024ELj64ELj8192ELj137ELj32Eii21rocsparse_complex_numIfEEEvT5_PKS3_S5_NS_24const_host_device_scalarIT6_EEPKT4_S5_PKS7_SB_S5_SD_S8_SB_S5_SD_SB_S5_PS7_21rocsparse_index_base_SF_SF_SF_bbb.has_dyn_sized_stack, 0
	.set _ZN9rocsparseL41csrgemm_numeric_fill_block_per_row_kernelILj1024ELj64ELj8192ELj137ELj32Eii21rocsparse_complex_numIfEEEvT5_PKS3_S5_NS_24const_host_device_scalarIT6_EEPKT4_S5_PKS7_SB_S5_SD_S8_SB_S5_SD_SB_S5_PS7_21rocsparse_index_base_SF_SF_SF_bbb.has_recursion, 0
	.set _ZN9rocsparseL41csrgemm_numeric_fill_block_per_row_kernelILj1024ELj64ELj8192ELj137ELj32Eii21rocsparse_complex_numIfEEEvT5_PKS3_S5_NS_24const_host_device_scalarIT6_EEPKT4_S5_PKS7_SB_S5_SD_S8_SB_S5_SD_SB_S5_PS7_21rocsparse_index_base_SF_SF_SF_bbb.has_indirect_call, 0
	.section	.AMDGPU.csdata,"",@progbits
; Kernel info:
; codeLenInByte = 4948
; TotalNumSgprs: 76
; NumVgprs: 22
; ScratchSize: 0
; MemoryBound: 0
; FloatMode: 240
; IeeeMode: 1
; LDSByteSize: 0 bytes/workgroup (compile time only)
; SGPRBlocks: 0
; VGPRBlocks: 1
; NumSGPRsForWavesPerEU: 76
; NumVGPRsForWavesPerEU: 22
; NamedBarCnt: 0
; Occupancy: 16
; WaveLimiterHint : 1
; COMPUTE_PGM_RSRC2:SCRATCH_EN: 0
; COMPUTE_PGM_RSRC2:USER_SGPR: 2
; COMPUTE_PGM_RSRC2:TRAP_HANDLER: 0
; COMPUTE_PGM_RSRC2:TGID_X_EN: 1
; COMPUTE_PGM_RSRC2:TGID_Y_EN: 0
; COMPUTE_PGM_RSRC2:TGID_Z_EN: 0
; COMPUTE_PGM_RSRC2:TIDIG_COMP_CNT: 0
	.section	.text._ZN9rocsparseL41csrgemm_numeric_fill_block_per_row_kernelILj1024ELj64ELj8192ELj137ELj64Eii21rocsparse_complex_numIfEEEvT5_PKS3_S5_NS_24const_host_device_scalarIT6_EEPKT4_S5_PKS7_SB_S5_SD_S8_SB_S5_SD_SB_S5_PS7_21rocsparse_index_base_SF_SF_SF_bbb,"axG",@progbits,_ZN9rocsparseL41csrgemm_numeric_fill_block_per_row_kernelILj1024ELj64ELj8192ELj137ELj64Eii21rocsparse_complex_numIfEEEvT5_PKS3_S5_NS_24const_host_device_scalarIT6_EEPKT4_S5_PKS7_SB_S5_SD_S8_SB_S5_SD_SB_S5_PS7_21rocsparse_index_base_SF_SF_SF_bbb,comdat
	.globl	_ZN9rocsparseL41csrgemm_numeric_fill_block_per_row_kernelILj1024ELj64ELj8192ELj137ELj64Eii21rocsparse_complex_numIfEEEvT5_PKS3_S5_NS_24const_host_device_scalarIT6_EEPKT4_S5_PKS7_SB_S5_SD_S8_SB_S5_SD_SB_S5_PS7_21rocsparse_index_base_SF_SF_SF_bbb ; -- Begin function _ZN9rocsparseL41csrgemm_numeric_fill_block_per_row_kernelILj1024ELj64ELj8192ELj137ELj64Eii21rocsparse_complex_numIfEEEvT5_PKS3_S5_NS_24const_host_device_scalarIT6_EEPKT4_S5_PKS7_SB_S5_SD_S8_SB_S5_SD_SB_S5_PS7_21rocsparse_index_base_SF_SF_SF_bbb
	.p2align	8
	.type	_ZN9rocsparseL41csrgemm_numeric_fill_block_per_row_kernelILj1024ELj64ELj8192ELj137ELj64Eii21rocsparse_complex_numIfEEEvT5_PKS3_S5_NS_24const_host_device_scalarIT6_EEPKT4_S5_PKS7_SB_S5_SD_S8_SB_S5_SD_SB_S5_PS7_21rocsparse_index_base_SF_SF_SF_bbb,@function
_ZN9rocsparseL41csrgemm_numeric_fill_block_per_row_kernelILj1024ELj64ELj8192ELj137ELj64Eii21rocsparse_complex_numIfEEEvT5_PKS3_S5_NS_24const_host_device_scalarIT6_EEPKT4_S5_PKS7_SB_S5_SD_S8_SB_S5_SD_SB_S5_PS7_21rocsparse_index_base_SF_SF_SF_bbb: ; @_ZN9rocsparseL41csrgemm_numeric_fill_block_per_row_kernelILj1024ELj64ELj8192ELj137ELj64Eii21rocsparse_complex_numIfEEEvT5_PKS3_S5_NS_24const_host_device_scalarIT6_EEPKT4_S5_PKS7_SB_S5_SD_S8_SB_S5_SD_SB_S5_PS7_21rocsparse_index_base_SF_SF_SF_bbb
; %bb.0:
	s_clause 0x7
	s_load_b32 s33, s[0:1], 0x98
	s_load_b128 s[16:19], s[0:1], 0x88
	s_load_b64 s[24:25], s[0:1], 0x80
	s_load_b128 s[4:7], s[0:1], 0x60
	s_load_b128 s[20:23], s[0:1], 0x8
	s_load_b64 s[2:3], s[0:1], 0x28
	s_load_b128 s[8:11], s[0:1], 0x40
	s_load_b64 s[36:37], s[0:1], 0x50
	s_mov_b32 s29, 0
	s_mov_b32 s39, 0
	s_wait_kmcnt 0x0
	s_bitcmp1_b32 s33, 0
	s_cselect_b32 s41, -1, 0
	s_bitcmp1_b32 s33, 16
	s_cselect_b32 s12, -1, 0
	s_delay_alu instid0(SALU_CYCLE_1) | instskip(SKIP_2) | instid1(VALU_DEP_1)
	s_xor_b32 s12, s12, -1
	s_bitcmp0_b32 s33, 0
	v_cndmask_b32_e64 v1, 0, 1, s12
	v_cmp_ne_u32_e32 vcc_lo, 1, v1
	s_cbranch_scc1 .LBB53_5
; %bb.1:
	s_load_b64 s[28:29], s[0:1], 0x18
	s_and_b32 vcc_lo, exec_lo, vcc_lo
	s_wait_kmcnt 0x0
	s_mov_b32 s39, s28
	s_cbranch_vccnz .LBB53_3
; %bb.2:
	s_load_b32 s39, s[28:29], 0x0
.LBB53_3:
	s_and_not1_b32 vcc_lo, exec_lo, s12
	s_cbranch_vccnz .LBB53_5
; %bb.4:
	s_wait_xcnt 0x0
	s_load_b32 s29, s[28:29], 0x4
.LBB53_5:
	s_clause 0x3
	s_load_b64 s[26:27], s[0:1], 0x70
	s_load_b64 s[30:31], s[0:1], 0x58
	;; [unrolled: 1-line block ×3, first 2 shown]
	s_load_b128 s[12:15], s[0:1], 0x30
	s_bitcmp1_b32 s33, 8
	s_mov_b32 s38, 0
	s_cselect_b32 s40, -1, 0
	s_wait_xcnt 0x0
	s_bfe_u32 s28, s33, 0x10008
	s_mov_b32 s33, 0
	s_cmp_eq_u32 s28, 0
	s_cbranch_scc1 .LBB53_11
; %bb.6:
	v_cmp_ne_u32_e32 vcc_lo, 1, v1
	s_mov_b32 s33, s36
	s_cbranch_vccnz .LBB53_8
; %bb.7:
	s_load_b32 s33, s[36:37], 0x0
.LBB53_8:
	v_cmp_ne_u32_e32 vcc_lo, 1, v1
	s_cbranch_vccnz .LBB53_10
; %bb.9:
	s_wait_xcnt 0x0
	s_load_b32 s37, s[36:37], 0x4
.LBB53_10:
	s_wait_kmcnt 0x0
	s_mov_b32 s38, s37
.LBB53_11:
	s_load_b32 s28, s[0:1], 0x0
	v_dual_lshlrev_b32 v2, 2, v0 :: v_dual_lshlrev_b32 v6, 3, v0
	s_wait_xcnt 0x0
	s_bfe_u32 s1, ttmp6, 0x4000c
	v_mov_b32_e32 v4, 0
	s_add_co_i32 s1, s1, 1
	v_add_nc_u32_e32 v1, 0, v2
	v_add3_u32 v3, 0x8000, 0, v6
	s_mul_i32 s1, ttmp9, s1
	s_delay_alu instid0(VALU_DEP_2) | instskip(SKIP_1) | instid1(VALU_DEP_2)
	v_add_nc_u32_e32 v2, v1, v2
	s_wait_kmcnt 0x0
	v_dual_mov_b32 v12, s28 :: v_dual_add_nc_u32 v5, 0x8000, v3
	s_delay_alu instid0(VALU_DEP_2)
	v_dual_mov_b32 v10, s28 :: v_dual_add_nc_u32 v7, 0x8000, v2
	v_mov_b32_e32 v14, s28
	v_add_nc_u32_e32 v8, 0xa000, v2
	v_add_nc_u32_e32 v9, 0xc000, v2
	v_dual_mov_b32 v11, s28 :: v_dual_add_nc_u32 v2, 0xe000, v2
	ds_store_2addr_b32 v7, v4, v4 offset1:1
	v_dual_mov_b32 v7, s28 :: v_dual_mov_b32 v13, s28
	ds_store_2addr_stride64_b32 v1, v10, v7 offset1:16
	ds_store_2addr_b32 v8, v4, v4 offset1:1
	ds_store_2addr_b32 v9, v4, v4 offset1:1
	ds_store_2addr_stride64_b32 v1, v11, v12 offset0:32 offset1:48
	ds_store_2addr_b32 v2, v4, v4 offset1:1
	ds_store_b32 v1, v13 offset:16384
	ds_store_2addr_b32 v5, v4, v4 offset1:1
	ds_store_b32 v1, v14 offset:20480
	v_dual_mov_b32 v5, s28 :: v_dual_add_nc_u32 v2, 0xa000, v3
	v_dual_mov_b32 v8, s28 :: v_dual_add_nc_u32 v7, 0xc000, v3
	v_add_nc_u32_e32 v3, 0xe000, v3
	ds_store_2addr_b32 v2, v4, v4 offset1:1
	ds_store_b32 v1, v5 offset:24576
	ds_store_2addr_b32 v7, v4, v4 offset1:1
	ds_store_b32 v1, v8 offset:28672
	ds_store_2addr_b32 v3, v4, v4 offset1:1
	s_wait_dscnt 0x0
	s_barrier_signal -1
	s_barrier_wait -1
	s_load_b32 s0, s[20:21], 0x0
	s_wait_xcnt 0x0
	s_and_b32 s20, ttmp6, 15
	s_getreg_b32 s21, hwreg(HW_REG_IB_STS2, 6, 4)
	s_add_co_i32 s20, s20, s1
	s_cmp_eq_u32 s21, 0
	v_lshrrev_b32_e32 v7, 6, v0
	s_cselect_b32 s1, ttmp9, s20
	s_and_not1_b32 vcc_lo, exec_lo, s41
	s_wait_kmcnt 0x0
	s_add_co_i32 s0, s0, s1
	s_load_b32 s20, s[22:23], s0 offset:0x0 scale_offset
	s_cbranch_vccnz .LBB53_29
; %bb.12:
	s_wait_kmcnt 0x0
	s_ashr_i32 s21, s20, 31
	v_subrev_nc_u32_e32 v2, s16, v7
	s_lshl_b64 s[0:1], s[20:21], 2
	s_delay_alu instid0(SALU_CYCLE_1)
	s_add_nc_u64 s[0:1], s[34:35], s[0:1]
	s_load_b64 s[22:23], s[0:1], 0x0
	s_wait_xcnt 0x0
	s_mov_b32 s1, exec_lo
	s_wait_kmcnt 0x0
	v_add_nc_u32_e32 v2, s22, v2
	s_sub_co_i32 s0, s23, s16
	s_delay_alu instid0(VALU_DEP_1) | instid1(SALU_CYCLE_1)
	v_cmpx_gt_i32_e64 s0, v2
	s_cbranch_execz .LBB53_28
; %bb.13:
	v_and_b32_e32 v3, 63, v0
	s_mov_b32 s21, 0
	s_delay_alu instid0(VALU_DEP_1)
	v_subrev_nc_u32_e32 v8, s17, v3
	s_branch .LBB53_15
.LBB53_14:                              ;   in Loop: Header=BB53_15 Depth=1
	s_or_b32 exec_lo, exec_lo, s22
	v_add_nc_u32_e32 v2, 16, v2
	s_delay_alu instid0(VALU_DEP_1) | instskip(SKIP_1) | instid1(SALU_CYCLE_1)
	v_cmp_le_i32_e32 vcc_lo, s0, v2
	s_or_b32 s21, vcc_lo, s21
	s_and_not1_b32 exec_lo, exec_lo, s21
	s_cbranch_execz .LBB53_28
.LBB53_15:                              ; =>This Loop Header: Depth=1
                                        ;     Child Loop BB53_19 Depth 2
                                        ;       Child Loop BB53_22 Depth 3
	global_load_b32 v3, v2, s[2:3] scale_offset
	s_mov_b32 s22, exec_lo
	s_wait_loadcnt 0x0
	v_subrev_nc_u32_e32 v4, s16, v3
	s_delay_alu instid0(VALU_DEP_1) | instskip(NEXT) | instid1(VALU_DEP_1)
	v_ashrrev_i32_e32 v5, 31, v4
	v_lshl_add_u64 v[4:5], v[4:5], 2, s[14:15]
	global_load_b64 v[4:5], v[4:5], off
	s_wait_loadcnt 0x0
	v_subrev_nc_u32_e32 v9, s17, v5
	v_add_nc_u32_e32 v10, v4, v8
	s_wait_xcnt 0x0
	s_delay_alu instid0(VALU_DEP_1)
	v_cmpx_lt_i32_e64 v10, v9
	s_cbranch_execz .LBB53_14
; %bb.16:                               ;   in Loop: Header=BB53_15 Depth=1
	v_ashrrev_i32_e32 v3, 31, v2
	s_mov_b32 s23, 0
	s_delay_alu instid0(VALU_DEP_1) | instskip(SKIP_3) | instid1(VALU_DEP_1)
	v_lshl_add_u64 v[4:5], v[2:3], 3, s[12:13]
	global_load_b64 v[4:5], v[4:5], off
	s_wait_loadcnt 0x0
	v_mul_f32_e64 v3, v5, -s29
	v_dual_mul_f32 v11, s39, v5 :: v_dual_fmac_f32 v3, s39, v4
	s_delay_alu instid0(VALU_DEP_1)
	v_fmac_f32_e32 v11, s29, v4
	s_branch .LBB53_19
.LBB53_17:                              ;   in Loop: Header=BB53_19 Depth=2
	s_or_b32 exec_lo, exec_lo, s35
.LBB53_18:                              ;   in Loop: Header=BB53_19 Depth=2
	s_delay_alu instid0(SALU_CYCLE_1) | instskip(SKIP_3) | instid1(VALU_DEP_2)
	s_or_b32 exec_lo, exec_lo, s34
	s_wait_loadcnt 0x0
	v_dual_mul_f32 v13, v5, -v11 :: v_dual_mul_f32 v5, v3, v5
	v_lshl_add_u32 v12, v12, 3, 0
	v_dual_fmac_f32 v13, v3, v4 :: v_dual_add_nc_u32 v10, 64, v10
	s_delay_alu instid0(VALU_DEP_3) | instskip(SKIP_4) | instid1(SALU_CYCLE_1)
	v_fmac_f32_e32 v5, v11, v4
	ds_add_f32 v12, v13 offset:32768
	ds_add_f32 v12, v5 offset:32772
	v_cmp_ge_i32_e32 vcc_lo, v10, v9
	s_or_b32 s23, vcc_lo, s23
	s_and_not1_b32 exec_lo, exec_lo, s23
	s_cbranch_execz .LBB53_14
.LBB53_19:                              ;   Parent Loop BB53_15 Depth=1
                                        ; =>  This Loop Header: Depth=2
                                        ;       Child Loop BB53_22 Depth 3
	s_clause 0x1
	global_load_b32 v12, v10, s[8:9] scale_offset
	global_load_b64 v[4:5], v10, s[10:11] scale_offset
	s_mov_b32 s34, exec_lo
	s_wait_loadcnt 0x1
	v_subrev_nc_u32_e32 v13, s17, v12
	s_delay_alu instid0(VALU_DEP_1) | instskip(NEXT) | instid1(VALU_DEP_1)
	v_mul_lo_u32 v12, 0x89, v13
	v_and_b32_e32 v12, 0x1fff, v12
	s_delay_alu instid0(VALU_DEP_1)
	v_lshl_add_u32 v14, v12, 2, 0
	ds_load_b32 v15, v14
	s_wait_dscnt 0x0
	s_wait_xcnt 0x0
	v_cmpx_ne_u32_e64 v15, v13
	s_cbranch_execz .LBB53_18
; %bb.20:                               ;   in Loop: Header=BB53_19 Depth=2
	s_mov_b32 s35, 0
	s_branch .LBB53_22
.LBB53_21:                              ;   in Loop: Header=BB53_22 Depth=3
	s_or_b32 exec_lo, exec_lo, s41
	s_delay_alu instid0(SALU_CYCLE_1) | instskip(NEXT) | instid1(SALU_CYCLE_1)
	s_and_b32 s36, exec_lo, s37
	s_or_b32 s35, s36, s35
	s_delay_alu instid0(SALU_CYCLE_1)
	s_and_not1_b32 exec_lo, exec_lo, s35
	s_cbranch_execz .LBB53_17
.LBB53_22:                              ;   Parent Loop BB53_15 Depth=1
                                        ;     Parent Loop BB53_19 Depth=2
                                        ; =>    This Inner Loop Header: Depth=3
	s_mov_b32 s36, 0
	s_mov_b32 s37, exec_lo
	v_cmpx_ne_u32_e64 s28, v15
	s_xor_b32 s37, exec_lo, s37
	s_cbranch_execz .LBB53_24
; %bb.23:                               ;   in Loop: Header=BB53_22 Depth=3
	v_add_nc_u32_e32 v12, 1, v12
	s_mov_b32 s36, exec_lo
                                        ; implicit-def: $vgpr14
	s_delay_alu instid0(VALU_DEP_1)
	v_and_b32_e32 v12, 0x1fff, v12
	s_and_not1_saveexec_b32 s37, s37
	s_cbranch_execz .LBB53_26
	s_branch .LBB53_25
.LBB53_24:                              ;   in Loop: Header=BB53_22 Depth=3
	s_and_not1_saveexec_b32 s37, s37
	s_cbranch_execz .LBB53_26
.LBB53_25:                              ;   in Loop: Header=BB53_22 Depth=3
	v_mov_b32_e32 v15, s28
	s_and_not1_b32 s36, s36, exec_lo
	ds_cmpstore_rtn_b32 v14, v14, v13, v15
	s_wait_dscnt 0x0
	v_cmp_ne_u32_e32 vcc_lo, s28, v14
	s_and_b32 s41, vcc_lo, exec_lo
	s_delay_alu instid0(SALU_CYCLE_1)
	s_or_b32 s36, s36, s41
.LBB53_26:                              ;   in Loop: Header=BB53_22 Depth=3
	s_or_b32 exec_lo, exec_lo, s37
	s_mov_b32 s37, -1
                                        ; implicit-def: $vgpr14
                                        ; implicit-def: $vgpr15
	s_and_saveexec_b32 s41, s36
	s_cbranch_execz .LBB53_21
; %bb.27:                               ;   in Loop: Header=BB53_22 Depth=3
	v_lshl_add_u32 v14, v12, 2, 0
	ds_load_b32 v15, v14
	s_wait_dscnt 0x0
	v_cmp_eq_u32_e32 vcc_lo, v15, v13
	s_or_not1_b32 s37, vcc_lo, exec_lo
	s_branch .LBB53_21
.LBB53_28:
	s_or_b32 exec_lo, exec_lo, s1
.LBB53_29:
	s_delay_alu instid0(SALU_CYCLE_1)
	s_and_not1_b32 vcc_lo, exec_lo, s40
	s_cbranch_vccnz .LBB53_44
; %bb.30:
	s_wait_kmcnt 0x0
	s_ashr_i32 s21, s20, 31
	v_subrev_nc_u32_e32 v2, s19, v0
	s_lshl_b64 s[0:1], s[20:21], 2
	s_delay_alu instid0(SALU_CYCLE_1)
	s_add_nc_u64 s[0:1], s[30:31], s[0:1]
	s_load_b64 s[2:3], s[0:1], 0x0
	s_wait_xcnt 0x0
	s_mov_b32 s1, exec_lo
	s_wait_kmcnt 0x0
	v_add_nc_u32_e32 v4, s2, v2
	s_sub_co_i32 s0, s3, s19
	s_delay_alu instid0(VALU_DEP_1) | instid1(SALU_CYCLE_1)
	v_cmpx_gt_i32_e64 s0, v4
	s_cbranch_execz .LBB53_43
; %bb.31:
	s_mov_b32 s2, 0
	s_branch .LBB53_34
.LBB53_32:                              ;   in Loop: Header=BB53_34 Depth=1
	s_or_b32 exec_lo, exec_lo, s8
.LBB53_33:                              ;   in Loop: Header=BB53_34 Depth=1
	s_delay_alu instid0(SALU_CYCLE_1)
	s_or_b32 exec_lo, exec_lo, s3
	s_wait_loadcnt 0x0
	v_mul_f32_e64 v8, v3, -s38
	v_mul_f32_e32 v3, s33, v3
	v_lshl_add_u32 v5, v5, 3, 0
	v_add_nc_u32_e32 v4, 0x400, v4
	s_delay_alu instid0(VALU_DEP_3) | instskip(SKIP_4) | instid1(SALU_CYCLE_1)
	v_dual_fmac_f32 v8, s33, v2 :: v_dual_fmac_f32 v3, s38, v2
	ds_add_f32 v5, v8 offset:32768
	ds_add_f32 v5, v3 offset:32772
	v_cmp_le_i32_e32 vcc_lo, s0, v4
	s_or_b32 s2, vcc_lo, s2
	s_and_not1_b32 exec_lo, exec_lo, s2
	s_cbranch_execz .LBB53_43
.LBB53_34:                              ; =>This Loop Header: Depth=1
                                        ;     Child Loop BB53_37 Depth 2
	s_clause 0x1
	global_load_b32 v5, v4, s[4:5] scale_offset
	global_load_b64 v[2:3], v4, s[6:7] scale_offset
	s_mov_b32 s3, exec_lo
	s_wait_loadcnt 0x1
	v_subrev_nc_u32_e32 v8, s19, v5
	s_delay_alu instid0(VALU_DEP_1) | instskip(NEXT) | instid1(VALU_DEP_1)
	v_mul_lo_u32 v5, 0x89, v8
	v_and_b32_e32 v5, 0x1fff, v5
	s_delay_alu instid0(VALU_DEP_1)
	v_lshl_add_u32 v9, v5, 2, 0
	ds_load_b32 v10, v9
	s_wait_dscnt 0x0
	s_wait_xcnt 0x0
	v_cmpx_ne_u32_e64 v10, v8
	s_cbranch_execz .LBB53_33
; %bb.35:                               ;   in Loop: Header=BB53_34 Depth=1
	s_mov_b32 s8, 0
	s_branch .LBB53_37
.LBB53_36:                              ;   in Loop: Header=BB53_37 Depth=2
	s_or_b32 exec_lo, exec_lo, s11
	s_delay_alu instid0(SALU_CYCLE_1) | instskip(NEXT) | instid1(SALU_CYCLE_1)
	s_and_b32 s9, exec_lo, s10
	s_or_b32 s8, s9, s8
	s_delay_alu instid0(SALU_CYCLE_1)
	s_and_not1_b32 exec_lo, exec_lo, s8
	s_cbranch_execz .LBB53_32
.LBB53_37:                              ;   Parent Loop BB53_34 Depth=1
                                        ; =>  This Inner Loop Header: Depth=2
	s_mov_b32 s9, 0
	s_mov_b32 s10, exec_lo
	v_cmpx_ne_u32_e64 s28, v10
	s_xor_b32 s10, exec_lo, s10
	s_cbranch_execz .LBB53_39
; %bb.38:                               ;   in Loop: Header=BB53_37 Depth=2
	v_add_nc_u32_e32 v5, 1, v5
	s_mov_b32 s9, exec_lo
                                        ; implicit-def: $vgpr9
	s_delay_alu instid0(VALU_DEP_1)
	v_and_b32_e32 v5, 0x1fff, v5
	s_and_not1_saveexec_b32 s10, s10
	s_cbranch_execz .LBB53_41
	s_branch .LBB53_40
.LBB53_39:                              ;   in Loop: Header=BB53_37 Depth=2
	s_and_not1_saveexec_b32 s10, s10
	s_cbranch_execz .LBB53_41
.LBB53_40:                              ;   in Loop: Header=BB53_37 Depth=2
	v_mov_b32_e32 v10, s28
	s_and_not1_b32 s9, s9, exec_lo
	ds_cmpstore_rtn_b32 v9, v9, v8, v10
	s_wait_dscnt 0x0
	v_cmp_ne_u32_e32 vcc_lo, s28, v9
	s_and_b32 s11, vcc_lo, exec_lo
	s_delay_alu instid0(SALU_CYCLE_1)
	s_or_b32 s9, s9, s11
.LBB53_41:                              ;   in Loop: Header=BB53_37 Depth=2
	s_or_b32 exec_lo, exec_lo, s10
	s_mov_b32 s10, -1
                                        ; implicit-def: $vgpr9
                                        ; implicit-def: $vgpr10
	s_and_saveexec_b32 s11, s9
	s_cbranch_execz .LBB53_36
; %bb.42:                               ;   in Loop: Header=BB53_37 Depth=2
	v_lshl_add_u32 v9, v5, 2, 0
	ds_load_b32 v10, v9
	s_wait_dscnt 0x0
	v_cmp_eq_u32_e32 vcc_lo, v10, v8
	s_or_not1_b32 s10, vcc_lo, exec_lo
	s_branch .LBB53_36
.LBB53_43:
	s_or_b32 exec_lo, exec_lo, s1
.LBB53_44:
	v_mbcnt_lo_u32_b32 v2, -1, 0
	v_lshlrev_b32_e32 v4, 2, v7
	s_add_co_i32 s36, 0, 0x1803c
	s_delay_alu instid0(SALU_CYCLE_1) | instskip(NEXT) | instid1(VALU_DEP_3)
	v_dual_mov_b32 v3, 0 :: v_dual_mov_b32 v9, s36
	v_xor_b32_e32 v2, 31, v2
	s_delay_alu instid0(VALU_DEP_3)
	v_add3_u32 v7, 0x18000, 0, v4
	s_wait_xcnt 0x0
	v_cmp_lt_u32_e64 s0, 63, v0
	v_cmp_lt_u32_e64 s1, 0x7f, v0
	;; [unrolled: 1-line block ×3, first 2 shown]
	v_lshrrev_b32_e64 v2, v2, -1
	v_cmp_lt_u32_e64 s3, 0xff, v0
	v_cmp_lt_u32_e64 s4, 0x13f, v0
	;; [unrolled: 1-line block ×12, first 2 shown]
	v_add3_u32 v6, v6, 0, 0x8000
	v_or_b32_e32 v8, 0xfffffc00, v0
	s_mov_b32 s16, 0
	s_add_co_i32 s17, 0, 0x18000
	s_add_co_i32 s19, 0, 0x18004
	;; [unrolled: 1-line block ×15, first 2 shown]
	s_wait_dscnt 0x0
	s_barrier_signal -1
	s_barrier_wait -1
	v_cmp_eq_u32_e32 vcc_lo, 0x3ff, v0
	s_branch .LBB53_46
.LBB53_45:                              ;   in Loop: Header=BB53_46 Depth=1
	s_or_b32 exec_lo, exec_lo, s15
	s_wait_dscnt 0x0
	s_barrier_signal -1
	s_barrier_wait -1
	ds_load_b32 v4, v9
	v_add_nc_u32_e32 v8, 0x400, v8
	v_add_nc_u32_e32 v6, 0x2000, v6
	;; [unrolled: 1-line block ×3, first 2 shown]
	s_delay_alu instid0(VALU_DEP_3)
	v_cmp_lt_u32_e64 s15, 0x1bff, v8
	s_or_b32 s16, s15, s16
	s_wait_dscnt 0x0
	v_add_nc_u32_e32 v3, v4, v3
	s_and_not1_b32 exec_lo, exec_lo, s16
	s_cbranch_execz .LBB53_80
.LBB53_46:                              ; =>This Inner Loop Header: Depth=1
	ds_load_b32 v10, v1
	ds_load_2addr_b32 v[4:5], v6 offset1:1
	s_wait_dscnt 0x0
	s_barrier_signal -1
	s_barrier_wait -1
	v_cmp_gt_i32_e64 s15, s28, v10
	s_bcnt1_i32_b32 s41, s15
	s_delay_alu instid0(SALU_CYCLE_1) | instskip(NEXT) | instid1(VALU_DEP_1)
	v_dual_mov_b32 v12, s41 :: v_dual_bitop2_b32 v11, s15, v2 bitop3:0x40
	v_bcnt_u32_b32 v11, v11, 0
	ds_store_b32 v7, v12
	s_wait_dscnt 0x0
	s_barrier_signal -1
	s_barrier_wait -1
	s_and_saveexec_b32 s41, s0
	s_cbranch_execz .LBB53_63
; %bb.47:                               ;   in Loop: Header=BB53_46 Depth=1
	v_mov_b32_e32 v12, s17
	ds_load_b32 v12, v12
	s_wait_dscnt 0x0
	v_add_nc_u32_e32 v11, v12, v11
	s_or_b32 exec_lo, exec_lo, s41
	s_and_saveexec_b32 s41, s1
	s_cbranch_execnz .LBB53_64
.LBB53_48:                              ;   in Loop: Header=BB53_46 Depth=1
	s_or_b32 exec_lo, exec_lo, s41
	s_and_saveexec_b32 s41, s2
	s_cbranch_execz .LBB53_65
.LBB53_49:                              ;   in Loop: Header=BB53_46 Depth=1
	v_mov_b32_e32 v12, s21
	ds_load_b32 v12, v12
	s_wait_dscnt 0x0
	v_add_nc_u32_e32 v11, v12, v11
	s_or_b32 exec_lo, exec_lo, s41
	s_and_saveexec_b32 s41, s3
	s_cbranch_execnz .LBB53_66
.LBB53_50:                              ;   in Loop: Header=BB53_46 Depth=1
	s_or_b32 exec_lo, exec_lo, s41
	s_and_saveexec_b32 s41, s4
	s_cbranch_execz .LBB53_67
.LBB53_51:                              ;   in Loop: Header=BB53_46 Depth=1
	v_mov_b32_e32 v12, s23
	ds_load_b32 v12, v12
	s_wait_dscnt 0x0
	v_add_nc_u32_e32 v11, v12, v11
	s_or_b32 exec_lo, exec_lo, s41
	s_and_saveexec_b32 s41, s5
	s_cbranch_execnz .LBB53_68
.LBB53_52:                              ;   in Loop: Header=BB53_46 Depth=1
	s_or_b32 exec_lo, exec_lo, s41
	s_and_saveexec_b32 s41, s6
	s_cbranch_execz .LBB53_69
.LBB53_53:                              ;   in Loop: Header=BB53_46 Depth=1
	v_mov_b32_e32 v12, s30
	ds_load_b32 v12, v12
	s_wait_dscnt 0x0
	v_add_nc_u32_e32 v11, v12, v11
	s_or_b32 exec_lo, exec_lo, s41
	s_and_saveexec_b32 s41, s7
	s_cbranch_execnz .LBB53_70
.LBB53_54:                              ;   in Loop: Header=BB53_46 Depth=1
	s_or_b32 exec_lo, exec_lo, s41
	s_and_saveexec_b32 s41, s8
	s_cbranch_execz .LBB53_71
.LBB53_55:                              ;   in Loop: Header=BB53_46 Depth=1
	v_mov_b32_e32 v12, s33
	ds_load_b32 v12, v12
	s_wait_dscnt 0x0
	v_add_nc_u32_e32 v11, v12, v11
	s_or_b32 exec_lo, exec_lo, s41
	s_and_saveexec_b32 s41, s9
	s_cbranch_execnz .LBB53_72
.LBB53_56:                              ;   in Loop: Header=BB53_46 Depth=1
	s_or_b32 exec_lo, exec_lo, s41
	s_and_saveexec_b32 s41, s10
	s_cbranch_execz .LBB53_73
.LBB53_57:                              ;   in Loop: Header=BB53_46 Depth=1
	v_mov_b32_e32 v12, s35
	ds_load_b32 v12, v12
	s_wait_dscnt 0x0
	v_add_nc_u32_e32 v11, v12, v11
	s_or_b32 exec_lo, exec_lo, s41
	s_and_saveexec_b32 s41, s11
	s_cbranch_execnz .LBB53_74
.LBB53_58:                              ;   in Loop: Header=BB53_46 Depth=1
	s_or_b32 exec_lo, exec_lo, s41
	s_and_saveexec_b32 s41, s12
	s_cbranch_execz .LBB53_75
.LBB53_59:                              ;   in Loop: Header=BB53_46 Depth=1
	v_mov_b32_e32 v12, s38
	ds_load_b32 v12, v12
	s_wait_dscnt 0x0
	v_add_nc_u32_e32 v11, v12, v11
	s_or_b32 exec_lo, exec_lo, s41
	s_and_saveexec_b32 s41, s13
	s_cbranch_execnz .LBB53_76
.LBB53_60:                              ;   in Loop: Header=BB53_46 Depth=1
	s_or_b32 exec_lo, exec_lo, s41
	s_and_saveexec_b32 s41, s14
	s_cbranch_execz .LBB53_77
.LBB53_61:                              ;   in Loop: Header=BB53_46 Depth=1
	v_mov_b32_e32 v12, s40
	ds_load_b32 v12, v12
	s_wait_dscnt 0x0
	v_add_nc_u32_e32 v11, v12, v11
	s_or_b32 exec_lo, exec_lo, s41
	s_and_saveexec_b32 s41, s15
	s_cbranch_execnz .LBB53_78
.LBB53_62:                              ;   in Loop: Header=BB53_46 Depth=1
	s_or_b32 exec_lo, exec_lo, s41
	s_and_saveexec_b32 s15, vcc_lo
	s_cbranch_execz .LBB53_45
	s_branch .LBB53_79
.LBB53_63:                              ;   in Loop: Header=BB53_46 Depth=1
	s_or_b32 exec_lo, exec_lo, s41
	s_and_saveexec_b32 s41, s1
	s_cbranch_execz .LBB53_48
.LBB53_64:                              ;   in Loop: Header=BB53_46 Depth=1
	v_mov_b32_e32 v12, s19
	ds_load_b32 v12, v12
	s_wait_dscnt 0x0
	v_add_nc_u32_e32 v11, v12, v11
	s_or_b32 exec_lo, exec_lo, s41
	s_and_saveexec_b32 s41, s2
	s_cbranch_execnz .LBB53_49
.LBB53_65:                              ;   in Loop: Header=BB53_46 Depth=1
	s_or_b32 exec_lo, exec_lo, s41
	s_and_saveexec_b32 s41, s3
	s_cbranch_execz .LBB53_50
.LBB53_66:                              ;   in Loop: Header=BB53_46 Depth=1
	v_mov_b32_e32 v12, s22
	ds_load_b32 v12, v12
	s_wait_dscnt 0x0
	v_add_nc_u32_e32 v11, v12, v11
	s_or_b32 exec_lo, exec_lo, s41
	s_and_saveexec_b32 s41, s4
	s_cbranch_execnz .LBB53_51
.LBB53_67:                              ;   in Loop: Header=BB53_46 Depth=1
	s_or_b32 exec_lo, exec_lo, s41
	s_and_saveexec_b32 s41, s5
	s_cbranch_execz .LBB53_52
.LBB53_68:                              ;   in Loop: Header=BB53_46 Depth=1
	v_mov_b32_e32 v12, s29
	ds_load_b32 v12, v12
	s_wait_dscnt 0x0
	v_add_nc_u32_e32 v11, v12, v11
	s_or_b32 exec_lo, exec_lo, s41
	s_and_saveexec_b32 s41, s6
	s_cbranch_execnz .LBB53_53
.LBB53_69:                              ;   in Loop: Header=BB53_46 Depth=1
	s_or_b32 exec_lo, exec_lo, s41
	s_and_saveexec_b32 s41, s7
	s_cbranch_execz .LBB53_54
.LBB53_70:                              ;   in Loop: Header=BB53_46 Depth=1
	v_mov_b32_e32 v12, s31
	ds_load_b32 v12, v12
	s_wait_dscnt 0x0
	v_add_nc_u32_e32 v11, v12, v11
	s_or_b32 exec_lo, exec_lo, s41
	s_and_saveexec_b32 s41, s8
	s_cbranch_execnz .LBB53_55
.LBB53_71:                              ;   in Loop: Header=BB53_46 Depth=1
	s_or_b32 exec_lo, exec_lo, s41
	s_and_saveexec_b32 s41, s9
	s_cbranch_execz .LBB53_56
.LBB53_72:                              ;   in Loop: Header=BB53_46 Depth=1
	v_mov_b32_e32 v12, s34
	ds_load_b32 v12, v12
	s_wait_dscnt 0x0
	v_add_nc_u32_e32 v11, v12, v11
	s_or_b32 exec_lo, exec_lo, s41
	s_and_saveexec_b32 s41, s10
	s_cbranch_execnz .LBB53_57
.LBB53_73:                              ;   in Loop: Header=BB53_46 Depth=1
	s_or_b32 exec_lo, exec_lo, s41
	s_and_saveexec_b32 s41, s11
	s_cbranch_execz .LBB53_58
.LBB53_74:                              ;   in Loop: Header=BB53_46 Depth=1
	v_mov_b32_e32 v12, s37
	ds_load_b32 v12, v12
	s_wait_dscnt 0x0
	v_add_nc_u32_e32 v11, v12, v11
	s_or_b32 exec_lo, exec_lo, s41
	s_and_saveexec_b32 s41, s12
	s_cbranch_execnz .LBB53_59
.LBB53_75:                              ;   in Loop: Header=BB53_46 Depth=1
	s_or_b32 exec_lo, exec_lo, s41
	s_and_saveexec_b32 s41, s13
	s_cbranch_execz .LBB53_60
.LBB53_76:                              ;   in Loop: Header=BB53_46 Depth=1
	v_mov_b32_e32 v12, s39
	ds_load_b32 v12, v12
	s_wait_dscnt 0x0
	v_add_nc_u32_e32 v11, v12, v11
	s_or_b32 exec_lo, exec_lo, s41
	s_and_saveexec_b32 s41, s14
	s_cbranch_execnz .LBB53_61
.LBB53_77:                              ;   in Loop: Header=BB53_46 Depth=1
	s_or_b32 exec_lo, exec_lo, s41
	s_and_saveexec_b32 s41, s15
	s_cbranch_execz .LBB53_62
.LBB53_78:                              ;   in Loop: Header=BB53_46 Depth=1
	s_delay_alu instid0(VALU_DEP_1) | instskip(SKIP_1) | instid1(VALU_DEP_2)
	v_add3_u32 v12, v3, -1, v11
	v_add_lshl_u32 v13, v3, v11, 3
	v_lshl_add_u32 v12, v12, 2, 0
	s_delay_alu instid0(VALU_DEP_2)
	v_add3_u32 v13, 0, v13, 0x7ff8
	ds_store_b32 v12, v10
	ds_store_2addr_b32 v13, v4, v5 offset1:1
	s_or_b32 exec_lo, exec_lo, s41
	s_and_saveexec_b32 s15, vcc_lo
	s_cbranch_execz .LBB53_45
.LBB53_79:                              ;   in Loop: Header=BB53_46 Depth=1
	v_mov_b32_e32 v4, s36
	ds_store_b32 v4, v11
	s_branch .LBB53_45
.LBB53_80:
	s_or_b32 exec_lo, exec_lo, s16
	s_wait_kmcnt 0x0
	s_ashr_i32 s21, s20, 31
	s_delay_alu instid0(SALU_CYCLE_1) | instskip(NEXT) | instid1(SALU_CYCLE_1)
	s_lshl_b64 s[0:1], s[20:21], 2
	s_add_nc_u64 s[2:3], s[26:27], s[0:1]
	s_load_b64 s[0:1], s[2:3], 0x0
	s_wait_kmcnt 0x0
	s_sub_co_i32 s4, s1, s0
	s_mov_b32 s1, exec_lo
	v_cmpx_gt_i32_e64 s4, v0
	s_cbranch_execz .LBB53_94
; %bb.81:
	v_sub_co_u32 v1, s1, s4, 2
	s_sub_co_i32 s2, s0, s18
	s_xor_b32 s6, s1, -1
	s_and_b32 s5, s4, -2
	v_readfirstlane_b32 s3, v1
	s_lshr_b32 s0, s3, 1
	s_mov_b32 s3, 0
	s_add_co_i32 s0, s0, 1
	s_mov_b32 s11, s3
	s_and_b32 s1, s0, 7
	s_and_b32 s7, s0, -8
	s_cmp_lg_u32 s1, 0
	v_cmp_lt_u32_e64 s0, 13, v1
	s_cselect_b32 s8, -1, 0
	s_cmp_lg_u32 s4, s5
	s_cselect_b32 s9, -1, 0
	s_lshl_b32 s10, s1, 3
	s_branch .LBB53_83
.LBB53_82:                              ;   in Loop: Header=BB53_83 Depth=1
	v_add_nc_u32_e32 v0, 0x400, v0
	s_wait_dscnt 0x0
	global_store_b64 v4, v[2:3], s[24:25] scale_offset
	v_cmp_le_i32_e32 vcc_lo, s4, v0
	s_or_b32 s11, vcc_lo, s11
	s_wait_xcnt 0x0
	s_and_not1_b32 exec_lo, exec_lo, s11
	s_cbranch_execz .LBB53_94
.LBB53_83:                              ; =>This Loop Header: Depth=1
                                        ;     Child Loop BB53_86 Depth 2
                                        ;     Child Loop BB53_89 Depth 2
	;; [unrolled: 1-line block ×3, first 2 shown]
	v_dual_mov_b32 v4, s2 :: v_dual_lshlrev_b32 v1, 2, v0
	s_and_not1_b32 vcc_lo, exec_lo, s6
	s_mov_b32 s1, 0
	s_mov_b32 s12, -1
	s_delay_alu instid0(VALU_DEP_1) | instskip(NEXT) | instid1(VALU_DEP_1)
	v_add_nc_u32_e32 v2, 0, v1
	v_add3_u32 v3, v2, v1, 0x8000
	ds_load_b32 v1, v2
	ds_load_2addr_b32 v[2:3], v3 offset1:1
	s_cbranch_vccnz .LBB53_91
; %bb.84:                               ;   in Loop: Header=BB53_83 Depth=1
	v_mov_b64_e32 v[4:5], s[2:3]
	s_and_not1_b32 vcc_lo, exec_lo, s0
	s_mov_b32 s12, 0
	s_cbranch_vccnz .LBB53_87
; %bb.85:                               ;   in Loop: Header=BB53_83 Depth=1
	v_dual_mov_b32 v4, s2 :: v_dual_mov_b32 v5, 0
	s_mov_b32 s13, 0
	s_mov_b32 s14, s7
.LBB53_86:                              ;   Parent Loop BB53_83 Depth=1
                                        ; =>  This Inner Loop Header: Depth=2
	v_mov_b32_e32 v20, s13
	s_add_co_i32 s14, s14, -8
	s_add_co_i32 s12, s12, 16
	s_add_co_i32 s13, s13, 64
	s_cmp_lg_u32 s14, 0
	ds_load_2addr_b32 v[6:7], v20 offset1:1
	ds_load_2addr_b32 v[8:9], v20 offset0:2 offset1:3
	ds_load_2addr_b32 v[10:11], v20 offset0:4 offset1:5
	;; [unrolled: 1-line block ×7, first 2 shown]
	s_wait_dscnt 0x7
	v_cmp_gt_i32_e32 vcc_lo, v1, v7
	s_wait_dscnt 0x5
	v_cmp_gt_i32_e64 s1, v1, v10
	v_cndmask_b32_e64 v7, 0, 1, vcc_lo
	v_cmp_gt_i32_e32 vcc_lo, v1, v6
	v_cndmask_b32_e64 v6, 0, 1, vcc_lo
	v_cmp_gt_i32_e32 vcc_lo, v1, v8
	v_cndmask_b32_e64 v8, 0, 1, s1
	v_cmp_gt_i32_e64 s1, v1, v11
	s_delay_alu instid0(VALU_DEP_4) | instskip(NEXT) | instid1(VALU_DEP_2)
	v_add_co_ci_u32_e64 v4, null, v4, v6, vcc_lo
	v_cndmask_b32_e64 v10, 0, 1, s1
	s_wait_dscnt 0x4
	v_cmp_gt_i32_e64 s1, v1, v13
	s_wait_dscnt 0x2
	v_cmp_gt_i32_e32 vcc_lo, v1, v16
	s_delay_alu instid0(VALU_DEP_2) | instskip(SKIP_4) | instid1(VALU_DEP_3)
	v_cndmask_b32_e64 v11, 0, 1, s1
	v_cmp_gt_i32_e64 s1, v1, v12
	v_add_co_ci_u32_e64 v4, null, v4, v8, vcc_lo
	s_wait_dscnt 0x1
	v_cmp_gt_i32_e32 vcc_lo, v1, v18
	v_cndmask_b32_e64 v12, 0, 1, s1
	v_cmp_gt_i32_e64 s1, v1, v14
	s_delay_alu instid0(VALU_DEP_2) | instskip(NEXT) | instid1(VALU_DEP_2)
	v_add_co_ci_u32_e64 v4, null, v4, v12, vcc_lo
	v_cndmask_b32_e64 v13, 0, 1, s1
	v_cmp_gt_i32_e64 s1, v1, v15
	s_wait_dscnt 0x0
	v_cmp_gt_i32_e32 vcc_lo, v1, v20
	s_delay_alu instid0(VALU_DEP_2) | instskip(SKIP_2) | instid1(VALU_DEP_2)
	v_cndmask_b32_e64 v14, 0, 1, s1
	v_cmp_gt_i32_e64 s1, v1, v9
	v_add_co_ci_u32_e64 v4, null, v4, v13, vcc_lo
	v_add_co_ci_u32_e64 v5, null, v5, v7, s1
	v_cmp_gt_i32_e64 s1, v1, v17
	s_delay_alu instid0(VALU_DEP_1) | instskip(SKIP_1) | instid1(VALU_DEP_1)
	v_add_co_ci_u32_e64 v5, null, v5, v10, s1
	v_cmp_gt_i32_e64 s1, v1, v19
	v_add_co_ci_u32_e64 v5, null, v5, v11, s1
	v_cmp_gt_i32_e64 s1, v1, v21
	s_delay_alu instid0(VALU_DEP_1)
	v_add_co_ci_u32_e64 v5, null, v5, v14, s1
	s_cbranch_scc1 .LBB53_86
.LBB53_87:                              ;   in Loop: Header=BB53_83 Depth=1
	s_and_not1_b32 vcc_lo, exec_lo, s8
	s_cbranch_vccnz .LBB53_90
; %bb.88:                               ;   in Loop: Header=BB53_83 Depth=1
	s_lshl_b32 s1, s12, 2
	s_mov_b32 s12, s10
	s_add_co_i32 s1, s1, 0
.LBB53_89:                              ;   Parent Loop BB53_83 Depth=1
                                        ; =>  This Inner Loop Header: Depth=2
	s_delay_alu instid0(SALU_CYCLE_1)
	v_mov_b32_e32 v6, s1
	s_add_co_i32 s12, s12, -8
	s_add_co_i32 s1, s1, 8
	s_cmp_lg_u32 s12, 0
	ds_load_2addr_b32 v[6:7], v6 offset1:1
	s_wait_dscnt 0x0
	v_cmp_gt_i32_e32 vcc_lo, v1, v7
	v_add_co_ci_u32_e64 v5, null, 0, v5, vcc_lo
	v_cmp_gt_i32_e32 vcc_lo, v1, v6
	v_add_co_ci_u32_e64 v4, null, 0, v4, vcc_lo
	s_cbranch_scc1 .LBB53_89
.LBB53_90:                              ;   in Loop: Header=BB53_83 Depth=1
	s_delay_alu instid0(VALU_DEP_1)
	v_add_nc_u32_e32 v4, v4, v5
	s_mov_b32 s1, s5
	s_mov_b32 s12, s9
.LBB53_91:                              ;   in Loop: Header=BB53_83 Depth=1
	s_delay_alu instid0(SALU_CYCLE_1)
	s_and_b32 vcc_lo, exec_lo, s12
	s_cbranch_vccz .LBB53_82
; %bb.92:                               ;   in Loop: Header=BB53_83 Depth=1
	s_lshl_b32 s12, s1, 2
	s_delay_alu instid0(SALU_CYCLE_1)
	s_add_co_i32 s12, s12, 0
.LBB53_93:                              ;   Parent Loop BB53_83 Depth=1
                                        ; =>  This Inner Loop Header: Depth=2
	s_delay_alu instid0(SALU_CYCLE_1)
	v_mov_b32_e32 v5, s12
	s_add_co_i32 s1, s1, 1
	s_add_co_i32 s12, s12, 4
	s_cmp_ge_i32 s1, s4
	ds_load_b32 v5, v5
	s_wait_dscnt 0x0
	v_cmp_gt_i32_e32 vcc_lo, v1, v5
	v_add_co_ci_u32_e64 v4, null, 0, v4, vcc_lo
	s_cbranch_scc0 .LBB53_93
	s_branch .LBB53_82
.LBB53_94:
	s_endpgm
	.section	.rodata,"a",@progbits
	.p2align	6, 0x0
	.amdhsa_kernel _ZN9rocsparseL41csrgemm_numeric_fill_block_per_row_kernelILj1024ELj64ELj8192ELj137ELj64Eii21rocsparse_complex_numIfEEEvT5_PKS3_S5_NS_24const_host_device_scalarIT6_EEPKT4_S5_PKS7_SB_S5_SD_S8_SB_S5_SD_SB_S5_PS7_21rocsparse_index_base_SF_SF_SF_bbb
		.amdhsa_group_segment_fixed_size 0
		.amdhsa_private_segment_fixed_size 0
		.amdhsa_kernarg_size 156
		.amdhsa_user_sgpr_count 2
		.amdhsa_user_sgpr_dispatch_ptr 0
		.amdhsa_user_sgpr_queue_ptr 0
		.amdhsa_user_sgpr_kernarg_segment_ptr 1
		.amdhsa_user_sgpr_dispatch_id 0
		.amdhsa_user_sgpr_kernarg_preload_length 0
		.amdhsa_user_sgpr_kernarg_preload_offset 0
		.amdhsa_user_sgpr_private_segment_size 0
		.amdhsa_wavefront_size32 1
		.amdhsa_uses_dynamic_stack 0
		.amdhsa_enable_private_segment 0
		.amdhsa_system_sgpr_workgroup_id_x 1
		.amdhsa_system_sgpr_workgroup_id_y 0
		.amdhsa_system_sgpr_workgroup_id_z 0
		.amdhsa_system_sgpr_workgroup_info 0
		.amdhsa_system_vgpr_workitem_id 0
		.amdhsa_next_free_vgpr 22
		.amdhsa_next_free_sgpr 42
		.amdhsa_named_barrier_count 0
		.amdhsa_reserve_vcc 1
		.amdhsa_float_round_mode_32 0
		.amdhsa_float_round_mode_16_64 0
		.amdhsa_float_denorm_mode_32 3
		.amdhsa_float_denorm_mode_16_64 3
		.amdhsa_fp16_overflow 0
		.amdhsa_memory_ordered 1
		.amdhsa_forward_progress 1
		.amdhsa_inst_pref_size 31
		.amdhsa_round_robin_scheduling 0
		.amdhsa_exception_fp_ieee_invalid_op 0
		.amdhsa_exception_fp_denorm_src 0
		.amdhsa_exception_fp_ieee_div_zero 0
		.amdhsa_exception_fp_ieee_overflow 0
		.amdhsa_exception_fp_ieee_underflow 0
		.amdhsa_exception_fp_ieee_inexact 0
		.amdhsa_exception_int_div_zero 0
	.end_amdhsa_kernel
	.section	.text._ZN9rocsparseL41csrgemm_numeric_fill_block_per_row_kernelILj1024ELj64ELj8192ELj137ELj64Eii21rocsparse_complex_numIfEEEvT5_PKS3_S5_NS_24const_host_device_scalarIT6_EEPKT4_S5_PKS7_SB_S5_SD_S8_SB_S5_SD_SB_S5_PS7_21rocsparse_index_base_SF_SF_SF_bbb,"axG",@progbits,_ZN9rocsparseL41csrgemm_numeric_fill_block_per_row_kernelILj1024ELj64ELj8192ELj137ELj64Eii21rocsparse_complex_numIfEEEvT5_PKS3_S5_NS_24const_host_device_scalarIT6_EEPKT4_S5_PKS7_SB_S5_SD_S8_SB_S5_SD_SB_S5_PS7_21rocsparse_index_base_SF_SF_SF_bbb,comdat
.Lfunc_end53:
	.size	_ZN9rocsparseL41csrgemm_numeric_fill_block_per_row_kernelILj1024ELj64ELj8192ELj137ELj64Eii21rocsparse_complex_numIfEEEvT5_PKS3_S5_NS_24const_host_device_scalarIT6_EEPKT4_S5_PKS7_SB_S5_SD_S8_SB_S5_SD_SB_S5_PS7_21rocsparse_index_base_SF_SF_SF_bbb, .Lfunc_end53-_ZN9rocsparseL41csrgemm_numeric_fill_block_per_row_kernelILj1024ELj64ELj8192ELj137ELj64Eii21rocsparse_complex_numIfEEEvT5_PKS3_S5_NS_24const_host_device_scalarIT6_EEPKT4_S5_PKS7_SB_S5_SD_S8_SB_S5_SD_SB_S5_PS7_21rocsparse_index_base_SF_SF_SF_bbb
                                        ; -- End function
	.set _ZN9rocsparseL41csrgemm_numeric_fill_block_per_row_kernelILj1024ELj64ELj8192ELj137ELj64Eii21rocsparse_complex_numIfEEEvT5_PKS3_S5_NS_24const_host_device_scalarIT6_EEPKT4_S5_PKS7_SB_S5_SD_S8_SB_S5_SD_SB_S5_PS7_21rocsparse_index_base_SF_SF_SF_bbb.num_vgpr, 22
	.set _ZN9rocsparseL41csrgemm_numeric_fill_block_per_row_kernelILj1024ELj64ELj8192ELj137ELj64Eii21rocsparse_complex_numIfEEEvT5_PKS3_S5_NS_24const_host_device_scalarIT6_EEPKT4_S5_PKS7_SB_S5_SD_S8_SB_S5_SD_SB_S5_PS7_21rocsparse_index_base_SF_SF_SF_bbb.num_agpr, 0
	.set _ZN9rocsparseL41csrgemm_numeric_fill_block_per_row_kernelILj1024ELj64ELj8192ELj137ELj64Eii21rocsparse_complex_numIfEEEvT5_PKS3_S5_NS_24const_host_device_scalarIT6_EEPKT4_S5_PKS7_SB_S5_SD_S8_SB_S5_SD_SB_S5_PS7_21rocsparse_index_base_SF_SF_SF_bbb.numbered_sgpr, 42
	.set _ZN9rocsparseL41csrgemm_numeric_fill_block_per_row_kernelILj1024ELj64ELj8192ELj137ELj64Eii21rocsparse_complex_numIfEEEvT5_PKS3_S5_NS_24const_host_device_scalarIT6_EEPKT4_S5_PKS7_SB_S5_SD_S8_SB_S5_SD_SB_S5_PS7_21rocsparse_index_base_SF_SF_SF_bbb.num_named_barrier, 0
	.set _ZN9rocsparseL41csrgemm_numeric_fill_block_per_row_kernelILj1024ELj64ELj8192ELj137ELj64Eii21rocsparse_complex_numIfEEEvT5_PKS3_S5_NS_24const_host_device_scalarIT6_EEPKT4_S5_PKS7_SB_S5_SD_S8_SB_S5_SD_SB_S5_PS7_21rocsparse_index_base_SF_SF_SF_bbb.private_seg_size, 0
	.set _ZN9rocsparseL41csrgemm_numeric_fill_block_per_row_kernelILj1024ELj64ELj8192ELj137ELj64Eii21rocsparse_complex_numIfEEEvT5_PKS3_S5_NS_24const_host_device_scalarIT6_EEPKT4_S5_PKS7_SB_S5_SD_S8_SB_S5_SD_SB_S5_PS7_21rocsparse_index_base_SF_SF_SF_bbb.uses_vcc, 1
	.set _ZN9rocsparseL41csrgemm_numeric_fill_block_per_row_kernelILj1024ELj64ELj8192ELj137ELj64Eii21rocsparse_complex_numIfEEEvT5_PKS3_S5_NS_24const_host_device_scalarIT6_EEPKT4_S5_PKS7_SB_S5_SD_S8_SB_S5_SD_SB_S5_PS7_21rocsparse_index_base_SF_SF_SF_bbb.uses_flat_scratch, 0
	.set _ZN9rocsparseL41csrgemm_numeric_fill_block_per_row_kernelILj1024ELj64ELj8192ELj137ELj64Eii21rocsparse_complex_numIfEEEvT5_PKS3_S5_NS_24const_host_device_scalarIT6_EEPKT4_S5_PKS7_SB_S5_SD_S8_SB_S5_SD_SB_S5_PS7_21rocsparse_index_base_SF_SF_SF_bbb.has_dyn_sized_stack, 0
	.set _ZN9rocsparseL41csrgemm_numeric_fill_block_per_row_kernelILj1024ELj64ELj8192ELj137ELj64Eii21rocsparse_complex_numIfEEEvT5_PKS3_S5_NS_24const_host_device_scalarIT6_EEPKT4_S5_PKS7_SB_S5_SD_S8_SB_S5_SD_SB_S5_PS7_21rocsparse_index_base_SF_SF_SF_bbb.has_recursion, 0
	.set _ZN9rocsparseL41csrgemm_numeric_fill_block_per_row_kernelILj1024ELj64ELj8192ELj137ELj64Eii21rocsparse_complex_numIfEEEvT5_PKS3_S5_NS_24const_host_device_scalarIT6_EEPKT4_S5_PKS7_SB_S5_SD_S8_SB_S5_SD_SB_S5_PS7_21rocsparse_index_base_SF_SF_SF_bbb.has_indirect_call, 0
	.section	.AMDGPU.csdata,"",@progbits
; Kernel info:
; codeLenInByte = 3936
; TotalNumSgprs: 44
; NumVgprs: 22
; ScratchSize: 0
; MemoryBound: 0
; FloatMode: 240
; IeeeMode: 1
; LDSByteSize: 0 bytes/workgroup (compile time only)
; SGPRBlocks: 0
; VGPRBlocks: 1
; NumSGPRsForWavesPerEU: 44
; NumVGPRsForWavesPerEU: 22
; NamedBarCnt: 0
; Occupancy: 16
; WaveLimiterHint : 1
; COMPUTE_PGM_RSRC2:SCRATCH_EN: 0
; COMPUTE_PGM_RSRC2:USER_SGPR: 2
; COMPUTE_PGM_RSRC2:TRAP_HANDLER: 0
; COMPUTE_PGM_RSRC2:TGID_X_EN: 1
; COMPUTE_PGM_RSRC2:TGID_Y_EN: 0
; COMPUTE_PGM_RSRC2:TGID_Z_EN: 0
; COMPUTE_PGM_RSRC2:TIDIG_COMP_CNT: 0
	.section	.text._ZN9rocsparseL41csrgemm_numeric_fill_block_per_row_kernelILj1024ELj64ELj16384ELj137ELj32Eii21rocsparse_complex_numIfEEEvT5_PKS3_S5_NS_24const_host_device_scalarIT6_EEPKT4_S5_PKS7_SB_S5_SD_S8_SB_S5_SD_SB_S5_PS7_21rocsparse_index_base_SF_SF_SF_bbb,"axG",@progbits,_ZN9rocsparseL41csrgemm_numeric_fill_block_per_row_kernelILj1024ELj64ELj16384ELj137ELj32Eii21rocsparse_complex_numIfEEEvT5_PKS3_S5_NS_24const_host_device_scalarIT6_EEPKT4_S5_PKS7_SB_S5_SD_S8_SB_S5_SD_SB_S5_PS7_21rocsparse_index_base_SF_SF_SF_bbb,comdat
	.globl	_ZN9rocsparseL41csrgemm_numeric_fill_block_per_row_kernelILj1024ELj64ELj16384ELj137ELj32Eii21rocsparse_complex_numIfEEEvT5_PKS3_S5_NS_24const_host_device_scalarIT6_EEPKT4_S5_PKS7_SB_S5_SD_S8_SB_S5_SD_SB_S5_PS7_21rocsparse_index_base_SF_SF_SF_bbb ; -- Begin function _ZN9rocsparseL41csrgemm_numeric_fill_block_per_row_kernelILj1024ELj64ELj16384ELj137ELj32Eii21rocsparse_complex_numIfEEEvT5_PKS3_S5_NS_24const_host_device_scalarIT6_EEPKT4_S5_PKS7_SB_S5_SD_S8_SB_S5_SD_SB_S5_PS7_21rocsparse_index_base_SF_SF_SF_bbb
	.p2align	8
	.type	_ZN9rocsparseL41csrgemm_numeric_fill_block_per_row_kernelILj1024ELj64ELj16384ELj137ELj32Eii21rocsparse_complex_numIfEEEvT5_PKS3_S5_NS_24const_host_device_scalarIT6_EEPKT4_S5_PKS7_SB_S5_SD_S8_SB_S5_SD_SB_S5_PS7_21rocsparse_index_base_SF_SF_SF_bbb,@function
_ZN9rocsparseL41csrgemm_numeric_fill_block_per_row_kernelILj1024ELj64ELj16384ELj137ELj32Eii21rocsparse_complex_numIfEEEvT5_PKS3_S5_NS_24const_host_device_scalarIT6_EEPKT4_S5_PKS7_SB_S5_SD_S8_SB_S5_SD_SB_S5_PS7_21rocsparse_index_base_SF_SF_SF_bbb: ; @_ZN9rocsparseL41csrgemm_numeric_fill_block_per_row_kernelILj1024ELj64ELj16384ELj137ELj32Eii21rocsparse_complex_numIfEEEvT5_PKS3_S5_NS_24const_host_device_scalarIT6_EEPKT4_S5_PKS7_SB_S5_SD_S8_SB_S5_SD_SB_S5_PS7_21rocsparse_index_base_SF_SF_SF_bbb
; %bb.0:
	s_clause 0x7
	s_load_b32 s28, s[0:1], 0x98
	s_load_b128 s[36:39], s[0:1], 0x88
	s_load_b64 s[34:35], s[0:1], 0x80
	s_load_b128 s[4:7], s[0:1], 0x60
	s_load_b128 s[16:19], s[0:1], 0x8
	s_load_b64 s[2:3], s[0:1], 0x28
	s_load_b128 s[8:11], s[0:1], 0x40
	s_load_b64 s[26:27], s[0:1], 0x50
	s_mov_b32 s21, 0
	s_mov_b32 s29, 0
	s_wait_kmcnt 0x0
	s_bitcmp1_b32 s28, 0
	s_cselect_b32 s31, -1, 0
	s_bitcmp1_b32 s28, 16
	s_cselect_b32 s12, -1, 0
	s_delay_alu instid0(SALU_CYCLE_1) | instskip(SKIP_2) | instid1(VALU_DEP_1)
	s_xor_b32 s12, s12, -1
	s_bitcmp0_b32 s28, 0
	v_cndmask_b32_e64 v1, 0, 1, s12
	v_cmp_ne_u32_e32 vcc_lo, 1, v1
	s_cbranch_scc1 .LBB54_5
; %bb.1:
	s_load_b64 s[20:21], s[0:1], 0x18
	s_and_b32 vcc_lo, exec_lo, vcc_lo
	s_wait_kmcnt 0x0
	s_mov_b32 s29, s20
	s_cbranch_vccnz .LBB54_3
; %bb.2:
	s_load_b32 s29, s[20:21], 0x0
.LBB54_3:
	s_and_not1_b32 vcc_lo, exec_lo, s12
	s_cbranch_vccnz .LBB54_5
; %bb.4:
	s_wait_xcnt 0x0
	s_load_b32 s21, s[20:21], 0x4
.LBB54_5:
	s_clause 0x3
	s_load_b64 s[40:41], s[0:1], 0x70
	s_load_b64 s[22:23], s[0:1], 0x58
	;; [unrolled: 1-line block ×3, first 2 shown]
	s_load_b128 s[12:15], s[0:1], 0x30
	s_bitcmp1_b32 s28, 8
	s_wait_xcnt 0x0
	s_mov_b32 s20, 0
	s_cselect_b32 s30, -1, 0
	s_bfe_u32 s28, s28, 0x10008
	s_delay_alu instid0(SALU_CYCLE_1)
	s_cmp_eq_u32 s28, 0
	s_mov_b32 s28, 0
	s_cbranch_scc1 .LBB54_11
; %bb.6:
	v_cmp_ne_u32_e32 vcc_lo, 1, v1
	s_mov_b32 s20, s26
	s_cbranch_vccnz .LBB54_8
; %bb.7:
	s_load_b32 s20, s[26:27], 0x0
.LBB54_8:
	v_cmp_ne_u32_e32 vcc_lo, 1, v1
	s_cbranch_vccnz .LBB54_10
; %bb.9:
	s_wait_xcnt 0x0
	s_load_b32 s27, s[26:27], 0x4
.LBB54_10:
	s_wait_kmcnt 0x0
	s_mov_b32 s28, s27
.LBB54_11:
	s_load_b32 s33, s[0:1], 0x0
	v_lshl_add_u32 v1, v0, 2, 0
	v_lshlrev_b32_e32 v2, 3, v0
	v_or_b32_e32 v7, 0xfffffc00, v0
	s_wait_xcnt 0x0
	s_mov_b32 s0, 0
	v_mov_b32_e32 v3, v1
	v_add3_u32 v6, v2, 0, 0x10000
	v_dual_mov_b32 v2, 0 :: v_dual_mov_b32 v8, v7
	s_wait_kmcnt 0x0
	s_delay_alu instid0(VALU_DEP_2)
	v_dual_mov_b32 v4, v6 :: v_dual_mov_b32 v5, s33
.LBB54_12:                              ; =>This Inner Loop Header: Depth=1
	s_delay_alu instid0(VALU_DEP_2)
	v_add_nc_u32_e32 v8, 0x400, v8
	ds_store_b32 v3, v5
	ds_store_2addr_b32 v4, v2, v2 offset1:1
	v_add_nc_u32_e32 v4, 0x2000, v4
	v_add_nc_u32_e32 v3, 0x1000, v3
	v_cmp_lt_u32_e32 vcc_lo, 0x3bff, v8
	s_or_b32 s0, vcc_lo, s0
	s_delay_alu instid0(SALU_CYCLE_1)
	s_and_not1_b32 exec_lo, exec_lo, s0
	s_cbranch_execnz .LBB54_12
; %bb.13:
	s_or_b32 exec_lo, exec_lo, s0
	s_wait_dscnt 0x0
	s_barrier_signal -1
	s_barrier_wait -1
	s_load_b32 s0, s[16:17], 0x0
	s_bfe_u32 s1, ttmp6, 0x4000c
	s_wait_xcnt 0x0
	s_and_b32 s16, ttmp6, 15
	s_add_co_i32 s1, s1, 1
	s_getreg_b32 s17, hwreg(HW_REG_IB_STS2, 6, 4)
	s_mul_i32 s1, ttmp9, s1
	s_delay_alu instid0(SALU_CYCLE_1)
	s_add_co_i32 s16, s16, s1
	s_cmp_eq_u32 s17, 0
	s_cselect_b32 s1, ttmp9, s16
	s_and_b32 vcc_lo, exec_lo, s31
	s_wait_kmcnt 0x0
	s_add_co_i32 s0, s0, s1
	s_load_b32 s42, s[18:19], s0 offset:0x0 scale_offset
	s_cbranch_vccz .LBB54_31
; %bb.14:
	s_wait_kmcnt 0x0
	s_ashr_i32 s43, s42, 31
	v_lshrrev_b32_e32 v2, 6, v0
	s_lshl_b64 s[0:1], s[42:43], 2
	s_delay_alu instid0(SALU_CYCLE_1) | instskip(NEXT) | instid1(VALU_DEP_1)
	s_add_nc_u64 s[0:1], s[24:25], s[0:1]
	v_subrev_nc_u32_e32 v2, s36, v2
	s_load_b64 s[16:17], s[0:1], 0x0
	s_wait_xcnt 0x0
	s_mov_b32 s1, exec_lo
	s_wait_kmcnt 0x0
	v_add_nc_u32_e32 v2, s16, v2
	s_sub_co_i32 s0, s17, s36
	s_delay_alu instid0(VALU_DEP_1) | instid1(SALU_CYCLE_1)
	v_cmpx_gt_i32_e64 s0, v2
	s_cbranch_execz .LBB54_30
; %bb.15:
	v_and_b32_e32 v3, 63, v0
	s_mov_b32 s16, 0
	s_delay_alu instid0(VALU_DEP_1)
	v_subrev_nc_u32_e32 v8, s37, v3
	s_branch .LBB54_17
.LBB54_16:                              ;   in Loop: Header=BB54_17 Depth=1
	s_or_b32 exec_lo, exec_lo, s17
	v_add_nc_u32_e32 v2, 16, v2
	s_delay_alu instid0(VALU_DEP_1) | instskip(SKIP_1) | instid1(SALU_CYCLE_1)
	v_cmp_le_i32_e32 vcc_lo, s0, v2
	s_or_b32 s16, vcc_lo, s16
	s_and_not1_b32 exec_lo, exec_lo, s16
	s_cbranch_execz .LBB54_30
.LBB54_17:                              ; =>This Loop Header: Depth=1
                                        ;     Child Loop BB54_21 Depth 2
                                        ;       Child Loop BB54_24 Depth 3
	global_load_b32 v3, v2, s[2:3] scale_offset
	s_mov_b32 s17, exec_lo
	s_wait_loadcnt 0x0
	v_subrev_nc_u32_e32 v4, s36, v3
	s_delay_alu instid0(VALU_DEP_1) | instskip(NEXT) | instid1(VALU_DEP_1)
	v_ashrrev_i32_e32 v5, 31, v4
	v_lshl_add_u64 v[4:5], v[4:5], 2, s[14:15]
	global_load_b64 v[4:5], v[4:5], off
	s_wait_loadcnt 0x0
	v_subrev_nc_u32_e32 v9, s37, v5
	v_add_nc_u32_e32 v10, v4, v8
	s_wait_xcnt 0x0
	s_delay_alu instid0(VALU_DEP_1)
	v_cmpx_lt_i32_e64 v10, v9
	s_cbranch_execz .LBB54_16
; %bb.18:                               ;   in Loop: Header=BB54_17 Depth=1
	v_ashrrev_i32_e32 v3, 31, v2
	s_mov_b32 s18, 0
	s_delay_alu instid0(VALU_DEP_1) | instskip(SKIP_3) | instid1(VALU_DEP_1)
	v_lshl_add_u64 v[4:5], v[2:3], 3, s[12:13]
	global_load_b64 v[4:5], v[4:5], off
	s_wait_loadcnt 0x0
	v_mul_f32_e64 v3, v5, -s21
	v_dual_mul_f32 v11, s29, v5 :: v_dual_fmac_f32 v3, s29, v4
	s_delay_alu instid0(VALU_DEP_1)
	v_fmac_f32_e32 v11, s21, v4
	s_branch .LBB54_21
.LBB54_19:                              ;   in Loop: Header=BB54_21 Depth=2
	s_or_b32 exec_lo, exec_lo, s24
.LBB54_20:                              ;   in Loop: Header=BB54_21 Depth=2
	s_delay_alu instid0(SALU_CYCLE_1) | instskip(SKIP_3) | instid1(VALU_DEP_2)
	s_or_b32 exec_lo, exec_lo, s19
	s_wait_loadcnt 0x0
	v_dual_mul_f32 v13, v5, -v11 :: v_dual_lshlrev_b32 v12, 3, v12
	v_dual_mul_f32 v5, v3, v5 :: v_dual_add_nc_u32 v10, 64, v10
	v_fmac_f32_e32 v13, v3, v4
	s_delay_alu instid0(VALU_DEP_3) | instskip(NEXT) | instid1(VALU_DEP_3)
	v_add3_u32 v12, 0, v12, 0x10000
	v_fmac_f32_e32 v5, v11, v4
	ds_add_f32 v12, v13
	ds_add_f32 v12, v5 offset:4
	v_cmp_ge_i32_e32 vcc_lo, v10, v9
	s_or_b32 s18, vcc_lo, s18
	s_delay_alu instid0(SALU_CYCLE_1)
	s_and_not1_b32 exec_lo, exec_lo, s18
	s_cbranch_execz .LBB54_16
.LBB54_21:                              ;   Parent Loop BB54_17 Depth=1
                                        ; =>  This Loop Header: Depth=2
                                        ;       Child Loop BB54_24 Depth 3
	s_clause 0x1
	global_load_b32 v12, v10, s[8:9] scale_offset
	global_load_b64 v[4:5], v10, s[10:11] scale_offset
	s_mov_b32 s19, exec_lo
	s_wait_loadcnt 0x1
	v_subrev_nc_u32_e32 v13, s37, v12
	s_delay_alu instid0(VALU_DEP_1) | instskip(NEXT) | instid1(VALU_DEP_1)
	v_mul_lo_u32 v12, 0x89, v13
	v_and_b32_e32 v12, 0x3fff, v12
	s_delay_alu instid0(VALU_DEP_1)
	v_lshl_add_u32 v14, v12, 2, 0
	ds_load_b32 v15, v14
	s_wait_dscnt 0x0
	s_wait_xcnt 0x0
	v_cmpx_ne_u32_e64 v15, v13
	s_cbranch_execz .LBB54_20
; %bb.22:                               ;   in Loop: Header=BB54_21 Depth=2
	s_mov_b32 s24, 0
	s_branch .LBB54_24
.LBB54_23:                              ;   in Loop: Header=BB54_24 Depth=3
	s_or_b32 exec_lo, exec_lo, s27
	s_delay_alu instid0(SALU_CYCLE_1) | instskip(NEXT) | instid1(SALU_CYCLE_1)
	s_and_b32 s25, exec_lo, s26
	s_or_b32 s24, s25, s24
	s_delay_alu instid0(SALU_CYCLE_1)
	s_and_not1_b32 exec_lo, exec_lo, s24
	s_cbranch_execz .LBB54_19
.LBB54_24:                              ;   Parent Loop BB54_17 Depth=1
                                        ;     Parent Loop BB54_21 Depth=2
                                        ; =>    This Inner Loop Header: Depth=3
	s_mov_b32 s25, 0
	s_mov_b32 s26, exec_lo
	v_cmpx_ne_u32_e64 s33, v15
	s_xor_b32 s26, exec_lo, s26
	s_cbranch_execz .LBB54_26
; %bb.25:                               ;   in Loop: Header=BB54_24 Depth=3
	v_add_nc_u32_e32 v12, 1, v12
	s_mov_b32 s25, exec_lo
                                        ; implicit-def: $vgpr14
	s_delay_alu instid0(VALU_DEP_1)
	v_and_b32_e32 v12, 0x3fff, v12
	s_and_not1_saveexec_b32 s26, s26
	s_cbranch_execz .LBB54_28
	s_branch .LBB54_27
.LBB54_26:                              ;   in Loop: Header=BB54_24 Depth=3
	s_and_not1_saveexec_b32 s26, s26
	s_cbranch_execz .LBB54_28
.LBB54_27:                              ;   in Loop: Header=BB54_24 Depth=3
	v_mov_b32_e32 v15, s33
	s_and_not1_b32 s25, s25, exec_lo
	ds_cmpstore_rtn_b32 v14, v14, v13, v15
	s_wait_dscnt 0x0
	v_cmp_ne_u32_e32 vcc_lo, s33, v14
	s_and_b32 s27, vcc_lo, exec_lo
	s_delay_alu instid0(SALU_CYCLE_1)
	s_or_b32 s25, s25, s27
.LBB54_28:                              ;   in Loop: Header=BB54_24 Depth=3
	s_or_b32 exec_lo, exec_lo, s26
	s_mov_b32 s26, -1
                                        ; implicit-def: $vgpr14
                                        ; implicit-def: $vgpr15
	s_and_saveexec_b32 s27, s25
	s_cbranch_execz .LBB54_23
; %bb.29:                               ;   in Loop: Header=BB54_24 Depth=3
	v_lshl_add_u32 v14, v12, 2, 0
	ds_load_b32 v15, v14
	s_wait_dscnt 0x0
	v_cmp_eq_u32_e32 vcc_lo, v15, v13
	s_or_not1_b32 s26, vcc_lo, exec_lo
	s_branch .LBB54_23
.LBB54_30:
	s_or_b32 exec_lo, exec_lo, s1
.LBB54_31:
	s_delay_alu instid0(SALU_CYCLE_1)
	s_and_not1_b32 vcc_lo, exec_lo, s30
	s_cbranch_vccnz .LBB54_46
; %bb.32:
	s_wait_kmcnt 0x0
	s_ashr_i32 s43, s42, 31
	v_subrev_nc_u32_e32 v2, s39, v0
	s_lshl_b64 s[0:1], s[42:43], 2
	s_delay_alu instid0(SALU_CYCLE_1)
	s_add_nc_u64 s[0:1], s[22:23], s[0:1]
	s_load_b64 s[2:3], s[0:1], 0x0
	s_wait_xcnt 0x0
	s_mov_b32 s1, exec_lo
	s_wait_kmcnt 0x0
	v_add_nc_u32_e32 v4, s2, v2
	s_sub_co_i32 s0, s3, s39
	s_delay_alu instid0(VALU_DEP_1) | instid1(SALU_CYCLE_1)
	v_cmpx_gt_i32_e64 s0, v4
	s_cbranch_execz .LBB54_45
; %bb.33:
	s_mov_b32 s2, 0
	s_branch .LBB54_36
.LBB54_34:                              ;   in Loop: Header=BB54_36 Depth=1
	s_or_b32 exec_lo, exec_lo, s8
.LBB54_35:                              ;   in Loop: Header=BB54_36 Depth=1
	s_delay_alu instid0(SALU_CYCLE_1) | instskip(SKIP_4) | instid1(VALU_DEP_3)
	s_or_b32 exec_lo, exec_lo, s3
	s_wait_loadcnt 0x0
	v_mul_f32_e64 v8, v3, -s28
	v_dual_lshlrev_b32 v5, 3, v5 :: v_dual_mul_f32 v3, s20, v3
	v_add_nc_u32_e32 v4, 0x400, v4
	v_fmac_f32_e32 v8, s20, v2
	s_delay_alu instid0(VALU_DEP_3) | instskip(NEXT) | instid1(VALU_DEP_4)
	v_add3_u32 v5, 0, v5, 0x10000
	v_fmac_f32_e32 v3, s28, v2
	s_delay_alu instid0(VALU_DEP_4) | instskip(SKIP_3) | instid1(SALU_CYCLE_1)
	v_cmp_le_i32_e32 vcc_lo, s0, v4
	ds_add_f32 v5, v8
	ds_add_f32 v5, v3 offset:4
	s_or_b32 s2, vcc_lo, s2
	s_and_not1_b32 exec_lo, exec_lo, s2
	s_cbranch_execz .LBB54_45
.LBB54_36:                              ; =>This Loop Header: Depth=1
                                        ;     Child Loop BB54_39 Depth 2
	s_clause 0x1
	global_load_b32 v5, v4, s[4:5] scale_offset
	global_load_b64 v[2:3], v4, s[6:7] scale_offset
	s_mov_b32 s3, exec_lo
	s_wait_loadcnt 0x1
	v_subrev_nc_u32_e32 v8, s39, v5
	s_delay_alu instid0(VALU_DEP_1) | instskip(NEXT) | instid1(VALU_DEP_1)
	v_mul_lo_u32 v5, 0x89, v8
	v_and_b32_e32 v5, 0x3fff, v5
	s_delay_alu instid0(VALU_DEP_1)
	v_lshl_add_u32 v9, v5, 2, 0
	ds_load_b32 v10, v9
	s_wait_dscnt 0x0
	s_wait_xcnt 0x0
	v_cmpx_ne_u32_e64 v10, v8
	s_cbranch_execz .LBB54_35
; %bb.37:                               ;   in Loop: Header=BB54_36 Depth=1
	s_mov_b32 s8, 0
	s_branch .LBB54_39
.LBB54_38:                              ;   in Loop: Header=BB54_39 Depth=2
	s_or_b32 exec_lo, exec_lo, s11
	s_delay_alu instid0(SALU_CYCLE_1) | instskip(NEXT) | instid1(SALU_CYCLE_1)
	s_and_b32 s9, exec_lo, s10
	s_or_b32 s8, s9, s8
	s_delay_alu instid0(SALU_CYCLE_1)
	s_and_not1_b32 exec_lo, exec_lo, s8
	s_cbranch_execz .LBB54_34
.LBB54_39:                              ;   Parent Loop BB54_36 Depth=1
                                        ; =>  This Inner Loop Header: Depth=2
	s_mov_b32 s9, 0
	s_mov_b32 s10, exec_lo
	v_cmpx_ne_u32_e64 s33, v10
	s_xor_b32 s10, exec_lo, s10
	s_cbranch_execz .LBB54_41
; %bb.40:                               ;   in Loop: Header=BB54_39 Depth=2
	v_add_nc_u32_e32 v5, 1, v5
	s_mov_b32 s9, exec_lo
                                        ; implicit-def: $vgpr9
	s_delay_alu instid0(VALU_DEP_1)
	v_and_b32_e32 v5, 0x3fff, v5
	s_and_not1_saveexec_b32 s10, s10
	s_cbranch_execz .LBB54_43
	s_branch .LBB54_42
.LBB54_41:                              ;   in Loop: Header=BB54_39 Depth=2
	s_and_not1_saveexec_b32 s10, s10
	s_cbranch_execz .LBB54_43
.LBB54_42:                              ;   in Loop: Header=BB54_39 Depth=2
	v_mov_b32_e32 v10, s33
	s_and_not1_b32 s9, s9, exec_lo
	ds_cmpstore_rtn_b32 v9, v9, v8, v10
	s_wait_dscnt 0x0
	v_cmp_ne_u32_e32 vcc_lo, s33, v9
	s_and_b32 s11, vcc_lo, exec_lo
	s_delay_alu instid0(SALU_CYCLE_1)
	s_or_b32 s9, s9, s11
.LBB54_43:                              ;   in Loop: Header=BB54_39 Depth=2
	s_or_b32 exec_lo, exec_lo, s10
	s_mov_b32 s10, -1
                                        ; implicit-def: $vgpr9
                                        ; implicit-def: $vgpr10
	s_and_saveexec_b32 s11, s9
	s_cbranch_execz .LBB54_38
; %bb.44:                               ;   in Loop: Header=BB54_39 Depth=2
	v_lshl_add_u32 v9, v5, 2, 0
	ds_load_b32 v10, v9
	s_wait_dscnt 0x0
	v_cmp_eq_u32_e32 vcc_lo, v10, v8
	s_or_not1_b32 s10, vcc_lo, exec_lo
	s_branch .LBB54_38
.LBB54_45:
	s_or_b32 exec_lo, exec_lo, s1
.LBB54_46:
	v_mbcnt_lo_u32_b32 v2, -1, 0
	v_lshrrev_b32_e32 v3, 3, v0
	s_wait_xcnt 0x0
	v_cmp_lt_u32_e64 s0, 31, v0
	v_cmp_lt_u32_e64 s1, 63, v0
	;; [unrolled: 1-line block ×3, first 2 shown]
	v_xor_b32_e32 v2, 31, v2
	v_and_b32_e32 v4, 0x7c, v3
	v_mov_b32_e32 v3, 0
	v_cmp_lt_u32_e64 s3, 0x7f, v0
	v_cmp_lt_u32_e64 s4, 0x9f, v0
	v_lshrrev_b32_e64 v2, v2, -1
	v_add3_u32 v8, 0x30000, 0, v4
	v_cmp_lt_u32_e64 s5, 0xbf, v0
	v_cmp_lt_u32_e64 s6, 0xdf, v0
	;; [unrolled: 1-line block ×26, first 2 shown]
	s_mov_b32 s36, 0
	s_add_co_i32 s37, 0, 0x30000
	s_add_co_i32 s39, 0, 0x30004
	;; [unrolled: 1-line block ×32, first 2 shown]
	s_wait_dscnt 0x0
	s_barrier_signal -1
	s_barrier_wait -1
	v_cmp_eq_u32_e32 vcc_lo, 0x3ff, v0
	s_branch .LBB54_48
.LBB54_47:                              ;   in Loop: Header=BB54_48 Depth=1
	s_or_b32 exec_lo, exec_lo, s31
	v_dual_mov_b32 v4, s72 :: v_dual_add_nc_u32 v7, 0x400, v7
	s_wait_dscnt 0x0
	s_barrier_signal -1
	s_barrier_wait -1
	ds_load_b32 v4, v4
	v_cmp_lt_u32_e64 s31, 0x3bff, v7
	v_add_nc_u32_e32 v6, 0x2000, v6
	v_add_nc_u32_e32 v1, 0x1000, v1
	s_or_b32 s36, s31, s36
	s_wait_dscnt 0x0
	v_add_nc_u32_e32 v3, v4, v3
	s_and_not1_b32 exec_lo, exec_lo, s36
	s_cbranch_execz .LBB54_114
.LBB54_48:                              ; =>This Inner Loop Header: Depth=1
	ds_load_b32 v9, v1
	ds_load_2addr_b32 v[4:5], v6 offset1:1
	s_wait_dscnt 0x0
	s_barrier_signal -1
	s_barrier_wait -1
	v_cmp_gt_i32_e64 s31, s33, v9
	s_bcnt1_i32_b32 s73, s31
	s_delay_alu instid0(SALU_CYCLE_1) | instskip(NEXT) | instid1(VALU_DEP_1)
	v_dual_mov_b32 v11, s73 :: v_dual_bitop2_b32 v10, s31, v2 bitop3:0x40
	v_bcnt_u32_b32 v10, v10, 0
	ds_store_b32 v8, v11
	s_wait_dscnt 0x0
	s_barrier_signal -1
	s_barrier_wait -1
	s_and_saveexec_b32 s73, s0
	s_cbranch_execz .LBB54_81
; %bb.49:                               ;   in Loop: Header=BB54_48 Depth=1
	v_mov_b32_e32 v11, s37
	ds_load_b32 v11, v11
	s_wait_dscnt 0x0
	v_add_nc_u32_e32 v10, v11, v10
	s_or_b32 exec_lo, exec_lo, s73
	s_and_saveexec_b32 s73, s1
	s_cbranch_execnz .LBB54_82
.LBB54_50:                              ;   in Loop: Header=BB54_48 Depth=1
	s_or_b32 exec_lo, exec_lo, s73
	s_and_saveexec_b32 s73, s2
	s_cbranch_execz .LBB54_83
.LBB54_51:                              ;   in Loop: Header=BB54_48 Depth=1
	v_mov_b32_e32 v11, s43
	ds_load_b32 v11, v11
	s_wait_dscnt 0x0
	v_add_nc_u32_e32 v10, v11, v10
	s_or_b32 exec_lo, exec_lo, s73
	s_and_saveexec_b32 s73, s3
	s_cbranch_execnz .LBB54_84
.LBB54_52:                              ;   in Loop: Header=BB54_48 Depth=1
	s_or_b32 exec_lo, exec_lo, s73
	s_and_saveexec_b32 s73, s4
	s_cbranch_execz .LBB54_85
.LBB54_53:                              ;   in Loop: Header=BB54_48 Depth=1
	v_mov_b32_e32 v11, s45
	ds_load_b32 v11, v11
	s_wait_dscnt 0x0
	v_add_nc_u32_e32 v10, v11, v10
	s_or_b32 exec_lo, exec_lo, s73
	s_and_saveexec_b32 s73, s5
	s_cbranch_execnz .LBB54_86
.LBB54_54:                              ;   in Loop: Header=BB54_48 Depth=1
	s_or_b32 exec_lo, exec_lo, s73
	s_and_saveexec_b32 s73, s6
	s_cbranch_execz .LBB54_87
.LBB54_55:                              ;   in Loop: Header=BB54_48 Depth=1
	v_mov_b32_e32 v11, s47
	ds_load_b32 v11, v11
	s_wait_dscnt 0x0
	v_add_nc_u32_e32 v10, v11, v10
	s_or_b32 exec_lo, exec_lo, s73
	s_and_saveexec_b32 s73, s7
	s_cbranch_execnz .LBB54_88
.LBB54_56:                              ;   in Loop: Header=BB54_48 Depth=1
	s_or_b32 exec_lo, exec_lo, s73
	s_and_saveexec_b32 s73, s8
	s_cbranch_execz .LBB54_89
.LBB54_57:                              ;   in Loop: Header=BB54_48 Depth=1
	v_mov_b32_e32 v11, s49
	ds_load_b32 v11, v11
	s_wait_dscnt 0x0
	v_add_nc_u32_e32 v10, v11, v10
	s_or_b32 exec_lo, exec_lo, s73
	s_and_saveexec_b32 s73, s9
	s_cbranch_execnz .LBB54_90
.LBB54_58:                              ;   in Loop: Header=BB54_48 Depth=1
	s_or_b32 exec_lo, exec_lo, s73
	s_and_saveexec_b32 s73, s10
	s_cbranch_execz .LBB54_91
.LBB54_59:                              ;   in Loop: Header=BB54_48 Depth=1
	v_mov_b32_e32 v11, s51
	ds_load_b32 v11, v11
	s_wait_dscnt 0x0
	v_add_nc_u32_e32 v10, v11, v10
	s_or_b32 exec_lo, exec_lo, s73
	s_and_saveexec_b32 s73, s11
	s_cbranch_execnz .LBB54_92
.LBB54_60:                              ;   in Loop: Header=BB54_48 Depth=1
	s_or_b32 exec_lo, exec_lo, s73
	s_and_saveexec_b32 s73, s12
	s_cbranch_execz .LBB54_93
.LBB54_61:                              ;   in Loop: Header=BB54_48 Depth=1
	v_mov_b32_e32 v11, s53
	ds_load_b32 v11, v11
	s_wait_dscnt 0x0
	v_add_nc_u32_e32 v10, v11, v10
	s_or_b32 exec_lo, exec_lo, s73
	s_and_saveexec_b32 s73, s13
	s_cbranch_execnz .LBB54_94
.LBB54_62:                              ;   in Loop: Header=BB54_48 Depth=1
	s_or_b32 exec_lo, exec_lo, s73
	s_and_saveexec_b32 s73, s14
	s_cbranch_execz .LBB54_95
.LBB54_63:                              ;   in Loop: Header=BB54_48 Depth=1
	v_mov_b32_e32 v11, s55
	ds_load_b32 v11, v11
	s_wait_dscnt 0x0
	v_add_nc_u32_e32 v10, v11, v10
	s_or_b32 exec_lo, exec_lo, s73
	s_and_saveexec_b32 s73, s15
	s_cbranch_execnz .LBB54_96
.LBB54_64:                              ;   in Loop: Header=BB54_48 Depth=1
	s_or_b32 exec_lo, exec_lo, s73
	s_and_saveexec_b32 s73, s16
	s_cbranch_execz .LBB54_97
.LBB54_65:                              ;   in Loop: Header=BB54_48 Depth=1
	v_mov_b32_e32 v11, s57
	ds_load_b32 v11, v11
	s_wait_dscnt 0x0
	v_add_nc_u32_e32 v10, v11, v10
	s_or_b32 exec_lo, exec_lo, s73
	s_and_saveexec_b32 s73, s17
	s_cbranch_execnz .LBB54_98
.LBB54_66:                              ;   in Loop: Header=BB54_48 Depth=1
	s_or_b32 exec_lo, exec_lo, s73
	s_and_saveexec_b32 s73, s18
	s_cbranch_execz .LBB54_99
.LBB54_67:                              ;   in Loop: Header=BB54_48 Depth=1
	v_mov_b32_e32 v11, s59
	ds_load_b32 v11, v11
	s_wait_dscnt 0x0
	v_add_nc_u32_e32 v10, v11, v10
	s_or_b32 exec_lo, exec_lo, s73
	s_and_saveexec_b32 s73, s19
	s_cbranch_execnz .LBB54_100
.LBB54_68:                              ;   in Loop: Header=BB54_48 Depth=1
	s_or_b32 exec_lo, exec_lo, s73
	s_and_saveexec_b32 s73, s20
	s_cbranch_execz .LBB54_101
.LBB54_69:                              ;   in Loop: Header=BB54_48 Depth=1
	v_mov_b32_e32 v11, s61
	ds_load_b32 v11, v11
	s_wait_dscnt 0x0
	v_add_nc_u32_e32 v10, v11, v10
	s_or_b32 exec_lo, exec_lo, s73
	s_and_saveexec_b32 s73, s21
	s_cbranch_execnz .LBB54_102
.LBB54_70:                              ;   in Loop: Header=BB54_48 Depth=1
	s_or_b32 exec_lo, exec_lo, s73
	s_and_saveexec_b32 s73, s22
	s_cbranch_execz .LBB54_103
.LBB54_71:                              ;   in Loop: Header=BB54_48 Depth=1
	v_mov_b32_e32 v11, s63
	ds_load_b32 v11, v11
	s_wait_dscnt 0x0
	v_add_nc_u32_e32 v10, v11, v10
	s_or_b32 exec_lo, exec_lo, s73
	s_and_saveexec_b32 s73, s23
	s_cbranch_execnz .LBB54_104
.LBB54_72:                              ;   in Loop: Header=BB54_48 Depth=1
	s_or_b32 exec_lo, exec_lo, s73
	s_and_saveexec_b32 s73, s24
	s_cbranch_execz .LBB54_105
.LBB54_73:                              ;   in Loop: Header=BB54_48 Depth=1
	v_mov_b32_e32 v11, s65
	ds_load_b32 v11, v11
	s_wait_dscnt 0x0
	v_add_nc_u32_e32 v10, v11, v10
	s_or_b32 exec_lo, exec_lo, s73
	s_and_saveexec_b32 s73, s25
	s_cbranch_execnz .LBB54_106
.LBB54_74:                              ;   in Loop: Header=BB54_48 Depth=1
	s_or_b32 exec_lo, exec_lo, s73
	s_and_saveexec_b32 s73, s26
	s_cbranch_execz .LBB54_107
.LBB54_75:                              ;   in Loop: Header=BB54_48 Depth=1
	v_mov_b32_e32 v11, s67
	ds_load_b32 v11, v11
	s_wait_dscnt 0x0
	v_add_nc_u32_e32 v10, v11, v10
	s_or_b32 exec_lo, exec_lo, s73
	s_and_saveexec_b32 s73, s27
	s_cbranch_execnz .LBB54_108
.LBB54_76:                              ;   in Loop: Header=BB54_48 Depth=1
	s_or_b32 exec_lo, exec_lo, s73
	s_and_saveexec_b32 s73, s28
	s_cbranch_execz .LBB54_109
.LBB54_77:                              ;   in Loop: Header=BB54_48 Depth=1
	v_mov_b32_e32 v11, s69
	ds_load_b32 v11, v11
	s_wait_dscnt 0x0
	v_add_nc_u32_e32 v10, v11, v10
	s_or_b32 exec_lo, exec_lo, s73
	s_and_saveexec_b32 s73, s29
	s_cbranch_execnz .LBB54_110
.LBB54_78:                              ;   in Loop: Header=BB54_48 Depth=1
	s_or_b32 exec_lo, exec_lo, s73
	s_and_saveexec_b32 s73, s30
	s_cbranch_execz .LBB54_111
.LBB54_79:                              ;   in Loop: Header=BB54_48 Depth=1
	v_mov_b32_e32 v11, s71
	ds_load_b32 v11, v11
	s_wait_dscnt 0x0
	v_add_nc_u32_e32 v10, v11, v10
	s_or_b32 exec_lo, exec_lo, s73
	s_and_saveexec_b32 s73, s31
	s_cbranch_execnz .LBB54_112
.LBB54_80:                              ;   in Loop: Header=BB54_48 Depth=1
	s_or_b32 exec_lo, exec_lo, s73
	s_and_saveexec_b32 s31, vcc_lo
	s_cbranch_execz .LBB54_47
	s_branch .LBB54_113
.LBB54_81:                              ;   in Loop: Header=BB54_48 Depth=1
	s_or_b32 exec_lo, exec_lo, s73
	s_and_saveexec_b32 s73, s1
	s_cbranch_execz .LBB54_50
.LBB54_82:                              ;   in Loop: Header=BB54_48 Depth=1
	v_mov_b32_e32 v11, s39
	ds_load_b32 v11, v11
	s_wait_dscnt 0x0
	v_add_nc_u32_e32 v10, v11, v10
	s_or_b32 exec_lo, exec_lo, s73
	s_and_saveexec_b32 s73, s2
	s_cbranch_execnz .LBB54_51
.LBB54_83:                              ;   in Loop: Header=BB54_48 Depth=1
	s_or_b32 exec_lo, exec_lo, s73
	s_and_saveexec_b32 s73, s3
	s_cbranch_execz .LBB54_52
.LBB54_84:                              ;   in Loop: Header=BB54_48 Depth=1
	v_mov_b32_e32 v11, s44
	ds_load_b32 v11, v11
	s_wait_dscnt 0x0
	v_add_nc_u32_e32 v10, v11, v10
	s_or_b32 exec_lo, exec_lo, s73
	s_and_saveexec_b32 s73, s4
	s_cbranch_execnz .LBB54_53
.LBB54_85:                              ;   in Loop: Header=BB54_48 Depth=1
	s_or_b32 exec_lo, exec_lo, s73
	s_and_saveexec_b32 s73, s5
	s_cbranch_execz .LBB54_54
.LBB54_86:                              ;   in Loop: Header=BB54_48 Depth=1
	v_mov_b32_e32 v11, s46
	ds_load_b32 v11, v11
	s_wait_dscnt 0x0
	v_add_nc_u32_e32 v10, v11, v10
	s_or_b32 exec_lo, exec_lo, s73
	s_and_saveexec_b32 s73, s6
	s_cbranch_execnz .LBB54_55
.LBB54_87:                              ;   in Loop: Header=BB54_48 Depth=1
	s_or_b32 exec_lo, exec_lo, s73
	s_and_saveexec_b32 s73, s7
	s_cbranch_execz .LBB54_56
.LBB54_88:                              ;   in Loop: Header=BB54_48 Depth=1
	v_mov_b32_e32 v11, s48
	ds_load_b32 v11, v11
	s_wait_dscnt 0x0
	v_add_nc_u32_e32 v10, v11, v10
	s_or_b32 exec_lo, exec_lo, s73
	s_and_saveexec_b32 s73, s8
	s_cbranch_execnz .LBB54_57
.LBB54_89:                              ;   in Loop: Header=BB54_48 Depth=1
	s_or_b32 exec_lo, exec_lo, s73
	s_and_saveexec_b32 s73, s9
	s_cbranch_execz .LBB54_58
.LBB54_90:                              ;   in Loop: Header=BB54_48 Depth=1
	v_mov_b32_e32 v11, s50
	ds_load_b32 v11, v11
	s_wait_dscnt 0x0
	v_add_nc_u32_e32 v10, v11, v10
	s_or_b32 exec_lo, exec_lo, s73
	s_and_saveexec_b32 s73, s10
	s_cbranch_execnz .LBB54_59
.LBB54_91:                              ;   in Loop: Header=BB54_48 Depth=1
	s_or_b32 exec_lo, exec_lo, s73
	s_and_saveexec_b32 s73, s11
	s_cbranch_execz .LBB54_60
.LBB54_92:                              ;   in Loop: Header=BB54_48 Depth=1
	v_mov_b32_e32 v11, s52
	ds_load_b32 v11, v11
	s_wait_dscnt 0x0
	v_add_nc_u32_e32 v10, v11, v10
	s_or_b32 exec_lo, exec_lo, s73
	s_and_saveexec_b32 s73, s12
	s_cbranch_execnz .LBB54_61
.LBB54_93:                              ;   in Loop: Header=BB54_48 Depth=1
	s_or_b32 exec_lo, exec_lo, s73
	s_and_saveexec_b32 s73, s13
	s_cbranch_execz .LBB54_62
.LBB54_94:                              ;   in Loop: Header=BB54_48 Depth=1
	v_mov_b32_e32 v11, s54
	ds_load_b32 v11, v11
	s_wait_dscnt 0x0
	v_add_nc_u32_e32 v10, v11, v10
	s_or_b32 exec_lo, exec_lo, s73
	s_and_saveexec_b32 s73, s14
	s_cbranch_execnz .LBB54_63
.LBB54_95:                              ;   in Loop: Header=BB54_48 Depth=1
	s_or_b32 exec_lo, exec_lo, s73
	s_and_saveexec_b32 s73, s15
	s_cbranch_execz .LBB54_64
.LBB54_96:                              ;   in Loop: Header=BB54_48 Depth=1
	v_mov_b32_e32 v11, s56
	ds_load_b32 v11, v11
	s_wait_dscnt 0x0
	v_add_nc_u32_e32 v10, v11, v10
	s_or_b32 exec_lo, exec_lo, s73
	s_and_saveexec_b32 s73, s16
	s_cbranch_execnz .LBB54_65
.LBB54_97:                              ;   in Loop: Header=BB54_48 Depth=1
	s_or_b32 exec_lo, exec_lo, s73
	s_and_saveexec_b32 s73, s17
	s_cbranch_execz .LBB54_66
.LBB54_98:                              ;   in Loop: Header=BB54_48 Depth=1
	v_mov_b32_e32 v11, s58
	ds_load_b32 v11, v11
	s_wait_dscnt 0x0
	v_add_nc_u32_e32 v10, v11, v10
	s_or_b32 exec_lo, exec_lo, s73
	s_and_saveexec_b32 s73, s18
	s_cbranch_execnz .LBB54_67
.LBB54_99:                              ;   in Loop: Header=BB54_48 Depth=1
	s_or_b32 exec_lo, exec_lo, s73
	s_and_saveexec_b32 s73, s19
	s_cbranch_execz .LBB54_68
.LBB54_100:                             ;   in Loop: Header=BB54_48 Depth=1
	v_mov_b32_e32 v11, s60
	ds_load_b32 v11, v11
	s_wait_dscnt 0x0
	v_add_nc_u32_e32 v10, v11, v10
	s_or_b32 exec_lo, exec_lo, s73
	s_and_saveexec_b32 s73, s20
	s_cbranch_execnz .LBB54_69
.LBB54_101:                             ;   in Loop: Header=BB54_48 Depth=1
	s_or_b32 exec_lo, exec_lo, s73
	s_and_saveexec_b32 s73, s21
	s_cbranch_execz .LBB54_70
.LBB54_102:                             ;   in Loop: Header=BB54_48 Depth=1
	v_mov_b32_e32 v11, s62
	ds_load_b32 v11, v11
	s_wait_dscnt 0x0
	v_add_nc_u32_e32 v10, v11, v10
	s_or_b32 exec_lo, exec_lo, s73
	s_and_saveexec_b32 s73, s22
	s_cbranch_execnz .LBB54_71
.LBB54_103:                             ;   in Loop: Header=BB54_48 Depth=1
	s_or_b32 exec_lo, exec_lo, s73
	s_and_saveexec_b32 s73, s23
	s_cbranch_execz .LBB54_72
.LBB54_104:                             ;   in Loop: Header=BB54_48 Depth=1
	v_mov_b32_e32 v11, s64
	ds_load_b32 v11, v11
	s_wait_dscnt 0x0
	v_add_nc_u32_e32 v10, v11, v10
	s_or_b32 exec_lo, exec_lo, s73
	s_and_saveexec_b32 s73, s24
	s_cbranch_execnz .LBB54_73
.LBB54_105:                             ;   in Loop: Header=BB54_48 Depth=1
	s_or_b32 exec_lo, exec_lo, s73
	s_and_saveexec_b32 s73, s25
	s_cbranch_execz .LBB54_74
.LBB54_106:                             ;   in Loop: Header=BB54_48 Depth=1
	v_mov_b32_e32 v11, s66
	ds_load_b32 v11, v11
	s_wait_dscnt 0x0
	v_add_nc_u32_e32 v10, v11, v10
	s_or_b32 exec_lo, exec_lo, s73
	s_and_saveexec_b32 s73, s26
	s_cbranch_execnz .LBB54_75
.LBB54_107:                             ;   in Loop: Header=BB54_48 Depth=1
	s_or_b32 exec_lo, exec_lo, s73
	s_and_saveexec_b32 s73, s27
	s_cbranch_execz .LBB54_76
.LBB54_108:                             ;   in Loop: Header=BB54_48 Depth=1
	v_mov_b32_e32 v11, s68
	ds_load_b32 v11, v11
	s_wait_dscnt 0x0
	v_add_nc_u32_e32 v10, v11, v10
	s_or_b32 exec_lo, exec_lo, s73
	s_and_saveexec_b32 s73, s28
	s_cbranch_execnz .LBB54_77
.LBB54_109:                             ;   in Loop: Header=BB54_48 Depth=1
	s_or_b32 exec_lo, exec_lo, s73
	s_and_saveexec_b32 s73, s29
	s_cbranch_execz .LBB54_78
.LBB54_110:                             ;   in Loop: Header=BB54_48 Depth=1
	v_mov_b32_e32 v11, s70
	ds_load_b32 v11, v11
	s_wait_dscnt 0x0
	v_add_nc_u32_e32 v10, v11, v10
	s_or_b32 exec_lo, exec_lo, s73
	s_and_saveexec_b32 s73, s30
	s_cbranch_execnz .LBB54_79
.LBB54_111:                             ;   in Loop: Header=BB54_48 Depth=1
	s_or_b32 exec_lo, exec_lo, s73
	s_and_saveexec_b32 s73, s31
	s_cbranch_execz .LBB54_80
.LBB54_112:                             ;   in Loop: Header=BB54_48 Depth=1
	s_delay_alu instid0(VALU_DEP_1) | instskip(SKIP_1) | instid1(VALU_DEP_2)
	v_add3_u32 v11, v3, -1, v10
	v_add_lshl_u32 v12, v3, v10, 3
	v_lshl_add_u32 v11, v11, 2, 0
	s_delay_alu instid0(VALU_DEP_2)
	v_add3_u32 v12, 0, v12, 0xfff8
	ds_store_b32 v11, v9
	ds_store_2addr_b32 v12, v4, v5 offset1:1
	s_or_b32 exec_lo, exec_lo, s73
	s_and_saveexec_b32 s31, vcc_lo
	s_cbranch_execz .LBB54_47
.LBB54_113:                             ;   in Loop: Header=BB54_48 Depth=1
	v_mov_b32_e32 v4, s72
	ds_store_b32 v4, v10
	s_branch .LBB54_47
.LBB54_114:
	s_or_b32 exec_lo, exec_lo, s36
	s_wait_kmcnt 0x0
	s_ashr_i32 s43, s42, 31
	s_delay_alu instid0(SALU_CYCLE_1) | instskip(NEXT) | instid1(SALU_CYCLE_1)
	s_lshl_b64 s[0:1], s[42:43], 2
	s_add_nc_u64 s[2:3], s[40:41], s[0:1]
	s_load_b64 s[0:1], s[2:3], 0x0
	s_wait_kmcnt 0x0
	s_sub_co_i32 s4, s1, s0
	s_mov_b32 s1, exec_lo
	v_cmpx_gt_i32_e64 s4, v0
	s_cbranch_execz .LBB54_128
; %bb.115:
	v_sub_co_u32 v1, s1, s4, 2
	s_sub_co_i32 s2, s0, s38
	s_xor_b32 s6, s1, -1
	s_and_b32 s5, s4, -2
	v_readfirstlane_b32 s3, v1
	s_lshr_b32 s0, s3, 1
	s_mov_b32 s3, 0
	s_add_co_i32 s0, s0, 1
	s_mov_b32 s11, s3
	s_and_b32 s1, s0, 7
	s_and_b32 s7, s0, -8
	s_cmp_lg_u32 s1, 0
	v_cmp_lt_u32_e64 s0, 13, v1
	s_cselect_b32 s8, -1, 0
	s_cmp_lg_u32 s4, s5
	s_cselect_b32 s9, -1, 0
	s_lshl_b32 s10, s1, 3
	s_branch .LBB54_117
.LBB54_116:                             ;   in Loop: Header=BB54_117 Depth=1
	v_add_nc_u32_e32 v0, 0x400, v0
	s_wait_dscnt 0x0
	global_store_b64 v4, v[2:3], s[34:35] scale_offset
	v_cmp_le_i32_e32 vcc_lo, s4, v0
	s_or_b32 s11, vcc_lo, s11
	s_wait_xcnt 0x0
	s_and_not1_b32 exec_lo, exec_lo, s11
	s_cbranch_execz .LBB54_128
.LBB54_117:                             ; =>This Loop Header: Depth=1
                                        ;     Child Loop BB54_120 Depth 2
                                        ;     Child Loop BB54_123 Depth 2
                                        ;     Child Loop BB54_127 Depth 2
	v_dual_mov_b32 v4, s2 :: v_dual_lshlrev_b32 v1, 3, v0
	v_lshl_add_u32 v2, v0, 2, 0
	s_and_not1_b32 vcc_lo, exec_lo, s6
	s_mov_b32 s1, 0
	s_delay_alu instid0(VALU_DEP_2)
	v_add3_u32 v3, 0, v1, 0x10000
	s_mov_b32 s12, -1
	ds_load_b32 v1, v2
	ds_load_2addr_b32 v[2:3], v3 offset1:1
	s_cbranch_vccnz .LBB54_125
; %bb.118:                              ;   in Loop: Header=BB54_117 Depth=1
	v_mov_b64_e32 v[4:5], s[2:3]
	s_and_not1_b32 vcc_lo, exec_lo, s0
	s_mov_b32 s12, 0
	s_cbranch_vccnz .LBB54_121
; %bb.119:                              ;   in Loop: Header=BB54_117 Depth=1
	v_dual_mov_b32 v4, s2 :: v_dual_mov_b32 v5, 0
	s_mov_b32 s13, 0
	s_mov_b32 s14, s7
.LBB54_120:                             ;   Parent Loop BB54_117 Depth=1
                                        ; =>  This Inner Loop Header: Depth=2
	v_mov_b32_e32 v20, s13
	s_add_co_i32 s14, s14, -8
	s_add_co_i32 s12, s12, 16
	s_add_co_i32 s13, s13, 64
	s_cmp_lg_u32 s14, 0
	ds_load_2addr_b32 v[6:7], v20 offset1:1
	ds_load_2addr_b32 v[8:9], v20 offset0:2 offset1:3
	ds_load_2addr_b32 v[10:11], v20 offset0:4 offset1:5
	;; [unrolled: 1-line block ×7, first 2 shown]
	s_wait_dscnt 0x7
	v_cmp_gt_i32_e32 vcc_lo, v1, v7
	s_wait_dscnt 0x5
	v_cmp_gt_i32_e64 s1, v1, v10
	v_cndmask_b32_e64 v7, 0, 1, vcc_lo
	v_cmp_gt_i32_e32 vcc_lo, v1, v6
	v_cndmask_b32_e64 v6, 0, 1, vcc_lo
	v_cmp_gt_i32_e32 vcc_lo, v1, v8
	v_cndmask_b32_e64 v8, 0, 1, s1
	v_cmp_gt_i32_e64 s1, v1, v11
	s_delay_alu instid0(VALU_DEP_4) | instskip(NEXT) | instid1(VALU_DEP_2)
	v_add_co_ci_u32_e64 v4, null, v4, v6, vcc_lo
	v_cndmask_b32_e64 v10, 0, 1, s1
	s_wait_dscnt 0x4
	v_cmp_gt_i32_e64 s1, v1, v13
	s_wait_dscnt 0x2
	v_cmp_gt_i32_e32 vcc_lo, v1, v16
	s_delay_alu instid0(VALU_DEP_2) | instskip(SKIP_4) | instid1(VALU_DEP_3)
	v_cndmask_b32_e64 v11, 0, 1, s1
	v_cmp_gt_i32_e64 s1, v1, v12
	v_add_co_ci_u32_e64 v4, null, v4, v8, vcc_lo
	s_wait_dscnt 0x1
	v_cmp_gt_i32_e32 vcc_lo, v1, v18
	v_cndmask_b32_e64 v12, 0, 1, s1
	v_cmp_gt_i32_e64 s1, v1, v14
	s_delay_alu instid0(VALU_DEP_2) | instskip(NEXT) | instid1(VALU_DEP_2)
	v_add_co_ci_u32_e64 v4, null, v4, v12, vcc_lo
	v_cndmask_b32_e64 v13, 0, 1, s1
	v_cmp_gt_i32_e64 s1, v1, v15
	s_wait_dscnt 0x0
	v_cmp_gt_i32_e32 vcc_lo, v1, v20
	s_delay_alu instid0(VALU_DEP_2) | instskip(SKIP_2) | instid1(VALU_DEP_2)
	v_cndmask_b32_e64 v14, 0, 1, s1
	v_cmp_gt_i32_e64 s1, v1, v9
	v_add_co_ci_u32_e64 v4, null, v4, v13, vcc_lo
	v_add_co_ci_u32_e64 v5, null, v5, v7, s1
	v_cmp_gt_i32_e64 s1, v1, v17
	s_delay_alu instid0(VALU_DEP_1) | instskip(SKIP_1) | instid1(VALU_DEP_1)
	v_add_co_ci_u32_e64 v5, null, v5, v10, s1
	v_cmp_gt_i32_e64 s1, v1, v19
	v_add_co_ci_u32_e64 v5, null, v5, v11, s1
	v_cmp_gt_i32_e64 s1, v1, v21
	s_delay_alu instid0(VALU_DEP_1)
	v_add_co_ci_u32_e64 v5, null, v5, v14, s1
	s_cbranch_scc1 .LBB54_120
.LBB54_121:                             ;   in Loop: Header=BB54_117 Depth=1
	s_and_not1_b32 vcc_lo, exec_lo, s8
	s_cbranch_vccnz .LBB54_124
; %bb.122:                              ;   in Loop: Header=BB54_117 Depth=1
	s_lshl_b32 s1, s12, 2
	s_mov_b32 s12, s10
	s_add_co_i32 s1, s1, 0
.LBB54_123:                             ;   Parent Loop BB54_117 Depth=1
                                        ; =>  This Inner Loop Header: Depth=2
	s_delay_alu instid0(SALU_CYCLE_1)
	v_mov_b32_e32 v6, s1
	s_add_co_i32 s12, s12, -8
	s_add_co_i32 s1, s1, 8
	s_cmp_lg_u32 s12, 0
	ds_load_2addr_b32 v[6:7], v6 offset1:1
	s_wait_dscnt 0x0
	v_cmp_gt_i32_e32 vcc_lo, v1, v7
	v_add_co_ci_u32_e64 v5, null, 0, v5, vcc_lo
	v_cmp_gt_i32_e32 vcc_lo, v1, v6
	v_add_co_ci_u32_e64 v4, null, 0, v4, vcc_lo
	s_cbranch_scc1 .LBB54_123
.LBB54_124:                             ;   in Loop: Header=BB54_117 Depth=1
	s_delay_alu instid0(VALU_DEP_1)
	v_add_nc_u32_e32 v4, v4, v5
	s_mov_b32 s1, s5
	s_mov_b32 s12, s9
.LBB54_125:                             ;   in Loop: Header=BB54_117 Depth=1
	s_delay_alu instid0(SALU_CYCLE_1)
	s_and_b32 vcc_lo, exec_lo, s12
	s_cbranch_vccz .LBB54_116
; %bb.126:                              ;   in Loop: Header=BB54_117 Depth=1
	s_lshl_b32 s12, s1, 2
	s_delay_alu instid0(SALU_CYCLE_1)
	s_add_co_i32 s12, s12, 0
.LBB54_127:                             ;   Parent Loop BB54_117 Depth=1
                                        ; =>  This Inner Loop Header: Depth=2
	s_delay_alu instid0(SALU_CYCLE_1)
	v_mov_b32_e32 v5, s12
	s_add_co_i32 s1, s1, 1
	s_add_co_i32 s12, s12, 4
	s_cmp_ge_i32 s1, s4
	ds_load_b32 v5, v5
	s_wait_dscnt 0x0
	v_cmp_gt_i32_e32 vcc_lo, v1, v5
	v_add_co_ci_u32_e64 v4, null, 0, v4, vcc_lo
	s_cbranch_scc0 .LBB54_127
	s_branch .LBB54_116
.LBB54_128:
	s_endpgm
	.section	.rodata,"a",@progbits
	.p2align	6, 0x0
	.amdhsa_kernel _ZN9rocsparseL41csrgemm_numeric_fill_block_per_row_kernelILj1024ELj64ELj16384ELj137ELj32Eii21rocsparse_complex_numIfEEEvT5_PKS3_S5_NS_24const_host_device_scalarIT6_EEPKT4_S5_PKS7_SB_S5_SD_S8_SB_S5_SD_SB_S5_PS7_21rocsparse_index_base_SF_SF_SF_bbb
		.amdhsa_group_segment_fixed_size 0
		.amdhsa_private_segment_fixed_size 0
		.amdhsa_kernarg_size 156
		.amdhsa_user_sgpr_count 2
		.amdhsa_user_sgpr_dispatch_ptr 0
		.amdhsa_user_sgpr_queue_ptr 0
		.amdhsa_user_sgpr_kernarg_segment_ptr 1
		.amdhsa_user_sgpr_dispatch_id 0
		.amdhsa_user_sgpr_kernarg_preload_length 0
		.amdhsa_user_sgpr_kernarg_preload_offset 0
		.amdhsa_user_sgpr_private_segment_size 0
		.amdhsa_wavefront_size32 1
		.amdhsa_uses_dynamic_stack 0
		.amdhsa_enable_private_segment 0
		.amdhsa_system_sgpr_workgroup_id_x 1
		.amdhsa_system_sgpr_workgroup_id_y 0
		.amdhsa_system_sgpr_workgroup_id_z 0
		.amdhsa_system_sgpr_workgroup_info 0
		.amdhsa_system_vgpr_workitem_id 0
		.amdhsa_next_free_vgpr 22
		.amdhsa_next_free_sgpr 74
		.amdhsa_named_barrier_count 0
		.amdhsa_reserve_vcc 1
		.amdhsa_float_round_mode_32 0
		.amdhsa_float_round_mode_16_64 0
		.amdhsa_float_denorm_mode_32 3
		.amdhsa_float_denorm_mode_16_64 3
		.amdhsa_fp16_overflow 0
		.amdhsa_memory_ordered 1
		.amdhsa_forward_progress 1
		.amdhsa_inst_pref_size 38
		.amdhsa_round_robin_scheduling 0
		.amdhsa_exception_fp_ieee_invalid_op 0
		.amdhsa_exception_fp_denorm_src 0
		.amdhsa_exception_fp_ieee_div_zero 0
		.amdhsa_exception_fp_ieee_overflow 0
		.amdhsa_exception_fp_ieee_underflow 0
		.amdhsa_exception_fp_ieee_inexact 0
		.amdhsa_exception_int_div_zero 0
	.end_amdhsa_kernel
	.section	.text._ZN9rocsparseL41csrgemm_numeric_fill_block_per_row_kernelILj1024ELj64ELj16384ELj137ELj32Eii21rocsparse_complex_numIfEEEvT5_PKS3_S5_NS_24const_host_device_scalarIT6_EEPKT4_S5_PKS7_SB_S5_SD_S8_SB_S5_SD_SB_S5_PS7_21rocsparse_index_base_SF_SF_SF_bbb,"axG",@progbits,_ZN9rocsparseL41csrgemm_numeric_fill_block_per_row_kernelILj1024ELj64ELj16384ELj137ELj32Eii21rocsparse_complex_numIfEEEvT5_PKS3_S5_NS_24const_host_device_scalarIT6_EEPKT4_S5_PKS7_SB_S5_SD_S8_SB_S5_SD_SB_S5_PS7_21rocsparse_index_base_SF_SF_SF_bbb,comdat
.Lfunc_end54:
	.size	_ZN9rocsparseL41csrgemm_numeric_fill_block_per_row_kernelILj1024ELj64ELj16384ELj137ELj32Eii21rocsparse_complex_numIfEEEvT5_PKS3_S5_NS_24const_host_device_scalarIT6_EEPKT4_S5_PKS7_SB_S5_SD_S8_SB_S5_SD_SB_S5_PS7_21rocsparse_index_base_SF_SF_SF_bbb, .Lfunc_end54-_ZN9rocsparseL41csrgemm_numeric_fill_block_per_row_kernelILj1024ELj64ELj16384ELj137ELj32Eii21rocsparse_complex_numIfEEEvT5_PKS3_S5_NS_24const_host_device_scalarIT6_EEPKT4_S5_PKS7_SB_S5_SD_S8_SB_S5_SD_SB_S5_PS7_21rocsparse_index_base_SF_SF_SF_bbb
                                        ; -- End function
	.set _ZN9rocsparseL41csrgemm_numeric_fill_block_per_row_kernelILj1024ELj64ELj16384ELj137ELj32Eii21rocsparse_complex_numIfEEEvT5_PKS3_S5_NS_24const_host_device_scalarIT6_EEPKT4_S5_PKS7_SB_S5_SD_S8_SB_S5_SD_SB_S5_PS7_21rocsparse_index_base_SF_SF_SF_bbb.num_vgpr, 22
	.set _ZN9rocsparseL41csrgemm_numeric_fill_block_per_row_kernelILj1024ELj64ELj16384ELj137ELj32Eii21rocsparse_complex_numIfEEEvT5_PKS3_S5_NS_24const_host_device_scalarIT6_EEPKT4_S5_PKS7_SB_S5_SD_S8_SB_S5_SD_SB_S5_PS7_21rocsparse_index_base_SF_SF_SF_bbb.num_agpr, 0
	.set _ZN9rocsparseL41csrgemm_numeric_fill_block_per_row_kernelILj1024ELj64ELj16384ELj137ELj32Eii21rocsparse_complex_numIfEEEvT5_PKS3_S5_NS_24const_host_device_scalarIT6_EEPKT4_S5_PKS7_SB_S5_SD_S8_SB_S5_SD_SB_S5_PS7_21rocsparse_index_base_SF_SF_SF_bbb.numbered_sgpr, 74
	.set _ZN9rocsparseL41csrgemm_numeric_fill_block_per_row_kernelILj1024ELj64ELj16384ELj137ELj32Eii21rocsparse_complex_numIfEEEvT5_PKS3_S5_NS_24const_host_device_scalarIT6_EEPKT4_S5_PKS7_SB_S5_SD_S8_SB_S5_SD_SB_S5_PS7_21rocsparse_index_base_SF_SF_SF_bbb.num_named_barrier, 0
	.set _ZN9rocsparseL41csrgemm_numeric_fill_block_per_row_kernelILj1024ELj64ELj16384ELj137ELj32Eii21rocsparse_complex_numIfEEEvT5_PKS3_S5_NS_24const_host_device_scalarIT6_EEPKT4_S5_PKS7_SB_S5_SD_S8_SB_S5_SD_SB_S5_PS7_21rocsparse_index_base_SF_SF_SF_bbb.private_seg_size, 0
	.set _ZN9rocsparseL41csrgemm_numeric_fill_block_per_row_kernelILj1024ELj64ELj16384ELj137ELj32Eii21rocsparse_complex_numIfEEEvT5_PKS3_S5_NS_24const_host_device_scalarIT6_EEPKT4_S5_PKS7_SB_S5_SD_S8_SB_S5_SD_SB_S5_PS7_21rocsparse_index_base_SF_SF_SF_bbb.uses_vcc, 1
	.set _ZN9rocsparseL41csrgemm_numeric_fill_block_per_row_kernelILj1024ELj64ELj16384ELj137ELj32Eii21rocsparse_complex_numIfEEEvT5_PKS3_S5_NS_24const_host_device_scalarIT6_EEPKT4_S5_PKS7_SB_S5_SD_S8_SB_S5_SD_SB_S5_PS7_21rocsparse_index_base_SF_SF_SF_bbb.uses_flat_scratch, 0
	.set _ZN9rocsparseL41csrgemm_numeric_fill_block_per_row_kernelILj1024ELj64ELj16384ELj137ELj32Eii21rocsparse_complex_numIfEEEvT5_PKS3_S5_NS_24const_host_device_scalarIT6_EEPKT4_S5_PKS7_SB_S5_SD_S8_SB_S5_SD_SB_S5_PS7_21rocsparse_index_base_SF_SF_SF_bbb.has_dyn_sized_stack, 0
	.set _ZN9rocsparseL41csrgemm_numeric_fill_block_per_row_kernelILj1024ELj64ELj16384ELj137ELj32Eii21rocsparse_complex_numIfEEEvT5_PKS3_S5_NS_24const_host_device_scalarIT6_EEPKT4_S5_PKS7_SB_S5_SD_S8_SB_S5_SD_SB_S5_PS7_21rocsparse_index_base_SF_SF_SF_bbb.has_recursion, 0
	.set _ZN9rocsparseL41csrgemm_numeric_fill_block_per_row_kernelILj1024ELj64ELj16384ELj137ELj32Eii21rocsparse_complex_numIfEEEvT5_PKS3_S5_NS_24const_host_device_scalarIT6_EEPKT4_S5_PKS7_SB_S5_SD_S8_SB_S5_SD_SB_S5_PS7_21rocsparse_index_base_SF_SF_SF_bbb.has_indirect_call, 0
	.section	.AMDGPU.csdata,"",@progbits
; Kernel info:
; codeLenInByte = 4848
; TotalNumSgprs: 76
; NumVgprs: 22
; ScratchSize: 0
; MemoryBound: 0
; FloatMode: 240
; IeeeMode: 1
; LDSByteSize: 0 bytes/workgroup (compile time only)
; SGPRBlocks: 0
; VGPRBlocks: 1
; NumSGPRsForWavesPerEU: 76
; NumVGPRsForWavesPerEU: 22
; NamedBarCnt: 0
; Occupancy: 16
; WaveLimiterHint : 1
; COMPUTE_PGM_RSRC2:SCRATCH_EN: 0
; COMPUTE_PGM_RSRC2:USER_SGPR: 2
; COMPUTE_PGM_RSRC2:TRAP_HANDLER: 0
; COMPUTE_PGM_RSRC2:TGID_X_EN: 1
; COMPUTE_PGM_RSRC2:TGID_Y_EN: 0
; COMPUTE_PGM_RSRC2:TGID_Z_EN: 0
; COMPUTE_PGM_RSRC2:TIDIG_COMP_CNT: 0
	.section	.text._ZN9rocsparseL41csrgemm_numeric_fill_block_per_row_kernelILj1024ELj64ELj16384ELj137ELj64Eii21rocsparse_complex_numIfEEEvT5_PKS3_S5_NS_24const_host_device_scalarIT6_EEPKT4_S5_PKS7_SB_S5_SD_S8_SB_S5_SD_SB_S5_PS7_21rocsparse_index_base_SF_SF_SF_bbb,"axG",@progbits,_ZN9rocsparseL41csrgemm_numeric_fill_block_per_row_kernelILj1024ELj64ELj16384ELj137ELj64Eii21rocsparse_complex_numIfEEEvT5_PKS3_S5_NS_24const_host_device_scalarIT6_EEPKT4_S5_PKS7_SB_S5_SD_S8_SB_S5_SD_SB_S5_PS7_21rocsparse_index_base_SF_SF_SF_bbb,comdat
	.globl	_ZN9rocsparseL41csrgemm_numeric_fill_block_per_row_kernelILj1024ELj64ELj16384ELj137ELj64Eii21rocsparse_complex_numIfEEEvT5_PKS3_S5_NS_24const_host_device_scalarIT6_EEPKT4_S5_PKS7_SB_S5_SD_S8_SB_S5_SD_SB_S5_PS7_21rocsparse_index_base_SF_SF_SF_bbb ; -- Begin function _ZN9rocsparseL41csrgemm_numeric_fill_block_per_row_kernelILj1024ELj64ELj16384ELj137ELj64Eii21rocsparse_complex_numIfEEEvT5_PKS3_S5_NS_24const_host_device_scalarIT6_EEPKT4_S5_PKS7_SB_S5_SD_S8_SB_S5_SD_SB_S5_PS7_21rocsparse_index_base_SF_SF_SF_bbb
	.p2align	8
	.type	_ZN9rocsparseL41csrgemm_numeric_fill_block_per_row_kernelILj1024ELj64ELj16384ELj137ELj64Eii21rocsparse_complex_numIfEEEvT5_PKS3_S5_NS_24const_host_device_scalarIT6_EEPKT4_S5_PKS7_SB_S5_SD_S8_SB_S5_SD_SB_S5_PS7_21rocsparse_index_base_SF_SF_SF_bbb,@function
_ZN9rocsparseL41csrgemm_numeric_fill_block_per_row_kernelILj1024ELj64ELj16384ELj137ELj64Eii21rocsparse_complex_numIfEEEvT5_PKS3_S5_NS_24const_host_device_scalarIT6_EEPKT4_S5_PKS7_SB_S5_SD_S8_SB_S5_SD_SB_S5_PS7_21rocsparse_index_base_SF_SF_SF_bbb: ; @_ZN9rocsparseL41csrgemm_numeric_fill_block_per_row_kernelILj1024ELj64ELj16384ELj137ELj64Eii21rocsparse_complex_numIfEEEvT5_PKS3_S5_NS_24const_host_device_scalarIT6_EEPKT4_S5_PKS7_SB_S5_SD_S8_SB_S5_SD_SB_S5_PS7_21rocsparse_index_base_SF_SF_SF_bbb
; %bb.0:
	s_clause 0x7
	s_load_b32 s33, s[0:1], 0x98
	s_load_b128 s[16:19], s[0:1], 0x88
	s_load_b64 s[24:25], s[0:1], 0x80
	s_load_b128 s[4:7], s[0:1], 0x60
	s_load_b128 s[20:23], s[0:1], 0x8
	s_load_b64 s[2:3], s[0:1], 0x28
	s_load_b128 s[8:11], s[0:1], 0x40
	s_load_b64 s[36:37], s[0:1], 0x50
	s_mov_b32 s29, 0
	s_mov_b32 s39, 0
	s_wait_kmcnt 0x0
	s_bitcmp1_b32 s33, 0
	s_cselect_b32 s41, -1, 0
	s_bitcmp1_b32 s33, 16
	s_cselect_b32 s12, -1, 0
	s_delay_alu instid0(SALU_CYCLE_1) | instskip(SKIP_2) | instid1(VALU_DEP_1)
	s_xor_b32 s12, s12, -1
	s_bitcmp0_b32 s33, 0
	v_cndmask_b32_e64 v1, 0, 1, s12
	v_cmp_ne_u32_e32 vcc_lo, 1, v1
	s_cbranch_scc1 .LBB55_5
; %bb.1:
	s_load_b64 s[28:29], s[0:1], 0x18
	s_and_b32 vcc_lo, exec_lo, vcc_lo
	s_wait_kmcnt 0x0
	s_mov_b32 s39, s28
	s_cbranch_vccnz .LBB55_3
; %bb.2:
	s_load_b32 s39, s[28:29], 0x0
.LBB55_3:
	s_and_not1_b32 vcc_lo, exec_lo, s12
	s_cbranch_vccnz .LBB55_5
; %bb.4:
	s_wait_xcnt 0x0
	s_load_b32 s29, s[28:29], 0x4
.LBB55_5:
	s_clause 0x3
	s_load_b64 s[26:27], s[0:1], 0x70
	s_load_b64 s[30:31], s[0:1], 0x58
	;; [unrolled: 1-line block ×3, first 2 shown]
	s_load_b128 s[12:15], s[0:1], 0x30
	s_bitcmp1_b32 s33, 8
	s_mov_b32 s38, 0
	s_cselect_b32 s40, -1, 0
	s_wait_xcnt 0x0
	s_bfe_u32 s28, s33, 0x10008
	s_mov_b32 s33, 0
	s_cmp_eq_u32 s28, 0
	s_cbranch_scc1 .LBB55_11
; %bb.6:
	v_cmp_ne_u32_e32 vcc_lo, 1, v1
	s_mov_b32 s33, s36
	s_cbranch_vccnz .LBB55_8
; %bb.7:
	s_load_b32 s33, s[36:37], 0x0
.LBB55_8:
	v_cmp_ne_u32_e32 vcc_lo, 1, v1
	s_cbranch_vccnz .LBB55_10
; %bb.9:
	s_wait_xcnt 0x0
	s_load_b32 s37, s[36:37], 0x4
.LBB55_10:
	s_wait_kmcnt 0x0
	s_mov_b32 s38, s37
.LBB55_11:
	s_load_b32 s28, s[0:1], 0x0
	v_lshl_add_u32 v1, v0, 2, 0
	v_lshlrev_b32_e32 v2, 3, v0
	v_or_b32_e32 v7, 0xfffffc00, v0
	s_wait_xcnt 0x0
	s_mov_b32 s0, 0
	v_mov_b32_e32 v3, v1
	v_add3_u32 v6, v2, 0, 0x10000
	v_dual_mov_b32 v2, 0 :: v_dual_mov_b32 v8, v7
	s_wait_kmcnt 0x0
	s_delay_alu instid0(VALU_DEP_2)
	v_dual_mov_b32 v4, v6 :: v_dual_mov_b32 v5, s28
.LBB55_12:                              ; =>This Inner Loop Header: Depth=1
	s_delay_alu instid0(VALU_DEP_2)
	v_add_nc_u32_e32 v8, 0x400, v8
	ds_store_b32 v3, v5
	ds_store_2addr_b32 v4, v2, v2 offset1:1
	v_add_nc_u32_e32 v4, 0x2000, v4
	v_add_nc_u32_e32 v3, 0x1000, v3
	v_cmp_lt_u32_e32 vcc_lo, 0x3bff, v8
	s_or_b32 s0, vcc_lo, s0
	s_delay_alu instid0(SALU_CYCLE_1)
	s_and_not1_b32 exec_lo, exec_lo, s0
	s_cbranch_execnz .LBB55_12
; %bb.13:
	s_or_b32 exec_lo, exec_lo, s0
	s_wait_dscnt 0x0
	s_barrier_signal -1
	s_barrier_wait -1
	s_load_b32 s0, s[20:21], 0x0
	s_bfe_u32 s1, ttmp6, 0x4000c
	s_wait_xcnt 0x0
	s_and_b32 s20, ttmp6, 15
	s_add_co_i32 s1, s1, 1
	s_getreg_b32 s21, hwreg(HW_REG_IB_STS2, 6, 4)
	s_mul_i32 s1, ttmp9, s1
	v_lshrrev_b32_e32 v8, 6, v0
	s_add_co_i32 s20, s20, s1
	s_cmp_eq_u32 s21, 0
	s_cselect_b32 s1, ttmp9, s20
	s_and_b32 vcc_lo, exec_lo, s41
	s_wait_kmcnt 0x0
	s_add_co_i32 s0, s0, s1
	s_load_b32 s20, s[22:23], s0 offset:0x0 scale_offset
	s_cbranch_vccz .LBB55_31
; %bb.14:
	s_wait_kmcnt 0x0
	s_ashr_i32 s21, s20, 31
	v_subrev_nc_u32_e32 v2, s16, v8
	s_lshl_b64 s[0:1], s[20:21], 2
	s_delay_alu instid0(SALU_CYCLE_1)
	s_add_nc_u64 s[0:1], s[34:35], s[0:1]
	s_load_b64 s[22:23], s[0:1], 0x0
	s_wait_xcnt 0x0
	s_mov_b32 s1, exec_lo
	s_wait_kmcnt 0x0
	v_add_nc_u32_e32 v2, s22, v2
	s_sub_co_i32 s0, s23, s16
	s_delay_alu instid0(VALU_DEP_1) | instid1(SALU_CYCLE_1)
	v_cmpx_gt_i32_e64 s0, v2
	s_cbranch_execz .LBB55_30
; %bb.15:
	v_and_b32_e32 v3, 63, v0
	s_mov_b32 s21, 0
	s_delay_alu instid0(VALU_DEP_1)
	v_subrev_nc_u32_e32 v9, s17, v3
	s_branch .LBB55_17
.LBB55_16:                              ;   in Loop: Header=BB55_17 Depth=1
	s_or_b32 exec_lo, exec_lo, s22
	v_add_nc_u32_e32 v2, 16, v2
	s_delay_alu instid0(VALU_DEP_1) | instskip(SKIP_1) | instid1(SALU_CYCLE_1)
	v_cmp_le_i32_e32 vcc_lo, s0, v2
	s_or_b32 s21, vcc_lo, s21
	s_and_not1_b32 exec_lo, exec_lo, s21
	s_cbranch_execz .LBB55_30
.LBB55_17:                              ; =>This Loop Header: Depth=1
                                        ;     Child Loop BB55_21 Depth 2
                                        ;       Child Loop BB55_24 Depth 3
	global_load_b32 v3, v2, s[2:3] scale_offset
	s_mov_b32 s22, exec_lo
	s_wait_loadcnt 0x0
	v_subrev_nc_u32_e32 v4, s16, v3
	s_delay_alu instid0(VALU_DEP_1) | instskip(NEXT) | instid1(VALU_DEP_1)
	v_ashrrev_i32_e32 v5, 31, v4
	v_lshl_add_u64 v[4:5], v[4:5], 2, s[14:15]
	global_load_b64 v[4:5], v[4:5], off
	s_wait_loadcnt 0x0
	v_subrev_nc_u32_e32 v10, s17, v5
	v_add_nc_u32_e32 v11, v4, v9
	s_wait_xcnt 0x0
	s_delay_alu instid0(VALU_DEP_1)
	v_cmpx_lt_i32_e64 v11, v10
	s_cbranch_execz .LBB55_16
; %bb.18:                               ;   in Loop: Header=BB55_17 Depth=1
	v_ashrrev_i32_e32 v3, 31, v2
	s_mov_b32 s23, 0
	s_delay_alu instid0(VALU_DEP_1) | instskip(SKIP_3) | instid1(VALU_DEP_1)
	v_lshl_add_u64 v[4:5], v[2:3], 3, s[12:13]
	global_load_b64 v[4:5], v[4:5], off
	s_wait_loadcnt 0x0
	v_mul_f32_e64 v3, v5, -s29
	v_dual_mul_f32 v12, s39, v5 :: v_dual_fmac_f32 v3, s39, v4
	s_delay_alu instid0(VALU_DEP_1)
	v_fmac_f32_e32 v12, s29, v4
	s_branch .LBB55_21
.LBB55_19:                              ;   in Loop: Header=BB55_21 Depth=2
	s_or_b32 exec_lo, exec_lo, s35
.LBB55_20:                              ;   in Loop: Header=BB55_21 Depth=2
	s_delay_alu instid0(SALU_CYCLE_1) | instskip(SKIP_3) | instid1(VALU_DEP_2)
	s_or_b32 exec_lo, exec_lo, s34
	s_wait_loadcnt 0x0
	v_dual_mul_f32 v14, v5, -v12 :: v_dual_lshlrev_b32 v13, 3, v13
	v_dual_mul_f32 v5, v3, v5 :: v_dual_add_nc_u32 v11, 64, v11
	v_fmac_f32_e32 v14, v3, v4
	s_delay_alu instid0(VALU_DEP_3) | instskip(NEXT) | instid1(VALU_DEP_3)
	v_add3_u32 v13, 0, v13, 0x10000
	v_fmac_f32_e32 v5, v12, v4
	ds_add_f32 v13, v14
	ds_add_f32 v13, v5 offset:4
	v_cmp_ge_i32_e32 vcc_lo, v11, v10
	s_or_b32 s23, vcc_lo, s23
	s_delay_alu instid0(SALU_CYCLE_1)
	s_and_not1_b32 exec_lo, exec_lo, s23
	s_cbranch_execz .LBB55_16
.LBB55_21:                              ;   Parent Loop BB55_17 Depth=1
                                        ; =>  This Loop Header: Depth=2
                                        ;       Child Loop BB55_24 Depth 3
	s_clause 0x1
	global_load_b32 v13, v11, s[8:9] scale_offset
	global_load_b64 v[4:5], v11, s[10:11] scale_offset
	s_mov_b32 s34, exec_lo
	s_wait_loadcnt 0x1
	v_subrev_nc_u32_e32 v14, s17, v13
	s_delay_alu instid0(VALU_DEP_1) | instskip(NEXT) | instid1(VALU_DEP_1)
	v_mul_lo_u32 v13, 0x89, v14
	v_and_b32_e32 v13, 0x3fff, v13
	s_delay_alu instid0(VALU_DEP_1)
	v_lshl_add_u32 v15, v13, 2, 0
	ds_load_b32 v16, v15
	s_wait_dscnt 0x0
	s_wait_xcnt 0x0
	v_cmpx_ne_u32_e64 v16, v14
	s_cbranch_execz .LBB55_20
; %bb.22:                               ;   in Loop: Header=BB55_21 Depth=2
	s_mov_b32 s35, 0
	s_branch .LBB55_24
.LBB55_23:                              ;   in Loop: Header=BB55_24 Depth=3
	s_or_b32 exec_lo, exec_lo, s41
	s_delay_alu instid0(SALU_CYCLE_1) | instskip(NEXT) | instid1(SALU_CYCLE_1)
	s_and_b32 s36, exec_lo, s37
	s_or_b32 s35, s36, s35
	s_delay_alu instid0(SALU_CYCLE_1)
	s_and_not1_b32 exec_lo, exec_lo, s35
	s_cbranch_execz .LBB55_19
.LBB55_24:                              ;   Parent Loop BB55_17 Depth=1
                                        ;     Parent Loop BB55_21 Depth=2
                                        ; =>    This Inner Loop Header: Depth=3
	s_mov_b32 s36, 0
	s_mov_b32 s37, exec_lo
	v_cmpx_ne_u32_e64 s28, v16
	s_xor_b32 s37, exec_lo, s37
	s_cbranch_execz .LBB55_26
; %bb.25:                               ;   in Loop: Header=BB55_24 Depth=3
	v_add_nc_u32_e32 v13, 1, v13
	s_mov_b32 s36, exec_lo
                                        ; implicit-def: $vgpr15
	s_delay_alu instid0(VALU_DEP_1)
	v_and_b32_e32 v13, 0x3fff, v13
	s_and_not1_saveexec_b32 s37, s37
	s_cbranch_execz .LBB55_28
	s_branch .LBB55_27
.LBB55_26:                              ;   in Loop: Header=BB55_24 Depth=3
	s_and_not1_saveexec_b32 s37, s37
	s_cbranch_execz .LBB55_28
.LBB55_27:                              ;   in Loop: Header=BB55_24 Depth=3
	v_mov_b32_e32 v16, s28
	s_and_not1_b32 s36, s36, exec_lo
	ds_cmpstore_rtn_b32 v15, v15, v14, v16
	s_wait_dscnt 0x0
	v_cmp_ne_u32_e32 vcc_lo, s28, v15
	s_and_b32 s41, vcc_lo, exec_lo
	s_delay_alu instid0(SALU_CYCLE_1)
	s_or_b32 s36, s36, s41
.LBB55_28:                              ;   in Loop: Header=BB55_24 Depth=3
	s_or_b32 exec_lo, exec_lo, s37
	s_mov_b32 s37, -1
                                        ; implicit-def: $vgpr15
                                        ; implicit-def: $vgpr16
	s_and_saveexec_b32 s41, s36
	s_cbranch_execz .LBB55_23
; %bb.29:                               ;   in Loop: Header=BB55_24 Depth=3
	v_lshl_add_u32 v15, v13, 2, 0
	ds_load_b32 v16, v15
	s_wait_dscnt 0x0
	v_cmp_eq_u32_e32 vcc_lo, v16, v14
	s_or_not1_b32 s37, vcc_lo, exec_lo
	s_branch .LBB55_23
.LBB55_30:
	s_or_b32 exec_lo, exec_lo, s1
.LBB55_31:
	s_delay_alu instid0(SALU_CYCLE_1)
	s_and_not1_b32 vcc_lo, exec_lo, s40
	s_cbranch_vccnz .LBB55_46
; %bb.32:
	s_wait_kmcnt 0x0
	s_ashr_i32 s21, s20, 31
	v_subrev_nc_u32_e32 v2, s19, v0
	s_lshl_b64 s[0:1], s[20:21], 2
	s_delay_alu instid0(SALU_CYCLE_1)
	s_add_nc_u64 s[0:1], s[30:31], s[0:1]
	s_load_b64 s[2:3], s[0:1], 0x0
	s_wait_xcnt 0x0
	s_mov_b32 s1, exec_lo
	s_wait_kmcnt 0x0
	v_add_nc_u32_e32 v4, s2, v2
	s_sub_co_i32 s0, s3, s19
	s_delay_alu instid0(VALU_DEP_1) | instid1(SALU_CYCLE_1)
	v_cmpx_gt_i32_e64 s0, v4
	s_cbranch_execz .LBB55_45
; %bb.33:
	s_mov_b32 s2, 0
	s_branch .LBB55_36
.LBB55_34:                              ;   in Loop: Header=BB55_36 Depth=1
	s_or_b32 exec_lo, exec_lo, s8
.LBB55_35:                              ;   in Loop: Header=BB55_36 Depth=1
	s_delay_alu instid0(SALU_CYCLE_1) | instskip(SKIP_3) | instid1(VALU_DEP_2)
	s_or_b32 exec_lo, exec_lo, s3
	s_wait_loadcnt 0x0
	v_mul_f32_e64 v9, v3, -s38
	v_dual_lshlrev_b32 v5, 3, v5 :: v_dual_mul_f32 v3, s33, v3
	v_dual_fmac_f32 v9, s33, v2 :: v_dual_add_nc_u32 v4, 0x400, v4
	s_delay_alu instid0(VALU_DEP_2) | instskip(NEXT) | instid1(VALU_DEP_3)
	v_add3_u32 v5, 0, v5, 0x10000
	v_fmac_f32_e32 v3, s38, v2
	s_delay_alu instid0(VALU_DEP_3) | instskip(SKIP_3) | instid1(SALU_CYCLE_1)
	v_cmp_le_i32_e32 vcc_lo, s0, v4
	ds_add_f32 v5, v9
	ds_add_f32 v5, v3 offset:4
	s_or_b32 s2, vcc_lo, s2
	s_and_not1_b32 exec_lo, exec_lo, s2
	s_cbranch_execz .LBB55_45
.LBB55_36:                              ; =>This Loop Header: Depth=1
                                        ;     Child Loop BB55_39 Depth 2
	s_clause 0x1
	global_load_b32 v5, v4, s[4:5] scale_offset
	global_load_b64 v[2:3], v4, s[6:7] scale_offset
	s_mov_b32 s3, exec_lo
	s_wait_loadcnt 0x1
	v_subrev_nc_u32_e32 v9, s19, v5
	s_delay_alu instid0(VALU_DEP_1) | instskip(NEXT) | instid1(VALU_DEP_1)
	v_mul_lo_u32 v5, 0x89, v9
	v_and_b32_e32 v5, 0x3fff, v5
	s_delay_alu instid0(VALU_DEP_1)
	v_lshl_add_u32 v10, v5, 2, 0
	ds_load_b32 v11, v10
	s_wait_dscnt 0x0
	s_wait_xcnt 0x0
	v_cmpx_ne_u32_e64 v11, v9
	s_cbranch_execz .LBB55_35
; %bb.37:                               ;   in Loop: Header=BB55_36 Depth=1
	s_mov_b32 s8, 0
	s_branch .LBB55_39
.LBB55_38:                              ;   in Loop: Header=BB55_39 Depth=2
	s_or_b32 exec_lo, exec_lo, s11
	s_delay_alu instid0(SALU_CYCLE_1) | instskip(NEXT) | instid1(SALU_CYCLE_1)
	s_and_b32 s9, exec_lo, s10
	s_or_b32 s8, s9, s8
	s_delay_alu instid0(SALU_CYCLE_1)
	s_and_not1_b32 exec_lo, exec_lo, s8
	s_cbranch_execz .LBB55_34
.LBB55_39:                              ;   Parent Loop BB55_36 Depth=1
                                        ; =>  This Inner Loop Header: Depth=2
	s_mov_b32 s9, 0
	s_mov_b32 s10, exec_lo
	v_cmpx_ne_u32_e64 s28, v11
	s_xor_b32 s10, exec_lo, s10
	s_cbranch_execz .LBB55_41
; %bb.40:                               ;   in Loop: Header=BB55_39 Depth=2
	v_add_nc_u32_e32 v5, 1, v5
	s_mov_b32 s9, exec_lo
                                        ; implicit-def: $vgpr10
	s_delay_alu instid0(VALU_DEP_1)
	v_and_b32_e32 v5, 0x3fff, v5
	s_and_not1_saveexec_b32 s10, s10
	s_cbranch_execz .LBB55_43
	s_branch .LBB55_42
.LBB55_41:                              ;   in Loop: Header=BB55_39 Depth=2
	s_and_not1_saveexec_b32 s10, s10
	s_cbranch_execz .LBB55_43
.LBB55_42:                              ;   in Loop: Header=BB55_39 Depth=2
	v_mov_b32_e32 v11, s28
	s_and_not1_b32 s9, s9, exec_lo
	ds_cmpstore_rtn_b32 v10, v10, v9, v11
	s_wait_dscnt 0x0
	v_cmp_ne_u32_e32 vcc_lo, s28, v10
	s_and_b32 s11, vcc_lo, exec_lo
	s_delay_alu instid0(SALU_CYCLE_1)
	s_or_b32 s9, s9, s11
.LBB55_43:                              ;   in Loop: Header=BB55_39 Depth=2
	s_or_b32 exec_lo, exec_lo, s10
	s_mov_b32 s10, -1
                                        ; implicit-def: $vgpr10
                                        ; implicit-def: $vgpr11
	s_and_saveexec_b32 s11, s9
	s_cbranch_execz .LBB55_38
; %bb.44:                               ;   in Loop: Header=BB55_39 Depth=2
	v_lshl_add_u32 v10, v5, 2, 0
	ds_load_b32 v11, v10
	s_wait_dscnt 0x0
	v_cmp_eq_u32_e32 vcc_lo, v11, v9
	s_or_not1_b32 s10, vcc_lo, exec_lo
	s_branch .LBB55_38
.LBB55_45:
	s_or_b32 exec_lo, exec_lo, s1
.LBB55_46:
	v_mbcnt_lo_u32_b32 v2, -1, 0
	v_lshlrev_b32_e32 v4, 2, v8
	s_add_co_i32 s36, 0, 0x3003c
	s_delay_alu instid0(SALU_CYCLE_1) | instskip(NEXT) | instid1(VALU_DEP_3)
	v_dual_mov_b32 v3, 0 :: v_dual_mov_b32 v9, s36
	v_xor_b32_e32 v2, 31, v2
	s_delay_alu instid0(VALU_DEP_3)
	v_add3_u32 v8, 0x30000, 0, v4
	s_wait_xcnt 0x0
	v_cmp_lt_u32_e64 s0, 63, v0
	v_cmp_lt_u32_e64 s1, 0x7f, v0
	;; [unrolled: 1-line block ×3, first 2 shown]
	v_lshrrev_b32_e64 v2, v2, -1
	v_cmp_lt_u32_e64 s3, 0xff, v0
	v_cmp_lt_u32_e64 s4, 0x13f, v0
	;; [unrolled: 1-line block ×12, first 2 shown]
	s_mov_b32 s16, 0
	s_add_co_i32 s17, 0, 0x30000
	s_add_co_i32 s19, 0, 0x30004
	;; [unrolled: 1-line block ×15, first 2 shown]
	s_wait_dscnt 0x0
	s_barrier_signal -1
	s_barrier_wait -1
	v_cmp_eq_u32_e32 vcc_lo, 0x3ff, v0
	s_branch .LBB55_48
.LBB55_47:                              ;   in Loop: Header=BB55_48 Depth=1
	s_or_b32 exec_lo, exec_lo, s15
	s_wait_dscnt 0x0
	s_barrier_signal -1
	s_barrier_wait -1
	ds_load_b32 v4, v9
	v_add_nc_u32_e32 v7, 0x400, v7
	v_add_nc_u32_e32 v6, 0x2000, v6
	;; [unrolled: 1-line block ×3, first 2 shown]
	s_delay_alu instid0(VALU_DEP_3)
	v_cmp_lt_u32_e64 s15, 0x3bff, v7
	s_or_b32 s16, s15, s16
	s_wait_dscnt 0x0
	v_add_nc_u32_e32 v3, v4, v3
	s_and_not1_b32 exec_lo, exec_lo, s16
	s_cbranch_execz .LBB55_82
.LBB55_48:                              ; =>This Inner Loop Header: Depth=1
	ds_load_b32 v10, v1
	ds_load_2addr_b32 v[4:5], v6 offset1:1
	s_wait_dscnt 0x0
	s_barrier_signal -1
	s_barrier_wait -1
	v_cmp_gt_i32_e64 s15, s28, v10
	s_bcnt1_i32_b32 s41, s15
	s_delay_alu instid0(SALU_CYCLE_1) | instskip(NEXT) | instid1(VALU_DEP_1)
	v_dual_mov_b32 v12, s41 :: v_dual_bitop2_b32 v11, s15, v2 bitop3:0x40
	v_bcnt_u32_b32 v11, v11, 0
	ds_store_b32 v8, v12
	s_wait_dscnt 0x0
	s_barrier_signal -1
	s_barrier_wait -1
	s_and_saveexec_b32 s41, s0
	s_cbranch_execz .LBB55_65
; %bb.49:                               ;   in Loop: Header=BB55_48 Depth=1
	v_mov_b32_e32 v12, s17
	ds_load_b32 v12, v12
	s_wait_dscnt 0x0
	v_add_nc_u32_e32 v11, v12, v11
	s_or_b32 exec_lo, exec_lo, s41
	s_and_saveexec_b32 s41, s1
	s_cbranch_execnz .LBB55_66
.LBB55_50:                              ;   in Loop: Header=BB55_48 Depth=1
	s_or_b32 exec_lo, exec_lo, s41
	s_and_saveexec_b32 s41, s2
	s_cbranch_execz .LBB55_67
.LBB55_51:                              ;   in Loop: Header=BB55_48 Depth=1
	v_mov_b32_e32 v12, s21
	ds_load_b32 v12, v12
	s_wait_dscnt 0x0
	v_add_nc_u32_e32 v11, v12, v11
	s_or_b32 exec_lo, exec_lo, s41
	s_and_saveexec_b32 s41, s3
	s_cbranch_execnz .LBB55_68
.LBB55_52:                              ;   in Loop: Header=BB55_48 Depth=1
	s_or_b32 exec_lo, exec_lo, s41
	s_and_saveexec_b32 s41, s4
	s_cbranch_execz .LBB55_69
.LBB55_53:                              ;   in Loop: Header=BB55_48 Depth=1
	v_mov_b32_e32 v12, s23
	ds_load_b32 v12, v12
	s_wait_dscnt 0x0
	v_add_nc_u32_e32 v11, v12, v11
	s_or_b32 exec_lo, exec_lo, s41
	s_and_saveexec_b32 s41, s5
	s_cbranch_execnz .LBB55_70
.LBB55_54:                              ;   in Loop: Header=BB55_48 Depth=1
	s_or_b32 exec_lo, exec_lo, s41
	s_and_saveexec_b32 s41, s6
	s_cbranch_execz .LBB55_71
.LBB55_55:                              ;   in Loop: Header=BB55_48 Depth=1
	v_mov_b32_e32 v12, s30
	ds_load_b32 v12, v12
	s_wait_dscnt 0x0
	v_add_nc_u32_e32 v11, v12, v11
	s_or_b32 exec_lo, exec_lo, s41
	s_and_saveexec_b32 s41, s7
	s_cbranch_execnz .LBB55_72
.LBB55_56:                              ;   in Loop: Header=BB55_48 Depth=1
	s_or_b32 exec_lo, exec_lo, s41
	s_and_saveexec_b32 s41, s8
	s_cbranch_execz .LBB55_73
.LBB55_57:                              ;   in Loop: Header=BB55_48 Depth=1
	v_mov_b32_e32 v12, s33
	ds_load_b32 v12, v12
	s_wait_dscnt 0x0
	v_add_nc_u32_e32 v11, v12, v11
	s_or_b32 exec_lo, exec_lo, s41
	s_and_saveexec_b32 s41, s9
	s_cbranch_execnz .LBB55_74
.LBB55_58:                              ;   in Loop: Header=BB55_48 Depth=1
	s_or_b32 exec_lo, exec_lo, s41
	s_and_saveexec_b32 s41, s10
	s_cbranch_execz .LBB55_75
.LBB55_59:                              ;   in Loop: Header=BB55_48 Depth=1
	v_mov_b32_e32 v12, s35
	ds_load_b32 v12, v12
	s_wait_dscnt 0x0
	v_add_nc_u32_e32 v11, v12, v11
	s_or_b32 exec_lo, exec_lo, s41
	s_and_saveexec_b32 s41, s11
	s_cbranch_execnz .LBB55_76
.LBB55_60:                              ;   in Loop: Header=BB55_48 Depth=1
	s_or_b32 exec_lo, exec_lo, s41
	s_and_saveexec_b32 s41, s12
	s_cbranch_execz .LBB55_77
.LBB55_61:                              ;   in Loop: Header=BB55_48 Depth=1
	v_mov_b32_e32 v12, s38
	ds_load_b32 v12, v12
	s_wait_dscnt 0x0
	v_add_nc_u32_e32 v11, v12, v11
	s_or_b32 exec_lo, exec_lo, s41
	s_and_saveexec_b32 s41, s13
	s_cbranch_execnz .LBB55_78
.LBB55_62:                              ;   in Loop: Header=BB55_48 Depth=1
	s_or_b32 exec_lo, exec_lo, s41
	s_and_saveexec_b32 s41, s14
	s_cbranch_execz .LBB55_79
.LBB55_63:                              ;   in Loop: Header=BB55_48 Depth=1
	v_mov_b32_e32 v12, s40
	ds_load_b32 v12, v12
	s_wait_dscnt 0x0
	v_add_nc_u32_e32 v11, v12, v11
	s_or_b32 exec_lo, exec_lo, s41
	s_and_saveexec_b32 s41, s15
	s_cbranch_execnz .LBB55_80
.LBB55_64:                              ;   in Loop: Header=BB55_48 Depth=1
	s_or_b32 exec_lo, exec_lo, s41
	s_and_saveexec_b32 s15, vcc_lo
	s_cbranch_execz .LBB55_47
	s_branch .LBB55_81
.LBB55_65:                              ;   in Loop: Header=BB55_48 Depth=1
	s_or_b32 exec_lo, exec_lo, s41
	s_and_saveexec_b32 s41, s1
	s_cbranch_execz .LBB55_50
.LBB55_66:                              ;   in Loop: Header=BB55_48 Depth=1
	v_mov_b32_e32 v12, s19
	ds_load_b32 v12, v12
	s_wait_dscnt 0x0
	v_add_nc_u32_e32 v11, v12, v11
	s_or_b32 exec_lo, exec_lo, s41
	s_and_saveexec_b32 s41, s2
	s_cbranch_execnz .LBB55_51
.LBB55_67:                              ;   in Loop: Header=BB55_48 Depth=1
	s_or_b32 exec_lo, exec_lo, s41
	s_and_saveexec_b32 s41, s3
	s_cbranch_execz .LBB55_52
.LBB55_68:                              ;   in Loop: Header=BB55_48 Depth=1
	v_mov_b32_e32 v12, s22
	ds_load_b32 v12, v12
	s_wait_dscnt 0x0
	v_add_nc_u32_e32 v11, v12, v11
	s_or_b32 exec_lo, exec_lo, s41
	s_and_saveexec_b32 s41, s4
	s_cbranch_execnz .LBB55_53
.LBB55_69:                              ;   in Loop: Header=BB55_48 Depth=1
	s_or_b32 exec_lo, exec_lo, s41
	s_and_saveexec_b32 s41, s5
	s_cbranch_execz .LBB55_54
.LBB55_70:                              ;   in Loop: Header=BB55_48 Depth=1
	v_mov_b32_e32 v12, s29
	ds_load_b32 v12, v12
	s_wait_dscnt 0x0
	v_add_nc_u32_e32 v11, v12, v11
	s_or_b32 exec_lo, exec_lo, s41
	s_and_saveexec_b32 s41, s6
	s_cbranch_execnz .LBB55_55
.LBB55_71:                              ;   in Loop: Header=BB55_48 Depth=1
	s_or_b32 exec_lo, exec_lo, s41
	s_and_saveexec_b32 s41, s7
	s_cbranch_execz .LBB55_56
.LBB55_72:                              ;   in Loop: Header=BB55_48 Depth=1
	v_mov_b32_e32 v12, s31
	ds_load_b32 v12, v12
	s_wait_dscnt 0x0
	v_add_nc_u32_e32 v11, v12, v11
	s_or_b32 exec_lo, exec_lo, s41
	s_and_saveexec_b32 s41, s8
	s_cbranch_execnz .LBB55_57
.LBB55_73:                              ;   in Loop: Header=BB55_48 Depth=1
	s_or_b32 exec_lo, exec_lo, s41
	s_and_saveexec_b32 s41, s9
	s_cbranch_execz .LBB55_58
.LBB55_74:                              ;   in Loop: Header=BB55_48 Depth=1
	v_mov_b32_e32 v12, s34
	ds_load_b32 v12, v12
	s_wait_dscnt 0x0
	v_add_nc_u32_e32 v11, v12, v11
	s_or_b32 exec_lo, exec_lo, s41
	s_and_saveexec_b32 s41, s10
	s_cbranch_execnz .LBB55_59
.LBB55_75:                              ;   in Loop: Header=BB55_48 Depth=1
	s_or_b32 exec_lo, exec_lo, s41
	s_and_saveexec_b32 s41, s11
	s_cbranch_execz .LBB55_60
.LBB55_76:                              ;   in Loop: Header=BB55_48 Depth=1
	v_mov_b32_e32 v12, s37
	ds_load_b32 v12, v12
	s_wait_dscnt 0x0
	v_add_nc_u32_e32 v11, v12, v11
	s_or_b32 exec_lo, exec_lo, s41
	s_and_saveexec_b32 s41, s12
	s_cbranch_execnz .LBB55_61
.LBB55_77:                              ;   in Loop: Header=BB55_48 Depth=1
	s_or_b32 exec_lo, exec_lo, s41
	s_and_saveexec_b32 s41, s13
	s_cbranch_execz .LBB55_62
.LBB55_78:                              ;   in Loop: Header=BB55_48 Depth=1
	v_mov_b32_e32 v12, s39
	ds_load_b32 v12, v12
	s_wait_dscnt 0x0
	v_add_nc_u32_e32 v11, v12, v11
	s_or_b32 exec_lo, exec_lo, s41
	s_and_saveexec_b32 s41, s14
	s_cbranch_execnz .LBB55_63
.LBB55_79:                              ;   in Loop: Header=BB55_48 Depth=1
	s_or_b32 exec_lo, exec_lo, s41
	s_and_saveexec_b32 s41, s15
	s_cbranch_execz .LBB55_64
.LBB55_80:                              ;   in Loop: Header=BB55_48 Depth=1
	s_delay_alu instid0(VALU_DEP_1) | instskip(SKIP_1) | instid1(VALU_DEP_2)
	v_add3_u32 v12, v3, -1, v11
	v_add_lshl_u32 v13, v3, v11, 3
	v_lshl_add_u32 v12, v12, 2, 0
	s_delay_alu instid0(VALU_DEP_2)
	v_add3_u32 v13, 0, v13, 0xfff8
	ds_store_b32 v12, v10
	ds_store_2addr_b32 v13, v4, v5 offset1:1
	s_or_b32 exec_lo, exec_lo, s41
	s_and_saveexec_b32 s15, vcc_lo
	s_cbranch_execz .LBB55_47
.LBB55_81:                              ;   in Loop: Header=BB55_48 Depth=1
	v_mov_b32_e32 v4, s36
	ds_store_b32 v4, v11
	s_branch .LBB55_47
.LBB55_82:
	s_or_b32 exec_lo, exec_lo, s16
	s_wait_kmcnt 0x0
	s_ashr_i32 s21, s20, 31
	s_delay_alu instid0(SALU_CYCLE_1) | instskip(NEXT) | instid1(SALU_CYCLE_1)
	s_lshl_b64 s[0:1], s[20:21], 2
	s_add_nc_u64 s[2:3], s[26:27], s[0:1]
	s_load_b64 s[0:1], s[2:3], 0x0
	s_wait_kmcnt 0x0
	s_sub_co_i32 s4, s1, s0
	s_mov_b32 s1, exec_lo
	v_cmpx_gt_i32_e64 s4, v0
	s_cbranch_execz .LBB55_96
; %bb.83:
	v_sub_co_u32 v1, s1, s4, 2
	s_sub_co_i32 s2, s0, s18
	s_xor_b32 s6, s1, -1
	s_and_b32 s5, s4, -2
	v_readfirstlane_b32 s3, v1
	s_lshr_b32 s0, s3, 1
	s_mov_b32 s3, 0
	s_add_co_i32 s0, s0, 1
	s_mov_b32 s11, s3
	s_and_b32 s1, s0, 7
	s_and_b32 s7, s0, -8
	s_cmp_lg_u32 s1, 0
	v_cmp_lt_u32_e64 s0, 13, v1
	s_cselect_b32 s8, -1, 0
	s_cmp_lg_u32 s4, s5
	s_cselect_b32 s9, -1, 0
	s_lshl_b32 s10, s1, 3
	s_branch .LBB55_85
.LBB55_84:                              ;   in Loop: Header=BB55_85 Depth=1
	v_add_nc_u32_e32 v0, 0x400, v0
	s_wait_dscnt 0x0
	global_store_b64 v4, v[2:3], s[24:25] scale_offset
	v_cmp_le_i32_e32 vcc_lo, s4, v0
	s_or_b32 s11, vcc_lo, s11
	s_wait_xcnt 0x0
	s_and_not1_b32 exec_lo, exec_lo, s11
	s_cbranch_execz .LBB55_96
.LBB55_85:                              ; =>This Loop Header: Depth=1
                                        ;     Child Loop BB55_88 Depth 2
                                        ;     Child Loop BB55_91 Depth 2
	;; [unrolled: 1-line block ×3, first 2 shown]
	v_dual_mov_b32 v4, s2 :: v_dual_lshlrev_b32 v1, 3, v0
	v_lshl_add_u32 v2, v0, 2, 0
	s_and_not1_b32 vcc_lo, exec_lo, s6
	s_mov_b32 s1, 0
	s_delay_alu instid0(VALU_DEP_2)
	v_add3_u32 v3, 0, v1, 0x10000
	s_mov_b32 s12, -1
	ds_load_b32 v1, v2
	ds_load_2addr_b32 v[2:3], v3 offset1:1
	s_cbranch_vccnz .LBB55_93
; %bb.86:                               ;   in Loop: Header=BB55_85 Depth=1
	v_mov_b64_e32 v[4:5], s[2:3]
	s_and_not1_b32 vcc_lo, exec_lo, s0
	s_mov_b32 s12, 0
	s_cbranch_vccnz .LBB55_89
; %bb.87:                               ;   in Loop: Header=BB55_85 Depth=1
	v_dual_mov_b32 v4, s2 :: v_dual_mov_b32 v5, 0
	s_mov_b32 s13, 0
	s_mov_b32 s14, s7
.LBB55_88:                              ;   Parent Loop BB55_85 Depth=1
                                        ; =>  This Inner Loop Header: Depth=2
	v_mov_b32_e32 v20, s13
	s_add_co_i32 s14, s14, -8
	s_add_co_i32 s12, s12, 16
	s_add_co_i32 s13, s13, 64
	s_cmp_lg_u32 s14, 0
	ds_load_2addr_b32 v[6:7], v20 offset1:1
	ds_load_2addr_b32 v[8:9], v20 offset0:2 offset1:3
	ds_load_2addr_b32 v[10:11], v20 offset0:4 offset1:5
	;; [unrolled: 1-line block ×7, first 2 shown]
	s_wait_dscnt 0x7
	v_cmp_gt_i32_e32 vcc_lo, v1, v7
	s_wait_dscnt 0x5
	v_cmp_gt_i32_e64 s1, v1, v10
	v_cndmask_b32_e64 v7, 0, 1, vcc_lo
	v_cmp_gt_i32_e32 vcc_lo, v1, v6
	v_cndmask_b32_e64 v6, 0, 1, vcc_lo
	v_cmp_gt_i32_e32 vcc_lo, v1, v8
	v_cndmask_b32_e64 v8, 0, 1, s1
	v_cmp_gt_i32_e64 s1, v1, v11
	s_delay_alu instid0(VALU_DEP_4) | instskip(NEXT) | instid1(VALU_DEP_2)
	v_add_co_ci_u32_e64 v4, null, v4, v6, vcc_lo
	v_cndmask_b32_e64 v10, 0, 1, s1
	s_wait_dscnt 0x4
	v_cmp_gt_i32_e64 s1, v1, v13
	s_wait_dscnt 0x2
	v_cmp_gt_i32_e32 vcc_lo, v1, v16
	s_delay_alu instid0(VALU_DEP_2) | instskip(SKIP_4) | instid1(VALU_DEP_3)
	v_cndmask_b32_e64 v11, 0, 1, s1
	v_cmp_gt_i32_e64 s1, v1, v12
	v_add_co_ci_u32_e64 v4, null, v4, v8, vcc_lo
	s_wait_dscnt 0x1
	v_cmp_gt_i32_e32 vcc_lo, v1, v18
	v_cndmask_b32_e64 v12, 0, 1, s1
	v_cmp_gt_i32_e64 s1, v1, v14
	s_delay_alu instid0(VALU_DEP_2) | instskip(NEXT) | instid1(VALU_DEP_2)
	v_add_co_ci_u32_e64 v4, null, v4, v12, vcc_lo
	v_cndmask_b32_e64 v13, 0, 1, s1
	v_cmp_gt_i32_e64 s1, v1, v15
	s_wait_dscnt 0x0
	v_cmp_gt_i32_e32 vcc_lo, v1, v20
	s_delay_alu instid0(VALU_DEP_2) | instskip(SKIP_2) | instid1(VALU_DEP_2)
	v_cndmask_b32_e64 v14, 0, 1, s1
	v_cmp_gt_i32_e64 s1, v1, v9
	v_add_co_ci_u32_e64 v4, null, v4, v13, vcc_lo
	v_add_co_ci_u32_e64 v5, null, v5, v7, s1
	v_cmp_gt_i32_e64 s1, v1, v17
	s_delay_alu instid0(VALU_DEP_1) | instskip(SKIP_1) | instid1(VALU_DEP_1)
	v_add_co_ci_u32_e64 v5, null, v5, v10, s1
	v_cmp_gt_i32_e64 s1, v1, v19
	v_add_co_ci_u32_e64 v5, null, v5, v11, s1
	v_cmp_gt_i32_e64 s1, v1, v21
	s_delay_alu instid0(VALU_DEP_1)
	v_add_co_ci_u32_e64 v5, null, v5, v14, s1
	s_cbranch_scc1 .LBB55_88
.LBB55_89:                              ;   in Loop: Header=BB55_85 Depth=1
	s_and_not1_b32 vcc_lo, exec_lo, s8
	s_cbranch_vccnz .LBB55_92
; %bb.90:                               ;   in Loop: Header=BB55_85 Depth=1
	s_lshl_b32 s1, s12, 2
	s_mov_b32 s12, s10
	s_add_co_i32 s1, s1, 0
.LBB55_91:                              ;   Parent Loop BB55_85 Depth=1
                                        ; =>  This Inner Loop Header: Depth=2
	s_delay_alu instid0(SALU_CYCLE_1)
	v_mov_b32_e32 v6, s1
	s_add_co_i32 s12, s12, -8
	s_add_co_i32 s1, s1, 8
	s_cmp_lg_u32 s12, 0
	ds_load_2addr_b32 v[6:7], v6 offset1:1
	s_wait_dscnt 0x0
	v_cmp_gt_i32_e32 vcc_lo, v1, v7
	v_add_co_ci_u32_e64 v5, null, 0, v5, vcc_lo
	v_cmp_gt_i32_e32 vcc_lo, v1, v6
	v_add_co_ci_u32_e64 v4, null, 0, v4, vcc_lo
	s_cbranch_scc1 .LBB55_91
.LBB55_92:                              ;   in Loop: Header=BB55_85 Depth=1
	s_delay_alu instid0(VALU_DEP_1)
	v_add_nc_u32_e32 v4, v4, v5
	s_mov_b32 s1, s5
	s_mov_b32 s12, s9
.LBB55_93:                              ;   in Loop: Header=BB55_85 Depth=1
	s_delay_alu instid0(SALU_CYCLE_1)
	s_and_b32 vcc_lo, exec_lo, s12
	s_cbranch_vccz .LBB55_84
; %bb.94:                               ;   in Loop: Header=BB55_85 Depth=1
	s_lshl_b32 s12, s1, 2
	s_delay_alu instid0(SALU_CYCLE_1)
	s_add_co_i32 s12, s12, 0
.LBB55_95:                              ;   Parent Loop BB55_85 Depth=1
                                        ; =>  This Inner Loop Header: Depth=2
	s_delay_alu instid0(SALU_CYCLE_1)
	v_mov_b32_e32 v5, s12
	s_add_co_i32 s1, s1, 1
	s_add_co_i32 s12, s12, 4
	s_cmp_ge_i32 s1, s4
	ds_load_b32 v5, v5
	s_wait_dscnt 0x0
	v_cmp_gt_i32_e32 vcc_lo, v1, v5
	v_add_co_ci_u32_e64 v4, null, 0, v4, vcc_lo
	s_cbranch_scc0 .LBB55_95
	s_branch .LBB55_84
.LBB55_96:
	s_endpgm
	.section	.rodata,"a",@progbits
	.p2align	6, 0x0
	.amdhsa_kernel _ZN9rocsparseL41csrgemm_numeric_fill_block_per_row_kernelILj1024ELj64ELj16384ELj137ELj64Eii21rocsparse_complex_numIfEEEvT5_PKS3_S5_NS_24const_host_device_scalarIT6_EEPKT4_S5_PKS7_SB_S5_SD_S8_SB_S5_SD_SB_S5_PS7_21rocsparse_index_base_SF_SF_SF_bbb
		.amdhsa_group_segment_fixed_size 0
		.amdhsa_private_segment_fixed_size 0
		.amdhsa_kernarg_size 156
		.amdhsa_user_sgpr_count 2
		.amdhsa_user_sgpr_dispatch_ptr 0
		.amdhsa_user_sgpr_queue_ptr 0
		.amdhsa_user_sgpr_kernarg_segment_ptr 1
		.amdhsa_user_sgpr_dispatch_id 0
		.amdhsa_user_sgpr_kernarg_preload_length 0
		.amdhsa_user_sgpr_kernarg_preload_offset 0
		.amdhsa_user_sgpr_private_segment_size 0
		.amdhsa_wavefront_size32 1
		.amdhsa_uses_dynamic_stack 0
		.amdhsa_enable_private_segment 0
		.amdhsa_system_sgpr_workgroup_id_x 1
		.amdhsa_system_sgpr_workgroup_id_y 0
		.amdhsa_system_sgpr_workgroup_id_z 0
		.amdhsa_system_sgpr_workgroup_info 0
		.amdhsa_system_vgpr_workitem_id 0
		.amdhsa_next_free_vgpr 22
		.amdhsa_next_free_sgpr 42
		.amdhsa_named_barrier_count 0
		.amdhsa_reserve_vcc 1
		.amdhsa_float_round_mode_32 0
		.amdhsa_float_round_mode_16_64 0
		.amdhsa_float_denorm_mode_32 3
		.amdhsa_float_denorm_mode_16_64 3
		.amdhsa_fp16_overflow 0
		.amdhsa_memory_ordered 1
		.amdhsa_forward_progress 1
		.amdhsa_inst_pref_size 30
		.amdhsa_round_robin_scheduling 0
		.amdhsa_exception_fp_ieee_invalid_op 0
		.amdhsa_exception_fp_denorm_src 0
		.amdhsa_exception_fp_ieee_div_zero 0
		.amdhsa_exception_fp_ieee_overflow 0
		.amdhsa_exception_fp_ieee_underflow 0
		.amdhsa_exception_fp_ieee_inexact 0
		.amdhsa_exception_int_div_zero 0
	.end_amdhsa_kernel
	.section	.text._ZN9rocsparseL41csrgemm_numeric_fill_block_per_row_kernelILj1024ELj64ELj16384ELj137ELj64Eii21rocsparse_complex_numIfEEEvT5_PKS3_S5_NS_24const_host_device_scalarIT6_EEPKT4_S5_PKS7_SB_S5_SD_S8_SB_S5_SD_SB_S5_PS7_21rocsparse_index_base_SF_SF_SF_bbb,"axG",@progbits,_ZN9rocsparseL41csrgemm_numeric_fill_block_per_row_kernelILj1024ELj64ELj16384ELj137ELj64Eii21rocsparse_complex_numIfEEEvT5_PKS3_S5_NS_24const_host_device_scalarIT6_EEPKT4_S5_PKS7_SB_S5_SD_S8_SB_S5_SD_SB_S5_PS7_21rocsparse_index_base_SF_SF_SF_bbb,comdat
.Lfunc_end55:
	.size	_ZN9rocsparseL41csrgemm_numeric_fill_block_per_row_kernelILj1024ELj64ELj16384ELj137ELj64Eii21rocsparse_complex_numIfEEEvT5_PKS3_S5_NS_24const_host_device_scalarIT6_EEPKT4_S5_PKS7_SB_S5_SD_S8_SB_S5_SD_SB_S5_PS7_21rocsparse_index_base_SF_SF_SF_bbb, .Lfunc_end55-_ZN9rocsparseL41csrgemm_numeric_fill_block_per_row_kernelILj1024ELj64ELj16384ELj137ELj64Eii21rocsparse_complex_numIfEEEvT5_PKS3_S5_NS_24const_host_device_scalarIT6_EEPKT4_S5_PKS7_SB_S5_SD_S8_SB_S5_SD_SB_S5_PS7_21rocsparse_index_base_SF_SF_SF_bbb
                                        ; -- End function
	.set _ZN9rocsparseL41csrgemm_numeric_fill_block_per_row_kernelILj1024ELj64ELj16384ELj137ELj64Eii21rocsparse_complex_numIfEEEvT5_PKS3_S5_NS_24const_host_device_scalarIT6_EEPKT4_S5_PKS7_SB_S5_SD_S8_SB_S5_SD_SB_S5_PS7_21rocsparse_index_base_SF_SF_SF_bbb.num_vgpr, 22
	.set _ZN9rocsparseL41csrgemm_numeric_fill_block_per_row_kernelILj1024ELj64ELj16384ELj137ELj64Eii21rocsparse_complex_numIfEEEvT5_PKS3_S5_NS_24const_host_device_scalarIT6_EEPKT4_S5_PKS7_SB_S5_SD_S8_SB_S5_SD_SB_S5_PS7_21rocsparse_index_base_SF_SF_SF_bbb.num_agpr, 0
	.set _ZN9rocsparseL41csrgemm_numeric_fill_block_per_row_kernelILj1024ELj64ELj16384ELj137ELj64Eii21rocsparse_complex_numIfEEEvT5_PKS3_S5_NS_24const_host_device_scalarIT6_EEPKT4_S5_PKS7_SB_S5_SD_S8_SB_S5_SD_SB_S5_PS7_21rocsparse_index_base_SF_SF_SF_bbb.numbered_sgpr, 42
	.set _ZN9rocsparseL41csrgemm_numeric_fill_block_per_row_kernelILj1024ELj64ELj16384ELj137ELj64Eii21rocsparse_complex_numIfEEEvT5_PKS3_S5_NS_24const_host_device_scalarIT6_EEPKT4_S5_PKS7_SB_S5_SD_S8_SB_S5_SD_SB_S5_PS7_21rocsparse_index_base_SF_SF_SF_bbb.num_named_barrier, 0
	.set _ZN9rocsparseL41csrgemm_numeric_fill_block_per_row_kernelILj1024ELj64ELj16384ELj137ELj64Eii21rocsparse_complex_numIfEEEvT5_PKS3_S5_NS_24const_host_device_scalarIT6_EEPKT4_S5_PKS7_SB_S5_SD_S8_SB_S5_SD_SB_S5_PS7_21rocsparse_index_base_SF_SF_SF_bbb.private_seg_size, 0
	.set _ZN9rocsparseL41csrgemm_numeric_fill_block_per_row_kernelILj1024ELj64ELj16384ELj137ELj64Eii21rocsparse_complex_numIfEEEvT5_PKS3_S5_NS_24const_host_device_scalarIT6_EEPKT4_S5_PKS7_SB_S5_SD_S8_SB_S5_SD_SB_S5_PS7_21rocsparse_index_base_SF_SF_SF_bbb.uses_vcc, 1
	.set _ZN9rocsparseL41csrgemm_numeric_fill_block_per_row_kernelILj1024ELj64ELj16384ELj137ELj64Eii21rocsparse_complex_numIfEEEvT5_PKS3_S5_NS_24const_host_device_scalarIT6_EEPKT4_S5_PKS7_SB_S5_SD_S8_SB_S5_SD_SB_S5_PS7_21rocsparse_index_base_SF_SF_SF_bbb.uses_flat_scratch, 0
	.set _ZN9rocsparseL41csrgemm_numeric_fill_block_per_row_kernelILj1024ELj64ELj16384ELj137ELj64Eii21rocsparse_complex_numIfEEEvT5_PKS3_S5_NS_24const_host_device_scalarIT6_EEPKT4_S5_PKS7_SB_S5_SD_S8_SB_S5_SD_SB_S5_PS7_21rocsparse_index_base_SF_SF_SF_bbb.has_dyn_sized_stack, 0
	.set _ZN9rocsparseL41csrgemm_numeric_fill_block_per_row_kernelILj1024ELj64ELj16384ELj137ELj64Eii21rocsparse_complex_numIfEEEvT5_PKS3_S5_NS_24const_host_device_scalarIT6_EEPKT4_S5_PKS7_SB_S5_SD_S8_SB_S5_SD_SB_S5_PS7_21rocsparse_index_base_SF_SF_SF_bbb.has_recursion, 0
	.set _ZN9rocsparseL41csrgemm_numeric_fill_block_per_row_kernelILj1024ELj64ELj16384ELj137ELj64Eii21rocsparse_complex_numIfEEEvT5_PKS3_S5_NS_24const_host_device_scalarIT6_EEPKT4_S5_PKS7_SB_S5_SD_S8_SB_S5_SD_SB_S5_PS7_21rocsparse_index_base_SF_SF_SF_bbb.has_indirect_call, 0
	.section	.AMDGPU.csdata,"",@progbits
; Kernel info:
; codeLenInByte = 3828
; TotalNumSgprs: 44
; NumVgprs: 22
; ScratchSize: 0
; MemoryBound: 0
; FloatMode: 240
; IeeeMode: 1
; LDSByteSize: 0 bytes/workgroup (compile time only)
; SGPRBlocks: 0
; VGPRBlocks: 1
; NumSGPRsForWavesPerEU: 44
; NumVGPRsForWavesPerEU: 22
; NamedBarCnt: 0
; Occupancy: 16
; WaveLimiterHint : 1
; COMPUTE_PGM_RSRC2:SCRATCH_EN: 0
; COMPUTE_PGM_RSRC2:USER_SGPR: 2
; COMPUTE_PGM_RSRC2:TRAP_HANDLER: 0
; COMPUTE_PGM_RSRC2:TGID_X_EN: 1
; COMPUTE_PGM_RSRC2:TGID_Y_EN: 0
; COMPUTE_PGM_RSRC2:TGID_Z_EN: 0
; COMPUTE_PGM_RSRC2:TIDIG_COMP_CNT: 0
	.section	.text._ZN9rocsparseL41csrgemm_numeric_fill_block_per_row_kernelILj1024ELj64ELj32768ELj137ELj32Eii21rocsparse_complex_numIfEEEvT5_PKS3_S5_NS_24const_host_device_scalarIT6_EEPKT4_S5_PKS7_SB_S5_SD_S8_SB_S5_SD_SB_S5_PS7_21rocsparse_index_base_SF_SF_SF_bbb,"axG",@progbits,_ZN9rocsparseL41csrgemm_numeric_fill_block_per_row_kernelILj1024ELj64ELj32768ELj137ELj32Eii21rocsparse_complex_numIfEEEvT5_PKS3_S5_NS_24const_host_device_scalarIT6_EEPKT4_S5_PKS7_SB_S5_SD_S8_SB_S5_SD_SB_S5_PS7_21rocsparse_index_base_SF_SF_SF_bbb,comdat
	.globl	_ZN9rocsparseL41csrgemm_numeric_fill_block_per_row_kernelILj1024ELj64ELj32768ELj137ELj32Eii21rocsparse_complex_numIfEEEvT5_PKS3_S5_NS_24const_host_device_scalarIT6_EEPKT4_S5_PKS7_SB_S5_SD_S8_SB_S5_SD_SB_S5_PS7_21rocsparse_index_base_SF_SF_SF_bbb ; -- Begin function _ZN9rocsparseL41csrgemm_numeric_fill_block_per_row_kernelILj1024ELj64ELj32768ELj137ELj32Eii21rocsparse_complex_numIfEEEvT5_PKS3_S5_NS_24const_host_device_scalarIT6_EEPKT4_S5_PKS7_SB_S5_SD_S8_SB_S5_SD_SB_S5_PS7_21rocsparse_index_base_SF_SF_SF_bbb
	.p2align	8
	.type	_ZN9rocsparseL41csrgemm_numeric_fill_block_per_row_kernelILj1024ELj64ELj32768ELj137ELj32Eii21rocsparse_complex_numIfEEEvT5_PKS3_S5_NS_24const_host_device_scalarIT6_EEPKT4_S5_PKS7_SB_S5_SD_S8_SB_S5_SD_SB_S5_PS7_21rocsparse_index_base_SF_SF_SF_bbb,@function
_ZN9rocsparseL41csrgemm_numeric_fill_block_per_row_kernelILj1024ELj64ELj32768ELj137ELj32Eii21rocsparse_complex_numIfEEEvT5_PKS3_S5_NS_24const_host_device_scalarIT6_EEPKT4_S5_PKS7_SB_S5_SD_S8_SB_S5_SD_SB_S5_PS7_21rocsparse_index_base_SF_SF_SF_bbb: ; @_ZN9rocsparseL41csrgemm_numeric_fill_block_per_row_kernelILj1024ELj64ELj32768ELj137ELj32Eii21rocsparse_complex_numIfEEEvT5_PKS3_S5_NS_24const_host_device_scalarIT6_EEPKT4_S5_PKS7_SB_S5_SD_S8_SB_S5_SD_SB_S5_PS7_21rocsparse_index_base_SF_SF_SF_bbb
; %bb.0:
	s_clause 0x7
	s_load_b32 s28, s[0:1], 0x98
	s_load_b128 s[36:39], s[0:1], 0x88
	s_load_b64 s[34:35], s[0:1], 0x80
	s_load_b128 s[4:7], s[0:1], 0x60
	s_load_b128 s[16:19], s[0:1], 0x8
	s_load_b64 s[2:3], s[0:1], 0x28
	s_load_b128 s[8:11], s[0:1], 0x40
	s_load_b64 s[26:27], s[0:1], 0x50
	s_mov_b32 s21, 0
	s_mov_b32 s29, 0
	s_wait_kmcnt 0x0
	s_bitcmp1_b32 s28, 0
	s_cselect_b32 s31, -1, 0
	s_bitcmp1_b32 s28, 16
	s_cselect_b32 s12, -1, 0
	s_delay_alu instid0(SALU_CYCLE_1) | instskip(SKIP_2) | instid1(VALU_DEP_1)
	s_xor_b32 s12, s12, -1
	s_bitcmp0_b32 s28, 0
	v_cndmask_b32_e64 v1, 0, 1, s12
	v_cmp_ne_u32_e32 vcc_lo, 1, v1
	s_cbranch_scc1 .LBB56_5
; %bb.1:
	s_load_b64 s[20:21], s[0:1], 0x18
	s_and_b32 vcc_lo, exec_lo, vcc_lo
	s_wait_kmcnt 0x0
	s_mov_b32 s29, s20
	s_cbranch_vccnz .LBB56_3
; %bb.2:
	s_load_b32 s29, s[20:21], 0x0
.LBB56_3:
	s_and_not1_b32 vcc_lo, exec_lo, s12
	s_cbranch_vccnz .LBB56_5
; %bb.4:
	s_wait_xcnt 0x0
	s_load_b32 s21, s[20:21], 0x4
.LBB56_5:
	s_clause 0x3
	s_load_b64 s[40:41], s[0:1], 0x70
	s_load_b64 s[22:23], s[0:1], 0x58
	;; [unrolled: 1-line block ×3, first 2 shown]
	s_load_b128 s[12:15], s[0:1], 0x30
	s_bitcmp1_b32 s28, 8
	s_wait_xcnt 0x0
	s_mov_b32 s20, 0
	s_cselect_b32 s30, -1, 0
	s_bfe_u32 s28, s28, 0x10008
	s_delay_alu instid0(SALU_CYCLE_1)
	s_cmp_eq_u32 s28, 0
	s_mov_b32 s28, 0
	s_cbranch_scc1 .LBB56_11
; %bb.6:
	v_cmp_ne_u32_e32 vcc_lo, 1, v1
	s_mov_b32 s20, s26
	s_cbranch_vccnz .LBB56_8
; %bb.7:
	s_load_b32 s20, s[26:27], 0x0
.LBB56_8:
	v_cmp_ne_u32_e32 vcc_lo, 1, v1
	s_cbranch_vccnz .LBB56_10
; %bb.9:
	s_wait_xcnt 0x0
	s_load_b32 s27, s[26:27], 0x4
.LBB56_10:
	s_wait_kmcnt 0x0
	s_mov_b32 s28, s27
.LBB56_11:
	s_load_b32 s33, s[0:1], 0x0
	v_lshl_add_u32 v1, v0, 2, 0
	v_lshlrev_b32_e32 v2, 3, v0
	v_or_b32_e32 v7, 0xfffffc00, v0
	s_wait_xcnt 0x0
	s_mov_b32 s0, 0
	v_mov_b32_e32 v3, v1
	v_add3_u32 v6, v2, 0, 0x20000
	v_dual_mov_b32 v2, 0 :: v_dual_mov_b32 v8, v7
	s_wait_kmcnt 0x0
	s_delay_alu instid0(VALU_DEP_2)
	v_dual_mov_b32 v4, v6 :: v_dual_mov_b32 v5, s33
.LBB56_12:                              ; =>This Inner Loop Header: Depth=1
	s_delay_alu instid0(VALU_DEP_2)
	v_add_nc_u32_e32 v8, 0x400, v8
	ds_store_b32 v3, v5
	ds_store_2addr_b32 v4, v2, v2 offset1:1
	v_add_nc_u32_e32 v4, 0x2000, v4
	v_add_nc_u32_e32 v3, 0x1000, v3
	v_cmp_lt_u32_e32 vcc_lo, 0x7bff, v8
	s_or_b32 s0, vcc_lo, s0
	s_delay_alu instid0(SALU_CYCLE_1)
	s_and_not1_b32 exec_lo, exec_lo, s0
	s_cbranch_execnz .LBB56_12
; %bb.13:
	s_or_b32 exec_lo, exec_lo, s0
	s_wait_dscnt 0x0
	s_barrier_signal -1
	s_barrier_wait -1
	s_load_b32 s0, s[16:17], 0x0
	s_bfe_u32 s1, ttmp6, 0x4000c
	s_wait_xcnt 0x0
	s_and_b32 s16, ttmp6, 15
	s_add_co_i32 s1, s1, 1
	s_getreg_b32 s17, hwreg(HW_REG_IB_STS2, 6, 4)
	s_mul_i32 s1, ttmp9, s1
	s_delay_alu instid0(SALU_CYCLE_1)
	s_add_co_i32 s16, s16, s1
	s_cmp_eq_u32 s17, 0
	s_cselect_b32 s1, ttmp9, s16
	s_and_b32 vcc_lo, exec_lo, s31
	s_wait_kmcnt 0x0
	s_add_co_i32 s0, s0, s1
	s_load_b32 s42, s[18:19], s0 offset:0x0 scale_offset
	s_cbranch_vccz .LBB56_31
; %bb.14:
	s_wait_kmcnt 0x0
	s_ashr_i32 s43, s42, 31
	v_lshrrev_b32_e32 v2, 6, v0
	s_lshl_b64 s[0:1], s[42:43], 2
	s_delay_alu instid0(SALU_CYCLE_1) | instskip(NEXT) | instid1(VALU_DEP_1)
	s_add_nc_u64 s[0:1], s[24:25], s[0:1]
	v_subrev_nc_u32_e32 v2, s36, v2
	s_load_b64 s[16:17], s[0:1], 0x0
	s_wait_xcnt 0x0
	s_mov_b32 s1, exec_lo
	s_wait_kmcnt 0x0
	v_add_nc_u32_e32 v2, s16, v2
	s_sub_co_i32 s0, s17, s36
	s_delay_alu instid0(VALU_DEP_1) | instid1(SALU_CYCLE_1)
	v_cmpx_gt_i32_e64 s0, v2
	s_cbranch_execz .LBB56_30
; %bb.15:
	v_and_b32_e32 v3, 63, v0
	s_mov_b32 s16, 0
	s_delay_alu instid0(VALU_DEP_1)
	v_subrev_nc_u32_e32 v8, s37, v3
	s_branch .LBB56_17
.LBB56_16:                              ;   in Loop: Header=BB56_17 Depth=1
	s_or_b32 exec_lo, exec_lo, s17
	v_add_nc_u32_e32 v2, 16, v2
	s_delay_alu instid0(VALU_DEP_1) | instskip(SKIP_1) | instid1(SALU_CYCLE_1)
	v_cmp_le_i32_e32 vcc_lo, s0, v2
	s_or_b32 s16, vcc_lo, s16
	s_and_not1_b32 exec_lo, exec_lo, s16
	s_cbranch_execz .LBB56_30
.LBB56_17:                              ; =>This Loop Header: Depth=1
                                        ;     Child Loop BB56_21 Depth 2
                                        ;       Child Loop BB56_24 Depth 3
	global_load_b32 v3, v2, s[2:3] scale_offset
	s_mov_b32 s17, exec_lo
	s_wait_loadcnt 0x0
	v_subrev_nc_u32_e32 v4, s36, v3
	s_delay_alu instid0(VALU_DEP_1) | instskip(NEXT) | instid1(VALU_DEP_1)
	v_ashrrev_i32_e32 v5, 31, v4
	v_lshl_add_u64 v[4:5], v[4:5], 2, s[14:15]
	global_load_b64 v[4:5], v[4:5], off
	s_wait_loadcnt 0x0
	v_subrev_nc_u32_e32 v9, s37, v5
	v_add_nc_u32_e32 v10, v4, v8
	s_wait_xcnt 0x0
	s_delay_alu instid0(VALU_DEP_1)
	v_cmpx_lt_i32_e64 v10, v9
	s_cbranch_execz .LBB56_16
; %bb.18:                               ;   in Loop: Header=BB56_17 Depth=1
	v_ashrrev_i32_e32 v3, 31, v2
	s_mov_b32 s18, 0
	s_delay_alu instid0(VALU_DEP_1) | instskip(SKIP_3) | instid1(VALU_DEP_1)
	v_lshl_add_u64 v[4:5], v[2:3], 3, s[12:13]
	global_load_b64 v[4:5], v[4:5], off
	s_wait_loadcnt 0x0
	v_mul_f32_e64 v3, v5, -s21
	v_dual_mul_f32 v11, s29, v5 :: v_dual_fmac_f32 v3, s29, v4
	s_delay_alu instid0(VALU_DEP_1)
	v_fmac_f32_e32 v11, s21, v4
	s_branch .LBB56_21
.LBB56_19:                              ;   in Loop: Header=BB56_21 Depth=2
	s_or_b32 exec_lo, exec_lo, s24
.LBB56_20:                              ;   in Loop: Header=BB56_21 Depth=2
	s_delay_alu instid0(SALU_CYCLE_1) | instskip(SKIP_3) | instid1(VALU_DEP_2)
	s_or_b32 exec_lo, exec_lo, s19
	s_wait_loadcnt 0x0
	v_dual_mul_f32 v13, v5, -v11 :: v_dual_lshlrev_b32 v12, 3, v12
	v_dual_mul_f32 v5, v3, v5 :: v_dual_add_nc_u32 v10, 64, v10
	v_fmac_f32_e32 v13, v3, v4
	s_delay_alu instid0(VALU_DEP_3) | instskip(NEXT) | instid1(VALU_DEP_3)
	v_add3_u32 v12, 0, v12, 0x20000
	v_fmac_f32_e32 v5, v11, v4
	ds_add_f32 v12, v13
	ds_add_f32 v12, v5 offset:4
	v_cmp_ge_i32_e32 vcc_lo, v10, v9
	s_or_b32 s18, vcc_lo, s18
	s_delay_alu instid0(SALU_CYCLE_1)
	s_and_not1_b32 exec_lo, exec_lo, s18
	s_cbranch_execz .LBB56_16
.LBB56_21:                              ;   Parent Loop BB56_17 Depth=1
                                        ; =>  This Loop Header: Depth=2
                                        ;       Child Loop BB56_24 Depth 3
	s_clause 0x1
	global_load_b32 v12, v10, s[8:9] scale_offset
	global_load_b64 v[4:5], v10, s[10:11] scale_offset
	s_mov_b32 s19, exec_lo
	s_wait_loadcnt 0x1
	v_subrev_nc_u32_e32 v13, s37, v12
	s_delay_alu instid0(VALU_DEP_1) | instskip(NEXT) | instid1(VALU_DEP_1)
	v_mul_lo_u32 v12, 0x89, v13
	v_and_b32_e32 v12, 0x7fff, v12
	s_delay_alu instid0(VALU_DEP_1)
	v_lshl_add_u32 v14, v12, 2, 0
	ds_load_b32 v15, v14
	s_wait_dscnt 0x0
	s_wait_xcnt 0x0
	v_cmpx_ne_u32_e64 v15, v13
	s_cbranch_execz .LBB56_20
; %bb.22:                               ;   in Loop: Header=BB56_21 Depth=2
	s_mov_b32 s24, 0
	s_branch .LBB56_24
.LBB56_23:                              ;   in Loop: Header=BB56_24 Depth=3
	s_or_b32 exec_lo, exec_lo, s27
	s_delay_alu instid0(SALU_CYCLE_1) | instskip(NEXT) | instid1(SALU_CYCLE_1)
	s_and_b32 s25, exec_lo, s26
	s_or_b32 s24, s25, s24
	s_delay_alu instid0(SALU_CYCLE_1)
	s_and_not1_b32 exec_lo, exec_lo, s24
	s_cbranch_execz .LBB56_19
.LBB56_24:                              ;   Parent Loop BB56_17 Depth=1
                                        ;     Parent Loop BB56_21 Depth=2
                                        ; =>    This Inner Loop Header: Depth=3
	s_mov_b32 s25, 0
	s_mov_b32 s26, exec_lo
	v_cmpx_ne_u32_e64 s33, v15
	s_xor_b32 s26, exec_lo, s26
	s_cbranch_execz .LBB56_26
; %bb.25:                               ;   in Loop: Header=BB56_24 Depth=3
	v_add_nc_u32_e32 v12, 1, v12
	s_mov_b32 s25, exec_lo
                                        ; implicit-def: $vgpr14
	s_delay_alu instid0(VALU_DEP_1)
	v_and_b32_e32 v12, 0x7fff, v12
	s_and_not1_saveexec_b32 s26, s26
	s_cbranch_execz .LBB56_28
	s_branch .LBB56_27
.LBB56_26:                              ;   in Loop: Header=BB56_24 Depth=3
	s_and_not1_saveexec_b32 s26, s26
	s_cbranch_execz .LBB56_28
.LBB56_27:                              ;   in Loop: Header=BB56_24 Depth=3
	v_mov_b32_e32 v15, s33
	s_and_not1_b32 s25, s25, exec_lo
	ds_cmpstore_rtn_b32 v14, v14, v13, v15
	s_wait_dscnt 0x0
	v_cmp_ne_u32_e32 vcc_lo, s33, v14
	s_and_b32 s27, vcc_lo, exec_lo
	s_delay_alu instid0(SALU_CYCLE_1)
	s_or_b32 s25, s25, s27
.LBB56_28:                              ;   in Loop: Header=BB56_24 Depth=3
	s_or_b32 exec_lo, exec_lo, s26
	s_mov_b32 s26, -1
                                        ; implicit-def: $vgpr14
                                        ; implicit-def: $vgpr15
	s_and_saveexec_b32 s27, s25
	s_cbranch_execz .LBB56_23
; %bb.29:                               ;   in Loop: Header=BB56_24 Depth=3
	v_lshl_add_u32 v14, v12, 2, 0
	ds_load_b32 v15, v14
	s_wait_dscnt 0x0
	v_cmp_eq_u32_e32 vcc_lo, v15, v13
	s_or_not1_b32 s26, vcc_lo, exec_lo
	s_branch .LBB56_23
.LBB56_30:
	s_or_b32 exec_lo, exec_lo, s1
.LBB56_31:
	s_delay_alu instid0(SALU_CYCLE_1)
	s_and_not1_b32 vcc_lo, exec_lo, s30
	s_cbranch_vccnz .LBB56_46
; %bb.32:
	s_wait_kmcnt 0x0
	s_ashr_i32 s43, s42, 31
	v_subrev_nc_u32_e32 v2, s39, v0
	s_lshl_b64 s[0:1], s[42:43], 2
	s_delay_alu instid0(SALU_CYCLE_1)
	s_add_nc_u64 s[0:1], s[22:23], s[0:1]
	s_load_b64 s[2:3], s[0:1], 0x0
	s_wait_xcnt 0x0
	s_mov_b32 s1, exec_lo
	s_wait_kmcnt 0x0
	v_add_nc_u32_e32 v4, s2, v2
	s_sub_co_i32 s0, s3, s39
	s_delay_alu instid0(VALU_DEP_1) | instid1(SALU_CYCLE_1)
	v_cmpx_gt_i32_e64 s0, v4
	s_cbranch_execz .LBB56_45
; %bb.33:
	s_mov_b32 s2, 0
	s_branch .LBB56_36
.LBB56_34:                              ;   in Loop: Header=BB56_36 Depth=1
	s_or_b32 exec_lo, exec_lo, s8
.LBB56_35:                              ;   in Loop: Header=BB56_36 Depth=1
	s_delay_alu instid0(SALU_CYCLE_1) | instskip(SKIP_4) | instid1(VALU_DEP_3)
	s_or_b32 exec_lo, exec_lo, s3
	s_wait_loadcnt 0x0
	v_mul_f32_e64 v8, v3, -s28
	v_dual_lshlrev_b32 v5, 3, v5 :: v_dual_mul_f32 v3, s20, v3
	v_add_nc_u32_e32 v4, 0x400, v4
	v_fmac_f32_e32 v8, s20, v2
	s_delay_alu instid0(VALU_DEP_3) | instskip(NEXT) | instid1(VALU_DEP_4)
	v_add3_u32 v5, 0, v5, 0x20000
	v_fmac_f32_e32 v3, s28, v2
	s_delay_alu instid0(VALU_DEP_4) | instskip(SKIP_3) | instid1(SALU_CYCLE_1)
	v_cmp_le_i32_e32 vcc_lo, s0, v4
	ds_add_f32 v5, v8
	ds_add_f32 v5, v3 offset:4
	s_or_b32 s2, vcc_lo, s2
	s_and_not1_b32 exec_lo, exec_lo, s2
	s_cbranch_execz .LBB56_45
.LBB56_36:                              ; =>This Loop Header: Depth=1
                                        ;     Child Loop BB56_39 Depth 2
	s_clause 0x1
	global_load_b32 v5, v4, s[4:5] scale_offset
	global_load_b64 v[2:3], v4, s[6:7] scale_offset
	s_mov_b32 s3, exec_lo
	s_wait_loadcnt 0x1
	v_subrev_nc_u32_e32 v8, s39, v5
	s_delay_alu instid0(VALU_DEP_1) | instskip(NEXT) | instid1(VALU_DEP_1)
	v_mul_lo_u32 v5, 0x89, v8
	v_and_b32_e32 v5, 0x7fff, v5
	s_delay_alu instid0(VALU_DEP_1)
	v_lshl_add_u32 v9, v5, 2, 0
	ds_load_b32 v10, v9
	s_wait_dscnt 0x0
	s_wait_xcnt 0x0
	v_cmpx_ne_u32_e64 v10, v8
	s_cbranch_execz .LBB56_35
; %bb.37:                               ;   in Loop: Header=BB56_36 Depth=1
	s_mov_b32 s8, 0
	s_branch .LBB56_39
.LBB56_38:                              ;   in Loop: Header=BB56_39 Depth=2
	s_or_b32 exec_lo, exec_lo, s11
	s_delay_alu instid0(SALU_CYCLE_1) | instskip(NEXT) | instid1(SALU_CYCLE_1)
	s_and_b32 s9, exec_lo, s10
	s_or_b32 s8, s9, s8
	s_delay_alu instid0(SALU_CYCLE_1)
	s_and_not1_b32 exec_lo, exec_lo, s8
	s_cbranch_execz .LBB56_34
.LBB56_39:                              ;   Parent Loop BB56_36 Depth=1
                                        ; =>  This Inner Loop Header: Depth=2
	s_mov_b32 s9, 0
	s_mov_b32 s10, exec_lo
	v_cmpx_ne_u32_e64 s33, v10
	s_xor_b32 s10, exec_lo, s10
	s_cbranch_execz .LBB56_41
; %bb.40:                               ;   in Loop: Header=BB56_39 Depth=2
	v_add_nc_u32_e32 v5, 1, v5
	s_mov_b32 s9, exec_lo
                                        ; implicit-def: $vgpr9
	s_delay_alu instid0(VALU_DEP_1)
	v_and_b32_e32 v5, 0x7fff, v5
	s_and_not1_saveexec_b32 s10, s10
	s_cbranch_execz .LBB56_43
	s_branch .LBB56_42
.LBB56_41:                              ;   in Loop: Header=BB56_39 Depth=2
	s_and_not1_saveexec_b32 s10, s10
	s_cbranch_execz .LBB56_43
.LBB56_42:                              ;   in Loop: Header=BB56_39 Depth=2
	v_mov_b32_e32 v10, s33
	s_and_not1_b32 s9, s9, exec_lo
	ds_cmpstore_rtn_b32 v9, v9, v8, v10
	s_wait_dscnt 0x0
	v_cmp_ne_u32_e32 vcc_lo, s33, v9
	s_and_b32 s11, vcc_lo, exec_lo
	s_delay_alu instid0(SALU_CYCLE_1)
	s_or_b32 s9, s9, s11
.LBB56_43:                              ;   in Loop: Header=BB56_39 Depth=2
	s_or_b32 exec_lo, exec_lo, s10
	s_mov_b32 s10, -1
                                        ; implicit-def: $vgpr9
                                        ; implicit-def: $vgpr10
	s_and_saveexec_b32 s11, s9
	s_cbranch_execz .LBB56_38
; %bb.44:                               ;   in Loop: Header=BB56_39 Depth=2
	v_lshl_add_u32 v9, v5, 2, 0
	ds_load_b32 v10, v9
	s_wait_dscnt 0x0
	v_cmp_eq_u32_e32 vcc_lo, v10, v8
	s_or_not1_b32 s10, vcc_lo, exec_lo
	s_branch .LBB56_38
.LBB56_45:
	s_or_b32 exec_lo, exec_lo, s1
.LBB56_46:
	v_mbcnt_lo_u32_b32 v2, -1, 0
	v_lshrrev_b32_e32 v3, 3, v0
	s_wait_xcnt 0x0
	v_cmp_lt_u32_e64 s0, 31, v0
	v_cmp_lt_u32_e64 s1, 63, v0
	;; [unrolled: 1-line block ×3, first 2 shown]
	v_xor_b32_e32 v2, 31, v2
	v_and_b32_e32 v4, 0x7c, v3
	v_mov_b32_e32 v3, 0
	v_cmp_lt_u32_e64 s3, 0x7f, v0
	v_cmp_lt_u32_e64 s4, 0x9f, v0
	v_lshrrev_b32_e64 v2, v2, -1
	v_add3_u32 v8, 0x60000, 0, v4
	v_cmp_lt_u32_e64 s5, 0xbf, v0
	v_cmp_lt_u32_e64 s6, 0xdf, v0
	;; [unrolled: 1-line block ×26, first 2 shown]
	s_mov_b32 s36, 0
	s_add_co_i32 s37, 0, 0x60000
	s_add_co_i32 s39, 0, 0x60004
	;; [unrolled: 1-line block ×32, first 2 shown]
	s_wait_dscnt 0x0
	s_barrier_signal -1
	s_barrier_wait -1
	v_cmp_eq_u32_e32 vcc_lo, 0x3ff, v0
	s_branch .LBB56_48
.LBB56_47:                              ;   in Loop: Header=BB56_48 Depth=1
	s_or_b32 exec_lo, exec_lo, s31
	v_dual_mov_b32 v4, s72 :: v_dual_add_nc_u32 v7, 0x400, v7
	s_wait_dscnt 0x0
	s_barrier_signal -1
	s_barrier_wait -1
	ds_load_b32 v4, v4
	v_cmp_lt_u32_e64 s31, 0x7bff, v7
	v_add_nc_u32_e32 v6, 0x2000, v6
	v_add_nc_u32_e32 v1, 0x1000, v1
	s_or_b32 s36, s31, s36
	s_wait_dscnt 0x0
	v_add_nc_u32_e32 v3, v4, v3
	s_and_not1_b32 exec_lo, exec_lo, s36
	s_cbranch_execz .LBB56_114
.LBB56_48:                              ; =>This Inner Loop Header: Depth=1
	ds_load_b32 v9, v1
	ds_load_2addr_b32 v[4:5], v6 offset1:1
	s_wait_dscnt 0x0
	s_barrier_signal -1
	s_barrier_wait -1
	v_cmp_gt_i32_e64 s31, s33, v9
	s_bcnt1_i32_b32 s73, s31
	s_delay_alu instid0(SALU_CYCLE_1) | instskip(NEXT) | instid1(VALU_DEP_1)
	v_dual_mov_b32 v11, s73 :: v_dual_bitop2_b32 v10, s31, v2 bitop3:0x40
	v_bcnt_u32_b32 v10, v10, 0
	ds_store_b32 v8, v11
	s_wait_dscnt 0x0
	s_barrier_signal -1
	s_barrier_wait -1
	s_and_saveexec_b32 s73, s0
	s_cbranch_execz .LBB56_81
; %bb.49:                               ;   in Loop: Header=BB56_48 Depth=1
	v_mov_b32_e32 v11, s37
	ds_load_b32 v11, v11
	s_wait_dscnt 0x0
	v_add_nc_u32_e32 v10, v11, v10
	s_or_b32 exec_lo, exec_lo, s73
	s_and_saveexec_b32 s73, s1
	s_cbranch_execnz .LBB56_82
.LBB56_50:                              ;   in Loop: Header=BB56_48 Depth=1
	s_or_b32 exec_lo, exec_lo, s73
	s_and_saveexec_b32 s73, s2
	s_cbranch_execz .LBB56_83
.LBB56_51:                              ;   in Loop: Header=BB56_48 Depth=1
	v_mov_b32_e32 v11, s43
	ds_load_b32 v11, v11
	s_wait_dscnt 0x0
	v_add_nc_u32_e32 v10, v11, v10
	s_or_b32 exec_lo, exec_lo, s73
	s_and_saveexec_b32 s73, s3
	s_cbranch_execnz .LBB56_84
.LBB56_52:                              ;   in Loop: Header=BB56_48 Depth=1
	s_or_b32 exec_lo, exec_lo, s73
	s_and_saveexec_b32 s73, s4
	s_cbranch_execz .LBB56_85
.LBB56_53:                              ;   in Loop: Header=BB56_48 Depth=1
	v_mov_b32_e32 v11, s45
	ds_load_b32 v11, v11
	s_wait_dscnt 0x0
	v_add_nc_u32_e32 v10, v11, v10
	s_or_b32 exec_lo, exec_lo, s73
	s_and_saveexec_b32 s73, s5
	s_cbranch_execnz .LBB56_86
.LBB56_54:                              ;   in Loop: Header=BB56_48 Depth=1
	s_or_b32 exec_lo, exec_lo, s73
	s_and_saveexec_b32 s73, s6
	s_cbranch_execz .LBB56_87
.LBB56_55:                              ;   in Loop: Header=BB56_48 Depth=1
	v_mov_b32_e32 v11, s47
	ds_load_b32 v11, v11
	s_wait_dscnt 0x0
	v_add_nc_u32_e32 v10, v11, v10
	s_or_b32 exec_lo, exec_lo, s73
	s_and_saveexec_b32 s73, s7
	s_cbranch_execnz .LBB56_88
.LBB56_56:                              ;   in Loop: Header=BB56_48 Depth=1
	s_or_b32 exec_lo, exec_lo, s73
	s_and_saveexec_b32 s73, s8
	s_cbranch_execz .LBB56_89
.LBB56_57:                              ;   in Loop: Header=BB56_48 Depth=1
	v_mov_b32_e32 v11, s49
	ds_load_b32 v11, v11
	s_wait_dscnt 0x0
	v_add_nc_u32_e32 v10, v11, v10
	s_or_b32 exec_lo, exec_lo, s73
	s_and_saveexec_b32 s73, s9
	s_cbranch_execnz .LBB56_90
.LBB56_58:                              ;   in Loop: Header=BB56_48 Depth=1
	s_or_b32 exec_lo, exec_lo, s73
	s_and_saveexec_b32 s73, s10
	s_cbranch_execz .LBB56_91
.LBB56_59:                              ;   in Loop: Header=BB56_48 Depth=1
	v_mov_b32_e32 v11, s51
	ds_load_b32 v11, v11
	s_wait_dscnt 0x0
	v_add_nc_u32_e32 v10, v11, v10
	s_or_b32 exec_lo, exec_lo, s73
	s_and_saveexec_b32 s73, s11
	s_cbranch_execnz .LBB56_92
.LBB56_60:                              ;   in Loop: Header=BB56_48 Depth=1
	s_or_b32 exec_lo, exec_lo, s73
	s_and_saveexec_b32 s73, s12
	s_cbranch_execz .LBB56_93
.LBB56_61:                              ;   in Loop: Header=BB56_48 Depth=1
	v_mov_b32_e32 v11, s53
	ds_load_b32 v11, v11
	s_wait_dscnt 0x0
	v_add_nc_u32_e32 v10, v11, v10
	s_or_b32 exec_lo, exec_lo, s73
	s_and_saveexec_b32 s73, s13
	s_cbranch_execnz .LBB56_94
.LBB56_62:                              ;   in Loop: Header=BB56_48 Depth=1
	s_or_b32 exec_lo, exec_lo, s73
	s_and_saveexec_b32 s73, s14
	s_cbranch_execz .LBB56_95
.LBB56_63:                              ;   in Loop: Header=BB56_48 Depth=1
	v_mov_b32_e32 v11, s55
	ds_load_b32 v11, v11
	s_wait_dscnt 0x0
	v_add_nc_u32_e32 v10, v11, v10
	s_or_b32 exec_lo, exec_lo, s73
	s_and_saveexec_b32 s73, s15
	s_cbranch_execnz .LBB56_96
.LBB56_64:                              ;   in Loop: Header=BB56_48 Depth=1
	s_or_b32 exec_lo, exec_lo, s73
	s_and_saveexec_b32 s73, s16
	s_cbranch_execz .LBB56_97
.LBB56_65:                              ;   in Loop: Header=BB56_48 Depth=1
	v_mov_b32_e32 v11, s57
	ds_load_b32 v11, v11
	s_wait_dscnt 0x0
	v_add_nc_u32_e32 v10, v11, v10
	s_or_b32 exec_lo, exec_lo, s73
	s_and_saveexec_b32 s73, s17
	s_cbranch_execnz .LBB56_98
.LBB56_66:                              ;   in Loop: Header=BB56_48 Depth=1
	s_or_b32 exec_lo, exec_lo, s73
	s_and_saveexec_b32 s73, s18
	s_cbranch_execz .LBB56_99
.LBB56_67:                              ;   in Loop: Header=BB56_48 Depth=1
	v_mov_b32_e32 v11, s59
	ds_load_b32 v11, v11
	s_wait_dscnt 0x0
	v_add_nc_u32_e32 v10, v11, v10
	s_or_b32 exec_lo, exec_lo, s73
	s_and_saveexec_b32 s73, s19
	s_cbranch_execnz .LBB56_100
.LBB56_68:                              ;   in Loop: Header=BB56_48 Depth=1
	s_or_b32 exec_lo, exec_lo, s73
	s_and_saveexec_b32 s73, s20
	s_cbranch_execz .LBB56_101
.LBB56_69:                              ;   in Loop: Header=BB56_48 Depth=1
	v_mov_b32_e32 v11, s61
	ds_load_b32 v11, v11
	s_wait_dscnt 0x0
	v_add_nc_u32_e32 v10, v11, v10
	s_or_b32 exec_lo, exec_lo, s73
	s_and_saveexec_b32 s73, s21
	s_cbranch_execnz .LBB56_102
.LBB56_70:                              ;   in Loop: Header=BB56_48 Depth=1
	s_or_b32 exec_lo, exec_lo, s73
	s_and_saveexec_b32 s73, s22
	s_cbranch_execz .LBB56_103
.LBB56_71:                              ;   in Loop: Header=BB56_48 Depth=1
	v_mov_b32_e32 v11, s63
	ds_load_b32 v11, v11
	s_wait_dscnt 0x0
	v_add_nc_u32_e32 v10, v11, v10
	s_or_b32 exec_lo, exec_lo, s73
	s_and_saveexec_b32 s73, s23
	s_cbranch_execnz .LBB56_104
.LBB56_72:                              ;   in Loop: Header=BB56_48 Depth=1
	s_or_b32 exec_lo, exec_lo, s73
	s_and_saveexec_b32 s73, s24
	s_cbranch_execz .LBB56_105
.LBB56_73:                              ;   in Loop: Header=BB56_48 Depth=1
	v_mov_b32_e32 v11, s65
	ds_load_b32 v11, v11
	s_wait_dscnt 0x0
	v_add_nc_u32_e32 v10, v11, v10
	s_or_b32 exec_lo, exec_lo, s73
	s_and_saveexec_b32 s73, s25
	s_cbranch_execnz .LBB56_106
.LBB56_74:                              ;   in Loop: Header=BB56_48 Depth=1
	s_or_b32 exec_lo, exec_lo, s73
	s_and_saveexec_b32 s73, s26
	s_cbranch_execz .LBB56_107
.LBB56_75:                              ;   in Loop: Header=BB56_48 Depth=1
	v_mov_b32_e32 v11, s67
	ds_load_b32 v11, v11
	s_wait_dscnt 0x0
	v_add_nc_u32_e32 v10, v11, v10
	s_or_b32 exec_lo, exec_lo, s73
	s_and_saveexec_b32 s73, s27
	s_cbranch_execnz .LBB56_108
.LBB56_76:                              ;   in Loop: Header=BB56_48 Depth=1
	s_or_b32 exec_lo, exec_lo, s73
	s_and_saveexec_b32 s73, s28
	s_cbranch_execz .LBB56_109
.LBB56_77:                              ;   in Loop: Header=BB56_48 Depth=1
	v_mov_b32_e32 v11, s69
	ds_load_b32 v11, v11
	s_wait_dscnt 0x0
	v_add_nc_u32_e32 v10, v11, v10
	s_or_b32 exec_lo, exec_lo, s73
	s_and_saveexec_b32 s73, s29
	s_cbranch_execnz .LBB56_110
.LBB56_78:                              ;   in Loop: Header=BB56_48 Depth=1
	s_or_b32 exec_lo, exec_lo, s73
	s_and_saveexec_b32 s73, s30
	s_cbranch_execz .LBB56_111
.LBB56_79:                              ;   in Loop: Header=BB56_48 Depth=1
	v_mov_b32_e32 v11, s71
	ds_load_b32 v11, v11
	s_wait_dscnt 0x0
	v_add_nc_u32_e32 v10, v11, v10
	s_or_b32 exec_lo, exec_lo, s73
	s_and_saveexec_b32 s73, s31
	s_cbranch_execnz .LBB56_112
.LBB56_80:                              ;   in Loop: Header=BB56_48 Depth=1
	s_or_b32 exec_lo, exec_lo, s73
	s_and_saveexec_b32 s31, vcc_lo
	s_cbranch_execz .LBB56_47
	s_branch .LBB56_113
.LBB56_81:                              ;   in Loop: Header=BB56_48 Depth=1
	s_or_b32 exec_lo, exec_lo, s73
	s_and_saveexec_b32 s73, s1
	s_cbranch_execz .LBB56_50
.LBB56_82:                              ;   in Loop: Header=BB56_48 Depth=1
	v_mov_b32_e32 v11, s39
	ds_load_b32 v11, v11
	s_wait_dscnt 0x0
	v_add_nc_u32_e32 v10, v11, v10
	s_or_b32 exec_lo, exec_lo, s73
	s_and_saveexec_b32 s73, s2
	s_cbranch_execnz .LBB56_51
.LBB56_83:                              ;   in Loop: Header=BB56_48 Depth=1
	s_or_b32 exec_lo, exec_lo, s73
	s_and_saveexec_b32 s73, s3
	s_cbranch_execz .LBB56_52
.LBB56_84:                              ;   in Loop: Header=BB56_48 Depth=1
	v_mov_b32_e32 v11, s44
	ds_load_b32 v11, v11
	s_wait_dscnt 0x0
	v_add_nc_u32_e32 v10, v11, v10
	s_or_b32 exec_lo, exec_lo, s73
	s_and_saveexec_b32 s73, s4
	s_cbranch_execnz .LBB56_53
.LBB56_85:                              ;   in Loop: Header=BB56_48 Depth=1
	s_or_b32 exec_lo, exec_lo, s73
	s_and_saveexec_b32 s73, s5
	s_cbranch_execz .LBB56_54
.LBB56_86:                              ;   in Loop: Header=BB56_48 Depth=1
	v_mov_b32_e32 v11, s46
	ds_load_b32 v11, v11
	s_wait_dscnt 0x0
	v_add_nc_u32_e32 v10, v11, v10
	s_or_b32 exec_lo, exec_lo, s73
	s_and_saveexec_b32 s73, s6
	s_cbranch_execnz .LBB56_55
.LBB56_87:                              ;   in Loop: Header=BB56_48 Depth=1
	s_or_b32 exec_lo, exec_lo, s73
	s_and_saveexec_b32 s73, s7
	s_cbranch_execz .LBB56_56
.LBB56_88:                              ;   in Loop: Header=BB56_48 Depth=1
	v_mov_b32_e32 v11, s48
	ds_load_b32 v11, v11
	s_wait_dscnt 0x0
	v_add_nc_u32_e32 v10, v11, v10
	s_or_b32 exec_lo, exec_lo, s73
	s_and_saveexec_b32 s73, s8
	s_cbranch_execnz .LBB56_57
.LBB56_89:                              ;   in Loop: Header=BB56_48 Depth=1
	s_or_b32 exec_lo, exec_lo, s73
	s_and_saveexec_b32 s73, s9
	s_cbranch_execz .LBB56_58
.LBB56_90:                              ;   in Loop: Header=BB56_48 Depth=1
	v_mov_b32_e32 v11, s50
	ds_load_b32 v11, v11
	s_wait_dscnt 0x0
	v_add_nc_u32_e32 v10, v11, v10
	s_or_b32 exec_lo, exec_lo, s73
	s_and_saveexec_b32 s73, s10
	s_cbranch_execnz .LBB56_59
.LBB56_91:                              ;   in Loop: Header=BB56_48 Depth=1
	s_or_b32 exec_lo, exec_lo, s73
	s_and_saveexec_b32 s73, s11
	s_cbranch_execz .LBB56_60
.LBB56_92:                              ;   in Loop: Header=BB56_48 Depth=1
	v_mov_b32_e32 v11, s52
	ds_load_b32 v11, v11
	s_wait_dscnt 0x0
	v_add_nc_u32_e32 v10, v11, v10
	s_or_b32 exec_lo, exec_lo, s73
	s_and_saveexec_b32 s73, s12
	s_cbranch_execnz .LBB56_61
.LBB56_93:                              ;   in Loop: Header=BB56_48 Depth=1
	s_or_b32 exec_lo, exec_lo, s73
	s_and_saveexec_b32 s73, s13
	s_cbranch_execz .LBB56_62
.LBB56_94:                              ;   in Loop: Header=BB56_48 Depth=1
	v_mov_b32_e32 v11, s54
	ds_load_b32 v11, v11
	s_wait_dscnt 0x0
	v_add_nc_u32_e32 v10, v11, v10
	s_or_b32 exec_lo, exec_lo, s73
	s_and_saveexec_b32 s73, s14
	s_cbranch_execnz .LBB56_63
.LBB56_95:                              ;   in Loop: Header=BB56_48 Depth=1
	s_or_b32 exec_lo, exec_lo, s73
	s_and_saveexec_b32 s73, s15
	s_cbranch_execz .LBB56_64
.LBB56_96:                              ;   in Loop: Header=BB56_48 Depth=1
	v_mov_b32_e32 v11, s56
	ds_load_b32 v11, v11
	s_wait_dscnt 0x0
	v_add_nc_u32_e32 v10, v11, v10
	s_or_b32 exec_lo, exec_lo, s73
	s_and_saveexec_b32 s73, s16
	s_cbranch_execnz .LBB56_65
.LBB56_97:                              ;   in Loop: Header=BB56_48 Depth=1
	s_or_b32 exec_lo, exec_lo, s73
	s_and_saveexec_b32 s73, s17
	s_cbranch_execz .LBB56_66
.LBB56_98:                              ;   in Loop: Header=BB56_48 Depth=1
	v_mov_b32_e32 v11, s58
	ds_load_b32 v11, v11
	s_wait_dscnt 0x0
	v_add_nc_u32_e32 v10, v11, v10
	s_or_b32 exec_lo, exec_lo, s73
	s_and_saveexec_b32 s73, s18
	s_cbranch_execnz .LBB56_67
.LBB56_99:                              ;   in Loop: Header=BB56_48 Depth=1
	s_or_b32 exec_lo, exec_lo, s73
	s_and_saveexec_b32 s73, s19
	s_cbranch_execz .LBB56_68
.LBB56_100:                             ;   in Loop: Header=BB56_48 Depth=1
	v_mov_b32_e32 v11, s60
	ds_load_b32 v11, v11
	s_wait_dscnt 0x0
	v_add_nc_u32_e32 v10, v11, v10
	s_or_b32 exec_lo, exec_lo, s73
	s_and_saveexec_b32 s73, s20
	s_cbranch_execnz .LBB56_69
.LBB56_101:                             ;   in Loop: Header=BB56_48 Depth=1
	s_or_b32 exec_lo, exec_lo, s73
	s_and_saveexec_b32 s73, s21
	s_cbranch_execz .LBB56_70
.LBB56_102:                             ;   in Loop: Header=BB56_48 Depth=1
	v_mov_b32_e32 v11, s62
	ds_load_b32 v11, v11
	s_wait_dscnt 0x0
	v_add_nc_u32_e32 v10, v11, v10
	s_or_b32 exec_lo, exec_lo, s73
	s_and_saveexec_b32 s73, s22
	s_cbranch_execnz .LBB56_71
.LBB56_103:                             ;   in Loop: Header=BB56_48 Depth=1
	s_or_b32 exec_lo, exec_lo, s73
	s_and_saveexec_b32 s73, s23
	s_cbranch_execz .LBB56_72
.LBB56_104:                             ;   in Loop: Header=BB56_48 Depth=1
	v_mov_b32_e32 v11, s64
	ds_load_b32 v11, v11
	s_wait_dscnt 0x0
	v_add_nc_u32_e32 v10, v11, v10
	s_or_b32 exec_lo, exec_lo, s73
	s_and_saveexec_b32 s73, s24
	s_cbranch_execnz .LBB56_73
.LBB56_105:                             ;   in Loop: Header=BB56_48 Depth=1
	s_or_b32 exec_lo, exec_lo, s73
	s_and_saveexec_b32 s73, s25
	s_cbranch_execz .LBB56_74
.LBB56_106:                             ;   in Loop: Header=BB56_48 Depth=1
	v_mov_b32_e32 v11, s66
	ds_load_b32 v11, v11
	s_wait_dscnt 0x0
	v_add_nc_u32_e32 v10, v11, v10
	s_or_b32 exec_lo, exec_lo, s73
	s_and_saveexec_b32 s73, s26
	s_cbranch_execnz .LBB56_75
.LBB56_107:                             ;   in Loop: Header=BB56_48 Depth=1
	s_or_b32 exec_lo, exec_lo, s73
	s_and_saveexec_b32 s73, s27
	s_cbranch_execz .LBB56_76
.LBB56_108:                             ;   in Loop: Header=BB56_48 Depth=1
	v_mov_b32_e32 v11, s68
	ds_load_b32 v11, v11
	s_wait_dscnt 0x0
	v_add_nc_u32_e32 v10, v11, v10
	s_or_b32 exec_lo, exec_lo, s73
	s_and_saveexec_b32 s73, s28
	s_cbranch_execnz .LBB56_77
.LBB56_109:                             ;   in Loop: Header=BB56_48 Depth=1
	s_or_b32 exec_lo, exec_lo, s73
	s_and_saveexec_b32 s73, s29
	s_cbranch_execz .LBB56_78
.LBB56_110:                             ;   in Loop: Header=BB56_48 Depth=1
	v_mov_b32_e32 v11, s70
	ds_load_b32 v11, v11
	s_wait_dscnt 0x0
	v_add_nc_u32_e32 v10, v11, v10
	s_or_b32 exec_lo, exec_lo, s73
	s_and_saveexec_b32 s73, s30
	s_cbranch_execnz .LBB56_79
.LBB56_111:                             ;   in Loop: Header=BB56_48 Depth=1
	s_or_b32 exec_lo, exec_lo, s73
	s_and_saveexec_b32 s73, s31
	s_cbranch_execz .LBB56_80
.LBB56_112:                             ;   in Loop: Header=BB56_48 Depth=1
	s_delay_alu instid0(VALU_DEP_1) | instskip(NEXT) | instid1(VALU_DEP_1)
	v_add3_u32 v11, v3, -1, v10
	v_lshlrev_b32_e32 v12, 3, v11
	v_lshl_add_u32 v11, v11, 2, 0
	s_delay_alu instid0(VALU_DEP_2)
	v_add3_u32 v12, 0, v12, 0x20000
	ds_store_b32 v11, v9
	ds_store_2addr_b32 v12, v4, v5 offset1:1
	s_or_b32 exec_lo, exec_lo, s73
	s_and_saveexec_b32 s31, vcc_lo
	s_cbranch_execz .LBB56_47
.LBB56_113:                             ;   in Loop: Header=BB56_48 Depth=1
	v_mov_b32_e32 v4, s72
	ds_store_b32 v4, v10
	s_branch .LBB56_47
.LBB56_114:
	s_or_b32 exec_lo, exec_lo, s36
	s_wait_kmcnt 0x0
	s_ashr_i32 s43, s42, 31
	s_delay_alu instid0(SALU_CYCLE_1) | instskip(NEXT) | instid1(SALU_CYCLE_1)
	s_lshl_b64 s[0:1], s[42:43], 2
	s_add_nc_u64 s[2:3], s[40:41], s[0:1]
	s_load_b64 s[0:1], s[2:3], 0x0
	s_wait_kmcnt 0x0
	s_sub_co_i32 s4, s1, s0
	s_mov_b32 s1, exec_lo
	v_cmpx_gt_i32_e64 s4, v0
	s_cbranch_execz .LBB56_128
; %bb.115:
	v_sub_co_u32 v1, s1, s4, 2
	s_sub_co_i32 s2, s0, s38
	s_xor_b32 s6, s1, -1
	s_and_b32 s5, s4, -2
	v_readfirstlane_b32 s3, v1
	s_lshr_b32 s0, s3, 1
	s_mov_b32 s3, 0
	s_add_co_i32 s0, s0, 1
	s_mov_b32 s11, s3
	s_and_b32 s1, s0, 7
	s_and_b32 s7, s0, -8
	s_cmp_lg_u32 s1, 0
	v_cmp_lt_u32_e64 s0, 13, v1
	s_cselect_b32 s8, -1, 0
	s_cmp_lg_u32 s4, s5
	s_cselect_b32 s9, -1, 0
	s_lshl_b32 s10, s1, 3
	s_branch .LBB56_117
.LBB56_116:                             ;   in Loop: Header=BB56_117 Depth=1
	v_add_nc_u32_e32 v0, 0x400, v0
	s_wait_dscnt 0x0
	global_store_b64 v4, v[2:3], s[34:35] scale_offset
	v_cmp_le_i32_e32 vcc_lo, s4, v0
	s_or_b32 s11, vcc_lo, s11
	s_wait_xcnt 0x0
	s_and_not1_b32 exec_lo, exec_lo, s11
	s_cbranch_execz .LBB56_128
.LBB56_117:                             ; =>This Loop Header: Depth=1
                                        ;     Child Loop BB56_120 Depth 2
                                        ;     Child Loop BB56_123 Depth 2
	;; [unrolled: 1-line block ×3, first 2 shown]
	v_dual_mov_b32 v4, s2 :: v_dual_lshlrev_b32 v1, 3, v0
	v_lshl_add_u32 v2, v0, 2, 0
	s_and_not1_b32 vcc_lo, exec_lo, s6
	s_mov_b32 s1, 0
	s_delay_alu instid0(VALU_DEP_2)
	v_add3_u32 v3, 0, v1, 0x20000
	s_mov_b32 s12, -1
	ds_load_b32 v1, v2
	ds_load_2addr_b32 v[2:3], v3 offset1:1
	s_cbranch_vccnz .LBB56_125
; %bb.118:                              ;   in Loop: Header=BB56_117 Depth=1
	v_mov_b64_e32 v[4:5], s[2:3]
	s_and_not1_b32 vcc_lo, exec_lo, s0
	s_mov_b32 s12, 0
	s_cbranch_vccnz .LBB56_121
; %bb.119:                              ;   in Loop: Header=BB56_117 Depth=1
	v_dual_mov_b32 v4, s2 :: v_dual_mov_b32 v5, 0
	s_mov_b32 s13, 0
	s_mov_b32 s14, s7
.LBB56_120:                             ;   Parent Loop BB56_117 Depth=1
                                        ; =>  This Inner Loop Header: Depth=2
	v_mov_b32_e32 v20, s13
	s_add_co_i32 s14, s14, -8
	s_add_co_i32 s12, s12, 16
	s_add_co_i32 s13, s13, 64
	s_cmp_lg_u32 s14, 0
	ds_load_2addr_b32 v[6:7], v20 offset1:1
	ds_load_2addr_b32 v[8:9], v20 offset0:2 offset1:3
	ds_load_2addr_b32 v[10:11], v20 offset0:4 offset1:5
	ds_load_2addr_b32 v[12:13], v20 offset0:8 offset1:9
	ds_load_2addr_b32 v[14:15], v20 offset0:12 offset1:13
	ds_load_2addr_b32 v[16:17], v20 offset0:6 offset1:7
	ds_load_2addr_b32 v[18:19], v20 offset0:10 offset1:11
	ds_load_2addr_b32 v[20:21], v20 offset0:14 offset1:15
	s_wait_dscnt 0x7
	v_cmp_gt_i32_e32 vcc_lo, v1, v7
	s_wait_dscnt 0x5
	v_cmp_gt_i32_e64 s1, v1, v10
	v_cndmask_b32_e64 v7, 0, 1, vcc_lo
	v_cmp_gt_i32_e32 vcc_lo, v1, v6
	v_cndmask_b32_e64 v6, 0, 1, vcc_lo
	v_cmp_gt_i32_e32 vcc_lo, v1, v8
	v_cndmask_b32_e64 v8, 0, 1, s1
	v_cmp_gt_i32_e64 s1, v1, v11
	s_delay_alu instid0(VALU_DEP_4) | instskip(NEXT) | instid1(VALU_DEP_2)
	v_add_co_ci_u32_e64 v4, null, v4, v6, vcc_lo
	v_cndmask_b32_e64 v10, 0, 1, s1
	s_wait_dscnt 0x4
	v_cmp_gt_i32_e64 s1, v1, v13
	s_wait_dscnt 0x2
	v_cmp_gt_i32_e32 vcc_lo, v1, v16
	s_delay_alu instid0(VALU_DEP_2) | instskip(SKIP_4) | instid1(VALU_DEP_3)
	v_cndmask_b32_e64 v11, 0, 1, s1
	v_cmp_gt_i32_e64 s1, v1, v12
	v_add_co_ci_u32_e64 v4, null, v4, v8, vcc_lo
	s_wait_dscnt 0x1
	v_cmp_gt_i32_e32 vcc_lo, v1, v18
	v_cndmask_b32_e64 v12, 0, 1, s1
	v_cmp_gt_i32_e64 s1, v1, v14
	s_delay_alu instid0(VALU_DEP_2) | instskip(NEXT) | instid1(VALU_DEP_2)
	v_add_co_ci_u32_e64 v4, null, v4, v12, vcc_lo
	v_cndmask_b32_e64 v13, 0, 1, s1
	v_cmp_gt_i32_e64 s1, v1, v15
	s_wait_dscnt 0x0
	v_cmp_gt_i32_e32 vcc_lo, v1, v20
	s_delay_alu instid0(VALU_DEP_2) | instskip(SKIP_2) | instid1(VALU_DEP_2)
	v_cndmask_b32_e64 v14, 0, 1, s1
	v_cmp_gt_i32_e64 s1, v1, v9
	v_add_co_ci_u32_e64 v4, null, v4, v13, vcc_lo
	v_add_co_ci_u32_e64 v5, null, v5, v7, s1
	v_cmp_gt_i32_e64 s1, v1, v17
	s_delay_alu instid0(VALU_DEP_1) | instskip(SKIP_1) | instid1(VALU_DEP_1)
	v_add_co_ci_u32_e64 v5, null, v5, v10, s1
	v_cmp_gt_i32_e64 s1, v1, v19
	v_add_co_ci_u32_e64 v5, null, v5, v11, s1
	v_cmp_gt_i32_e64 s1, v1, v21
	s_delay_alu instid0(VALU_DEP_1)
	v_add_co_ci_u32_e64 v5, null, v5, v14, s1
	s_cbranch_scc1 .LBB56_120
.LBB56_121:                             ;   in Loop: Header=BB56_117 Depth=1
	s_and_not1_b32 vcc_lo, exec_lo, s8
	s_cbranch_vccnz .LBB56_124
; %bb.122:                              ;   in Loop: Header=BB56_117 Depth=1
	s_lshl_b32 s1, s12, 2
	s_mov_b32 s12, s10
	s_add_co_i32 s1, s1, 0
.LBB56_123:                             ;   Parent Loop BB56_117 Depth=1
                                        ; =>  This Inner Loop Header: Depth=2
	s_delay_alu instid0(SALU_CYCLE_1)
	v_mov_b32_e32 v6, s1
	s_add_co_i32 s12, s12, -8
	s_add_co_i32 s1, s1, 8
	s_cmp_lg_u32 s12, 0
	ds_load_2addr_b32 v[6:7], v6 offset1:1
	s_wait_dscnt 0x0
	v_cmp_gt_i32_e32 vcc_lo, v1, v7
	v_add_co_ci_u32_e64 v5, null, 0, v5, vcc_lo
	v_cmp_gt_i32_e32 vcc_lo, v1, v6
	v_add_co_ci_u32_e64 v4, null, 0, v4, vcc_lo
	s_cbranch_scc1 .LBB56_123
.LBB56_124:                             ;   in Loop: Header=BB56_117 Depth=1
	s_delay_alu instid0(VALU_DEP_1)
	v_add_nc_u32_e32 v4, v4, v5
	s_mov_b32 s1, s5
	s_mov_b32 s12, s9
.LBB56_125:                             ;   in Loop: Header=BB56_117 Depth=1
	s_delay_alu instid0(SALU_CYCLE_1)
	s_and_b32 vcc_lo, exec_lo, s12
	s_cbranch_vccz .LBB56_116
; %bb.126:                              ;   in Loop: Header=BB56_117 Depth=1
	s_lshl_b32 s12, s1, 2
	s_delay_alu instid0(SALU_CYCLE_1)
	s_add_co_i32 s12, s12, 0
.LBB56_127:                             ;   Parent Loop BB56_117 Depth=1
                                        ; =>  This Inner Loop Header: Depth=2
	s_delay_alu instid0(SALU_CYCLE_1)
	v_mov_b32_e32 v5, s12
	s_add_co_i32 s1, s1, 1
	s_add_co_i32 s12, s12, 4
	s_cmp_ge_i32 s1, s4
	ds_load_b32 v5, v5
	s_wait_dscnt 0x0
	v_cmp_gt_i32_e32 vcc_lo, v1, v5
	v_add_co_ci_u32_e64 v4, null, 0, v4, vcc_lo
	s_cbranch_scc0 .LBB56_127
	s_branch .LBB56_116
.LBB56_128:
	s_endpgm
	.section	.rodata,"a",@progbits
	.p2align	6, 0x0
	.amdhsa_kernel _ZN9rocsparseL41csrgemm_numeric_fill_block_per_row_kernelILj1024ELj64ELj32768ELj137ELj32Eii21rocsparse_complex_numIfEEEvT5_PKS3_S5_NS_24const_host_device_scalarIT6_EEPKT4_S5_PKS7_SB_S5_SD_S8_SB_S5_SD_SB_S5_PS7_21rocsparse_index_base_SF_SF_SF_bbb
		.amdhsa_group_segment_fixed_size 0
		.amdhsa_private_segment_fixed_size 0
		.amdhsa_kernarg_size 156
		.amdhsa_user_sgpr_count 2
		.amdhsa_user_sgpr_dispatch_ptr 0
		.amdhsa_user_sgpr_queue_ptr 0
		.amdhsa_user_sgpr_kernarg_segment_ptr 1
		.amdhsa_user_sgpr_dispatch_id 0
		.amdhsa_user_sgpr_kernarg_preload_length 0
		.amdhsa_user_sgpr_kernarg_preload_offset 0
		.amdhsa_user_sgpr_private_segment_size 0
		.amdhsa_wavefront_size32 1
		.amdhsa_uses_dynamic_stack 0
		.amdhsa_enable_private_segment 0
		.amdhsa_system_sgpr_workgroup_id_x 1
		.amdhsa_system_sgpr_workgroup_id_y 0
		.amdhsa_system_sgpr_workgroup_id_z 0
		.amdhsa_system_sgpr_workgroup_info 0
		.amdhsa_system_vgpr_workitem_id 0
		.amdhsa_next_free_vgpr 22
		.amdhsa_next_free_sgpr 74
		.amdhsa_named_barrier_count 0
		.amdhsa_reserve_vcc 1
		.amdhsa_float_round_mode_32 0
		.amdhsa_float_round_mode_16_64 0
		.amdhsa_float_denorm_mode_32 3
		.amdhsa_float_denorm_mode_16_64 3
		.amdhsa_fp16_overflow 0
		.amdhsa_memory_ordered 1
		.amdhsa_forward_progress 1
		.amdhsa_inst_pref_size 38
		.amdhsa_round_robin_scheduling 0
		.amdhsa_exception_fp_ieee_invalid_op 0
		.amdhsa_exception_fp_denorm_src 0
		.amdhsa_exception_fp_ieee_div_zero 0
		.amdhsa_exception_fp_ieee_overflow 0
		.amdhsa_exception_fp_ieee_underflow 0
		.amdhsa_exception_fp_ieee_inexact 0
		.amdhsa_exception_int_div_zero 0
	.end_amdhsa_kernel
	.section	.text._ZN9rocsparseL41csrgemm_numeric_fill_block_per_row_kernelILj1024ELj64ELj32768ELj137ELj32Eii21rocsparse_complex_numIfEEEvT5_PKS3_S5_NS_24const_host_device_scalarIT6_EEPKT4_S5_PKS7_SB_S5_SD_S8_SB_S5_SD_SB_S5_PS7_21rocsparse_index_base_SF_SF_SF_bbb,"axG",@progbits,_ZN9rocsparseL41csrgemm_numeric_fill_block_per_row_kernelILj1024ELj64ELj32768ELj137ELj32Eii21rocsparse_complex_numIfEEEvT5_PKS3_S5_NS_24const_host_device_scalarIT6_EEPKT4_S5_PKS7_SB_S5_SD_S8_SB_S5_SD_SB_S5_PS7_21rocsparse_index_base_SF_SF_SF_bbb,comdat
.Lfunc_end56:
	.size	_ZN9rocsparseL41csrgemm_numeric_fill_block_per_row_kernelILj1024ELj64ELj32768ELj137ELj32Eii21rocsparse_complex_numIfEEEvT5_PKS3_S5_NS_24const_host_device_scalarIT6_EEPKT4_S5_PKS7_SB_S5_SD_S8_SB_S5_SD_SB_S5_PS7_21rocsparse_index_base_SF_SF_SF_bbb, .Lfunc_end56-_ZN9rocsparseL41csrgemm_numeric_fill_block_per_row_kernelILj1024ELj64ELj32768ELj137ELj32Eii21rocsparse_complex_numIfEEEvT5_PKS3_S5_NS_24const_host_device_scalarIT6_EEPKT4_S5_PKS7_SB_S5_SD_S8_SB_S5_SD_SB_S5_PS7_21rocsparse_index_base_SF_SF_SF_bbb
                                        ; -- End function
	.set _ZN9rocsparseL41csrgemm_numeric_fill_block_per_row_kernelILj1024ELj64ELj32768ELj137ELj32Eii21rocsparse_complex_numIfEEEvT5_PKS3_S5_NS_24const_host_device_scalarIT6_EEPKT4_S5_PKS7_SB_S5_SD_S8_SB_S5_SD_SB_S5_PS7_21rocsparse_index_base_SF_SF_SF_bbb.num_vgpr, 22
	.set _ZN9rocsparseL41csrgemm_numeric_fill_block_per_row_kernelILj1024ELj64ELj32768ELj137ELj32Eii21rocsparse_complex_numIfEEEvT5_PKS3_S5_NS_24const_host_device_scalarIT6_EEPKT4_S5_PKS7_SB_S5_SD_S8_SB_S5_SD_SB_S5_PS7_21rocsparse_index_base_SF_SF_SF_bbb.num_agpr, 0
	.set _ZN9rocsparseL41csrgemm_numeric_fill_block_per_row_kernelILj1024ELj64ELj32768ELj137ELj32Eii21rocsparse_complex_numIfEEEvT5_PKS3_S5_NS_24const_host_device_scalarIT6_EEPKT4_S5_PKS7_SB_S5_SD_S8_SB_S5_SD_SB_S5_PS7_21rocsparse_index_base_SF_SF_SF_bbb.numbered_sgpr, 74
	.set _ZN9rocsparseL41csrgemm_numeric_fill_block_per_row_kernelILj1024ELj64ELj32768ELj137ELj32Eii21rocsparse_complex_numIfEEEvT5_PKS3_S5_NS_24const_host_device_scalarIT6_EEPKT4_S5_PKS7_SB_S5_SD_S8_SB_S5_SD_SB_S5_PS7_21rocsparse_index_base_SF_SF_SF_bbb.num_named_barrier, 0
	.set _ZN9rocsparseL41csrgemm_numeric_fill_block_per_row_kernelILj1024ELj64ELj32768ELj137ELj32Eii21rocsparse_complex_numIfEEEvT5_PKS3_S5_NS_24const_host_device_scalarIT6_EEPKT4_S5_PKS7_SB_S5_SD_S8_SB_S5_SD_SB_S5_PS7_21rocsparse_index_base_SF_SF_SF_bbb.private_seg_size, 0
	.set _ZN9rocsparseL41csrgemm_numeric_fill_block_per_row_kernelILj1024ELj64ELj32768ELj137ELj32Eii21rocsparse_complex_numIfEEEvT5_PKS3_S5_NS_24const_host_device_scalarIT6_EEPKT4_S5_PKS7_SB_S5_SD_S8_SB_S5_SD_SB_S5_PS7_21rocsparse_index_base_SF_SF_SF_bbb.uses_vcc, 1
	.set _ZN9rocsparseL41csrgemm_numeric_fill_block_per_row_kernelILj1024ELj64ELj32768ELj137ELj32Eii21rocsparse_complex_numIfEEEvT5_PKS3_S5_NS_24const_host_device_scalarIT6_EEPKT4_S5_PKS7_SB_S5_SD_S8_SB_S5_SD_SB_S5_PS7_21rocsparse_index_base_SF_SF_SF_bbb.uses_flat_scratch, 0
	.set _ZN9rocsparseL41csrgemm_numeric_fill_block_per_row_kernelILj1024ELj64ELj32768ELj137ELj32Eii21rocsparse_complex_numIfEEEvT5_PKS3_S5_NS_24const_host_device_scalarIT6_EEPKT4_S5_PKS7_SB_S5_SD_S8_SB_S5_SD_SB_S5_PS7_21rocsparse_index_base_SF_SF_SF_bbb.has_dyn_sized_stack, 0
	.set _ZN9rocsparseL41csrgemm_numeric_fill_block_per_row_kernelILj1024ELj64ELj32768ELj137ELj32Eii21rocsparse_complex_numIfEEEvT5_PKS3_S5_NS_24const_host_device_scalarIT6_EEPKT4_S5_PKS7_SB_S5_SD_S8_SB_S5_SD_SB_S5_PS7_21rocsparse_index_base_SF_SF_SF_bbb.has_recursion, 0
	.set _ZN9rocsparseL41csrgemm_numeric_fill_block_per_row_kernelILj1024ELj64ELj32768ELj137ELj32Eii21rocsparse_complex_numIfEEEvT5_PKS3_S5_NS_24const_host_device_scalarIT6_EEPKT4_S5_PKS7_SB_S5_SD_S8_SB_S5_SD_SB_S5_PS7_21rocsparse_index_base_SF_SF_SF_bbb.has_indirect_call, 0
	.section	.AMDGPU.csdata,"",@progbits
; Kernel info:
; codeLenInByte = 4844
; TotalNumSgprs: 76
; NumVgprs: 22
; ScratchSize: 0
; MemoryBound: 0
; FloatMode: 240
; IeeeMode: 1
; LDSByteSize: 0 bytes/workgroup (compile time only)
; SGPRBlocks: 0
; VGPRBlocks: 1
; NumSGPRsForWavesPerEU: 76
; NumVGPRsForWavesPerEU: 22
; NamedBarCnt: 0
; Occupancy: 16
; WaveLimiterHint : 1
; COMPUTE_PGM_RSRC2:SCRATCH_EN: 0
; COMPUTE_PGM_RSRC2:USER_SGPR: 2
; COMPUTE_PGM_RSRC2:TRAP_HANDLER: 0
; COMPUTE_PGM_RSRC2:TGID_X_EN: 1
; COMPUTE_PGM_RSRC2:TGID_Y_EN: 0
; COMPUTE_PGM_RSRC2:TGID_Z_EN: 0
; COMPUTE_PGM_RSRC2:TIDIG_COMP_CNT: 0
	.section	.text._ZN9rocsparseL41csrgemm_numeric_fill_block_per_row_kernelILj1024ELj64ELj32768ELj137ELj64Eii21rocsparse_complex_numIfEEEvT5_PKS3_S5_NS_24const_host_device_scalarIT6_EEPKT4_S5_PKS7_SB_S5_SD_S8_SB_S5_SD_SB_S5_PS7_21rocsparse_index_base_SF_SF_SF_bbb,"axG",@progbits,_ZN9rocsparseL41csrgemm_numeric_fill_block_per_row_kernelILj1024ELj64ELj32768ELj137ELj64Eii21rocsparse_complex_numIfEEEvT5_PKS3_S5_NS_24const_host_device_scalarIT6_EEPKT4_S5_PKS7_SB_S5_SD_S8_SB_S5_SD_SB_S5_PS7_21rocsparse_index_base_SF_SF_SF_bbb,comdat
	.globl	_ZN9rocsparseL41csrgemm_numeric_fill_block_per_row_kernelILj1024ELj64ELj32768ELj137ELj64Eii21rocsparse_complex_numIfEEEvT5_PKS3_S5_NS_24const_host_device_scalarIT6_EEPKT4_S5_PKS7_SB_S5_SD_S8_SB_S5_SD_SB_S5_PS7_21rocsparse_index_base_SF_SF_SF_bbb ; -- Begin function _ZN9rocsparseL41csrgemm_numeric_fill_block_per_row_kernelILj1024ELj64ELj32768ELj137ELj64Eii21rocsparse_complex_numIfEEEvT5_PKS3_S5_NS_24const_host_device_scalarIT6_EEPKT4_S5_PKS7_SB_S5_SD_S8_SB_S5_SD_SB_S5_PS7_21rocsparse_index_base_SF_SF_SF_bbb
	.p2align	8
	.type	_ZN9rocsparseL41csrgemm_numeric_fill_block_per_row_kernelILj1024ELj64ELj32768ELj137ELj64Eii21rocsparse_complex_numIfEEEvT5_PKS3_S5_NS_24const_host_device_scalarIT6_EEPKT4_S5_PKS7_SB_S5_SD_S8_SB_S5_SD_SB_S5_PS7_21rocsparse_index_base_SF_SF_SF_bbb,@function
_ZN9rocsparseL41csrgemm_numeric_fill_block_per_row_kernelILj1024ELj64ELj32768ELj137ELj64Eii21rocsparse_complex_numIfEEEvT5_PKS3_S5_NS_24const_host_device_scalarIT6_EEPKT4_S5_PKS7_SB_S5_SD_S8_SB_S5_SD_SB_S5_PS7_21rocsparse_index_base_SF_SF_SF_bbb: ; @_ZN9rocsparseL41csrgemm_numeric_fill_block_per_row_kernelILj1024ELj64ELj32768ELj137ELj64Eii21rocsparse_complex_numIfEEEvT5_PKS3_S5_NS_24const_host_device_scalarIT6_EEPKT4_S5_PKS7_SB_S5_SD_S8_SB_S5_SD_SB_S5_PS7_21rocsparse_index_base_SF_SF_SF_bbb
; %bb.0:
	s_clause 0x7
	s_load_b32 s33, s[0:1], 0x98
	s_load_b128 s[16:19], s[0:1], 0x88
	s_load_b64 s[24:25], s[0:1], 0x80
	s_load_b128 s[4:7], s[0:1], 0x60
	s_load_b128 s[20:23], s[0:1], 0x8
	s_load_b64 s[2:3], s[0:1], 0x28
	s_load_b128 s[8:11], s[0:1], 0x40
	s_load_b64 s[36:37], s[0:1], 0x50
	s_mov_b32 s29, 0
	s_mov_b32 s39, 0
	s_wait_kmcnt 0x0
	s_bitcmp1_b32 s33, 0
	s_cselect_b32 s41, -1, 0
	s_bitcmp1_b32 s33, 16
	s_cselect_b32 s12, -1, 0
	s_delay_alu instid0(SALU_CYCLE_1) | instskip(SKIP_2) | instid1(VALU_DEP_1)
	s_xor_b32 s12, s12, -1
	s_bitcmp0_b32 s33, 0
	v_cndmask_b32_e64 v1, 0, 1, s12
	v_cmp_ne_u32_e32 vcc_lo, 1, v1
	s_cbranch_scc1 .LBB57_5
; %bb.1:
	s_load_b64 s[28:29], s[0:1], 0x18
	s_and_b32 vcc_lo, exec_lo, vcc_lo
	s_wait_kmcnt 0x0
	s_mov_b32 s39, s28
	s_cbranch_vccnz .LBB57_3
; %bb.2:
	s_load_b32 s39, s[28:29], 0x0
.LBB57_3:
	s_and_not1_b32 vcc_lo, exec_lo, s12
	s_cbranch_vccnz .LBB57_5
; %bb.4:
	s_wait_xcnt 0x0
	s_load_b32 s29, s[28:29], 0x4
.LBB57_5:
	s_clause 0x3
	s_load_b64 s[26:27], s[0:1], 0x70
	s_load_b64 s[30:31], s[0:1], 0x58
	;; [unrolled: 1-line block ×3, first 2 shown]
	s_load_b128 s[12:15], s[0:1], 0x30
	s_bitcmp1_b32 s33, 8
	s_mov_b32 s38, 0
	s_cselect_b32 s40, -1, 0
	s_wait_xcnt 0x0
	s_bfe_u32 s28, s33, 0x10008
	s_mov_b32 s33, 0
	s_cmp_eq_u32 s28, 0
	s_cbranch_scc1 .LBB57_11
; %bb.6:
	v_cmp_ne_u32_e32 vcc_lo, 1, v1
	s_mov_b32 s33, s36
	s_cbranch_vccnz .LBB57_8
; %bb.7:
	s_load_b32 s33, s[36:37], 0x0
.LBB57_8:
	v_cmp_ne_u32_e32 vcc_lo, 1, v1
	s_cbranch_vccnz .LBB57_10
; %bb.9:
	s_wait_xcnt 0x0
	s_load_b32 s37, s[36:37], 0x4
.LBB57_10:
	s_wait_kmcnt 0x0
	s_mov_b32 s38, s37
.LBB57_11:
	s_load_b32 s28, s[0:1], 0x0
	v_lshl_add_u32 v1, v0, 2, 0
	v_lshlrev_b32_e32 v2, 3, v0
	v_or_b32_e32 v7, 0xfffffc00, v0
	s_wait_xcnt 0x0
	s_mov_b32 s0, 0
	v_mov_b32_e32 v3, v1
	v_add3_u32 v6, v2, 0, 0x20000
	v_dual_mov_b32 v2, 0 :: v_dual_mov_b32 v8, v7
	s_wait_kmcnt 0x0
	s_delay_alu instid0(VALU_DEP_2)
	v_dual_mov_b32 v4, v6 :: v_dual_mov_b32 v5, s28
.LBB57_12:                              ; =>This Inner Loop Header: Depth=1
	s_delay_alu instid0(VALU_DEP_2)
	v_add_nc_u32_e32 v8, 0x400, v8
	ds_store_b32 v3, v5
	ds_store_2addr_b32 v4, v2, v2 offset1:1
	v_add_nc_u32_e32 v4, 0x2000, v4
	v_add_nc_u32_e32 v3, 0x1000, v3
	v_cmp_lt_u32_e32 vcc_lo, 0x7bff, v8
	s_or_b32 s0, vcc_lo, s0
	s_delay_alu instid0(SALU_CYCLE_1)
	s_and_not1_b32 exec_lo, exec_lo, s0
	s_cbranch_execnz .LBB57_12
; %bb.13:
	s_or_b32 exec_lo, exec_lo, s0
	s_wait_dscnt 0x0
	s_barrier_signal -1
	s_barrier_wait -1
	s_load_b32 s0, s[20:21], 0x0
	s_bfe_u32 s1, ttmp6, 0x4000c
	s_wait_xcnt 0x0
	s_and_b32 s20, ttmp6, 15
	s_add_co_i32 s1, s1, 1
	s_getreg_b32 s21, hwreg(HW_REG_IB_STS2, 6, 4)
	s_mul_i32 s1, ttmp9, s1
	v_lshrrev_b32_e32 v8, 6, v0
	s_add_co_i32 s20, s20, s1
	s_cmp_eq_u32 s21, 0
	s_cselect_b32 s1, ttmp9, s20
	s_and_b32 vcc_lo, exec_lo, s41
	s_wait_kmcnt 0x0
	s_add_co_i32 s0, s0, s1
	s_load_b32 s20, s[22:23], s0 offset:0x0 scale_offset
	s_cbranch_vccz .LBB57_31
; %bb.14:
	s_wait_kmcnt 0x0
	s_ashr_i32 s21, s20, 31
	v_subrev_nc_u32_e32 v2, s16, v8
	s_lshl_b64 s[0:1], s[20:21], 2
	s_delay_alu instid0(SALU_CYCLE_1)
	s_add_nc_u64 s[0:1], s[34:35], s[0:1]
	s_load_b64 s[22:23], s[0:1], 0x0
	s_wait_xcnt 0x0
	s_mov_b32 s1, exec_lo
	s_wait_kmcnt 0x0
	v_add_nc_u32_e32 v2, s22, v2
	s_sub_co_i32 s0, s23, s16
	s_delay_alu instid0(VALU_DEP_1) | instid1(SALU_CYCLE_1)
	v_cmpx_gt_i32_e64 s0, v2
	s_cbranch_execz .LBB57_30
; %bb.15:
	v_and_b32_e32 v3, 63, v0
	s_mov_b32 s21, 0
	s_delay_alu instid0(VALU_DEP_1)
	v_subrev_nc_u32_e32 v9, s17, v3
	s_branch .LBB57_17
.LBB57_16:                              ;   in Loop: Header=BB57_17 Depth=1
	s_or_b32 exec_lo, exec_lo, s22
	v_add_nc_u32_e32 v2, 16, v2
	s_delay_alu instid0(VALU_DEP_1) | instskip(SKIP_1) | instid1(SALU_CYCLE_1)
	v_cmp_le_i32_e32 vcc_lo, s0, v2
	s_or_b32 s21, vcc_lo, s21
	s_and_not1_b32 exec_lo, exec_lo, s21
	s_cbranch_execz .LBB57_30
.LBB57_17:                              ; =>This Loop Header: Depth=1
                                        ;     Child Loop BB57_21 Depth 2
                                        ;       Child Loop BB57_24 Depth 3
	global_load_b32 v3, v2, s[2:3] scale_offset
	s_mov_b32 s22, exec_lo
	s_wait_loadcnt 0x0
	v_subrev_nc_u32_e32 v4, s16, v3
	s_delay_alu instid0(VALU_DEP_1) | instskip(NEXT) | instid1(VALU_DEP_1)
	v_ashrrev_i32_e32 v5, 31, v4
	v_lshl_add_u64 v[4:5], v[4:5], 2, s[14:15]
	global_load_b64 v[4:5], v[4:5], off
	s_wait_loadcnt 0x0
	v_subrev_nc_u32_e32 v10, s17, v5
	v_add_nc_u32_e32 v11, v4, v9
	s_wait_xcnt 0x0
	s_delay_alu instid0(VALU_DEP_1)
	v_cmpx_lt_i32_e64 v11, v10
	s_cbranch_execz .LBB57_16
; %bb.18:                               ;   in Loop: Header=BB57_17 Depth=1
	v_ashrrev_i32_e32 v3, 31, v2
	s_mov_b32 s23, 0
	s_delay_alu instid0(VALU_DEP_1) | instskip(SKIP_3) | instid1(VALU_DEP_1)
	v_lshl_add_u64 v[4:5], v[2:3], 3, s[12:13]
	global_load_b64 v[4:5], v[4:5], off
	s_wait_loadcnt 0x0
	v_mul_f32_e64 v3, v5, -s29
	v_dual_mul_f32 v12, s39, v5 :: v_dual_fmac_f32 v3, s39, v4
	s_delay_alu instid0(VALU_DEP_1)
	v_fmac_f32_e32 v12, s29, v4
	s_branch .LBB57_21
.LBB57_19:                              ;   in Loop: Header=BB57_21 Depth=2
	s_or_b32 exec_lo, exec_lo, s35
.LBB57_20:                              ;   in Loop: Header=BB57_21 Depth=2
	s_delay_alu instid0(SALU_CYCLE_1) | instskip(SKIP_3) | instid1(VALU_DEP_2)
	s_or_b32 exec_lo, exec_lo, s34
	s_wait_loadcnt 0x0
	v_dual_mul_f32 v14, v5, -v12 :: v_dual_lshlrev_b32 v13, 3, v13
	v_dual_mul_f32 v5, v3, v5 :: v_dual_add_nc_u32 v11, 64, v11
	v_fmac_f32_e32 v14, v3, v4
	s_delay_alu instid0(VALU_DEP_3) | instskip(NEXT) | instid1(VALU_DEP_3)
	v_add3_u32 v13, 0, v13, 0x20000
	v_fmac_f32_e32 v5, v12, v4
	ds_add_f32 v13, v14
	ds_add_f32 v13, v5 offset:4
	v_cmp_ge_i32_e32 vcc_lo, v11, v10
	s_or_b32 s23, vcc_lo, s23
	s_delay_alu instid0(SALU_CYCLE_1)
	s_and_not1_b32 exec_lo, exec_lo, s23
	s_cbranch_execz .LBB57_16
.LBB57_21:                              ;   Parent Loop BB57_17 Depth=1
                                        ; =>  This Loop Header: Depth=2
                                        ;       Child Loop BB57_24 Depth 3
	s_clause 0x1
	global_load_b32 v13, v11, s[8:9] scale_offset
	global_load_b64 v[4:5], v11, s[10:11] scale_offset
	s_mov_b32 s34, exec_lo
	s_wait_loadcnt 0x1
	v_subrev_nc_u32_e32 v14, s17, v13
	s_delay_alu instid0(VALU_DEP_1) | instskip(NEXT) | instid1(VALU_DEP_1)
	v_mul_lo_u32 v13, 0x89, v14
	v_and_b32_e32 v13, 0x7fff, v13
	s_delay_alu instid0(VALU_DEP_1)
	v_lshl_add_u32 v15, v13, 2, 0
	ds_load_b32 v16, v15
	s_wait_dscnt 0x0
	s_wait_xcnt 0x0
	v_cmpx_ne_u32_e64 v16, v14
	s_cbranch_execz .LBB57_20
; %bb.22:                               ;   in Loop: Header=BB57_21 Depth=2
	s_mov_b32 s35, 0
	s_branch .LBB57_24
.LBB57_23:                              ;   in Loop: Header=BB57_24 Depth=3
	s_or_b32 exec_lo, exec_lo, s41
	s_delay_alu instid0(SALU_CYCLE_1) | instskip(NEXT) | instid1(SALU_CYCLE_1)
	s_and_b32 s36, exec_lo, s37
	s_or_b32 s35, s36, s35
	s_delay_alu instid0(SALU_CYCLE_1)
	s_and_not1_b32 exec_lo, exec_lo, s35
	s_cbranch_execz .LBB57_19
.LBB57_24:                              ;   Parent Loop BB57_17 Depth=1
                                        ;     Parent Loop BB57_21 Depth=2
                                        ; =>    This Inner Loop Header: Depth=3
	s_mov_b32 s36, 0
	s_mov_b32 s37, exec_lo
	v_cmpx_ne_u32_e64 s28, v16
	s_xor_b32 s37, exec_lo, s37
	s_cbranch_execz .LBB57_26
; %bb.25:                               ;   in Loop: Header=BB57_24 Depth=3
	v_add_nc_u32_e32 v13, 1, v13
	s_mov_b32 s36, exec_lo
                                        ; implicit-def: $vgpr15
	s_delay_alu instid0(VALU_DEP_1)
	v_and_b32_e32 v13, 0x7fff, v13
	s_and_not1_saveexec_b32 s37, s37
	s_cbranch_execz .LBB57_28
	s_branch .LBB57_27
.LBB57_26:                              ;   in Loop: Header=BB57_24 Depth=3
	s_and_not1_saveexec_b32 s37, s37
	s_cbranch_execz .LBB57_28
.LBB57_27:                              ;   in Loop: Header=BB57_24 Depth=3
	v_mov_b32_e32 v16, s28
	s_and_not1_b32 s36, s36, exec_lo
	ds_cmpstore_rtn_b32 v15, v15, v14, v16
	s_wait_dscnt 0x0
	v_cmp_ne_u32_e32 vcc_lo, s28, v15
	s_and_b32 s41, vcc_lo, exec_lo
	s_delay_alu instid0(SALU_CYCLE_1)
	s_or_b32 s36, s36, s41
.LBB57_28:                              ;   in Loop: Header=BB57_24 Depth=3
	s_or_b32 exec_lo, exec_lo, s37
	s_mov_b32 s37, -1
                                        ; implicit-def: $vgpr15
                                        ; implicit-def: $vgpr16
	s_and_saveexec_b32 s41, s36
	s_cbranch_execz .LBB57_23
; %bb.29:                               ;   in Loop: Header=BB57_24 Depth=3
	v_lshl_add_u32 v15, v13, 2, 0
	ds_load_b32 v16, v15
	s_wait_dscnt 0x0
	v_cmp_eq_u32_e32 vcc_lo, v16, v14
	s_or_not1_b32 s37, vcc_lo, exec_lo
	s_branch .LBB57_23
.LBB57_30:
	s_or_b32 exec_lo, exec_lo, s1
.LBB57_31:
	s_delay_alu instid0(SALU_CYCLE_1)
	s_and_not1_b32 vcc_lo, exec_lo, s40
	s_cbranch_vccnz .LBB57_46
; %bb.32:
	s_wait_kmcnt 0x0
	s_ashr_i32 s21, s20, 31
	v_subrev_nc_u32_e32 v2, s19, v0
	s_lshl_b64 s[0:1], s[20:21], 2
	s_delay_alu instid0(SALU_CYCLE_1)
	s_add_nc_u64 s[0:1], s[30:31], s[0:1]
	s_load_b64 s[2:3], s[0:1], 0x0
	s_wait_xcnt 0x0
	s_mov_b32 s1, exec_lo
	s_wait_kmcnt 0x0
	v_add_nc_u32_e32 v4, s2, v2
	s_sub_co_i32 s0, s3, s19
	s_delay_alu instid0(VALU_DEP_1) | instid1(SALU_CYCLE_1)
	v_cmpx_gt_i32_e64 s0, v4
	s_cbranch_execz .LBB57_45
; %bb.33:
	s_mov_b32 s2, 0
	s_branch .LBB57_36
.LBB57_34:                              ;   in Loop: Header=BB57_36 Depth=1
	s_or_b32 exec_lo, exec_lo, s8
.LBB57_35:                              ;   in Loop: Header=BB57_36 Depth=1
	s_delay_alu instid0(SALU_CYCLE_1) | instskip(SKIP_3) | instid1(VALU_DEP_2)
	s_or_b32 exec_lo, exec_lo, s3
	s_wait_loadcnt 0x0
	v_mul_f32_e64 v9, v3, -s38
	v_dual_lshlrev_b32 v5, 3, v5 :: v_dual_mul_f32 v3, s33, v3
	v_dual_fmac_f32 v9, s33, v2 :: v_dual_add_nc_u32 v4, 0x400, v4
	s_delay_alu instid0(VALU_DEP_2) | instskip(NEXT) | instid1(VALU_DEP_3)
	v_add3_u32 v5, 0, v5, 0x20000
	v_fmac_f32_e32 v3, s38, v2
	s_delay_alu instid0(VALU_DEP_3) | instskip(SKIP_3) | instid1(SALU_CYCLE_1)
	v_cmp_le_i32_e32 vcc_lo, s0, v4
	ds_add_f32 v5, v9
	ds_add_f32 v5, v3 offset:4
	s_or_b32 s2, vcc_lo, s2
	s_and_not1_b32 exec_lo, exec_lo, s2
	s_cbranch_execz .LBB57_45
.LBB57_36:                              ; =>This Loop Header: Depth=1
                                        ;     Child Loop BB57_39 Depth 2
	s_clause 0x1
	global_load_b32 v5, v4, s[4:5] scale_offset
	global_load_b64 v[2:3], v4, s[6:7] scale_offset
	s_mov_b32 s3, exec_lo
	s_wait_loadcnt 0x1
	v_subrev_nc_u32_e32 v9, s19, v5
	s_delay_alu instid0(VALU_DEP_1) | instskip(NEXT) | instid1(VALU_DEP_1)
	v_mul_lo_u32 v5, 0x89, v9
	v_and_b32_e32 v5, 0x7fff, v5
	s_delay_alu instid0(VALU_DEP_1)
	v_lshl_add_u32 v10, v5, 2, 0
	ds_load_b32 v11, v10
	s_wait_dscnt 0x0
	s_wait_xcnt 0x0
	v_cmpx_ne_u32_e64 v11, v9
	s_cbranch_execz .LBB57_35
; %bb.37:                               ;   in Loop: Header=BB57_36 Depth=1
	s_mov_b32 s8, 0
	s_branch .LBB57_39
.LBB57_38:                              ;   in Loop: Header=BB57_39 Depth=2
	s_or_b32 exec_lo, exec_lo, s11
	s_delay_alu instid0(SALU_CYCLE_1) | instskip(NEXT) | instid1(SALU_CYCLE_1)
	s_and_b32 s9, exec_lo, s10
	s_or_b32 s8, s9, s8
	s_delay_alu instid0(SALU_CYCLE_1)
	s_and_not1_b32 exec_lo, exec_lo, s8
	s_cbranch_execz .LBB57_34
.LBB57_39:                              ;   Parent Loop BB57_36 Depth=1
                                        ; =>  This Inner Loop Header: Depth=2
	s_mov_b32 s9, 0
	s_mov_b32 s10, exec_lo
	v_cmpx_ne_u32_e64 s28, v11
	s_xor_b32 s10, exec_lo, s10
	s_cbranch_execz .LBB57_41
; %bb.40:                               ;   in Loop: Header=BB57_39 Depth=2
	v_add_nc_u32_e32 v5, 1, v5
	s_mov_b32 s9, exec_lo
                                        ; implicit-def: $vgpr10
	s_delay_alu instid0(VALU_DEP_1)
	v_and_b32_e32 v5, 0x7fff, v5
	s_and_not1_saveexec_b32 s10, s10
	s_cbranch_execz .LBB57_43
	s_branch .LBB57_42
.LBB57_41:                              ;   in Loop: Header=BB57_39 Depth=2
	s_and_not1_saveexec_b32 s10, s10
	s_cbranch_execz .LBB57_43
.LBB57_42:                              ;   in Loop: Header=BB57_39 Depth=2
	v_mov_b32_e32 v11, s28
	s_and_not1_b32 s9, s9, exec_lo
	ds_cmpstore_rtn_b32 v10, v10, v9, v11
	s_wait_dscnt 0x0
	v_cmp_ne_u32_e32 vcc_lo, s28, v10
	s_and_b32 s11, vcc_lo, exec_lo
	s_delay_alu instid0(SALU_CYCLE_1)
	s_or_b32 s9, s9, s11
.LBB57_43:                              ;   in Loop: Header=BB57_39 Depth=2
	s_or_b32 exec_lo, exec_lo, s10
	s_mov_b32 s10, -1
                                        ; implicit-def: $vgpr10
                                        ; implicit-def: $vgpr11
	s_and_saveexec_b32 s11, s9
	s_cbranch_execz .LBB57_38
; %bb.44:                               ;   in Loop: Header=BB57_39 Depth=2
	v_lshl_add_u32 v10, v5, 2, 0
	ds_load_b32 v11, v10
	s_wait_dscnt 0x0
	v_cmp_eq_u32_e32 vcc_lo, v11, v9
	s_or_not1_b32 s10, vcc_lo, exec_lo
	s_branch .LBB57_38
.LBB57_45:
	s_or_b32 exec_lo, exec_lo, s1
.LBB57_46:
	v_mbcnt_lo_u32_b32 v2, -1, 0
	v_lshlrev_b32_e32 v4, 2, v8
	s_add_co_i32 s36, 0, 0x6003c
	s_delay_alu instid0(SALU_CYCLE_1) | instskip(NEXT) | instid1(VALU_DEP_3)
	v_dual_mov_b32 v3, 0 :: v_dual_mov_b32 v9, s36
	v_xor_b32_e32 v2, 31, v2
	s_delay_alu instid0(VALU_DEP_3)
	v_add3_u32 v8, 0x60000, 0, v4
	s_wait_xcnt 0x0
	v_cmp_lt_u32_e64 s0, 63, v0
	v_cmp_lt_u32_e64 s1, 0x7f, v0
	;; [unrolled: 1-line block ×3, first 2 shown]
	v_lshrrev_b32_e64 v2, v2, -1
	v_cmp_lt_u32_e64 s3, 0xff, v0
	v_cmp_lt_u32_e64 s4, 0x13f, v0
	;; [unrolled: 1-line block ×12, first 2 shown]
	s_mov_b32 s16, 0
	s_add_co_i32 s17, 0, 0x60000
	s_add_co_i32 s19, 0, 0x60004
	;; [unrolled: 1-line block ×15, first 2 shown]
	s_wait_dscnt 0x0
	s_barrier_signal -1
	s_barrier_wait -1
	v_cmp_eq_u32_e32 vcc_lo, 0x3ff, v0
	s_branch .LBB57_48
.LBB57_47:                              ;   in Loop: Header=BB57_48 Depth=1
	s_or_b32 exec_lo, exec_lo, s15
	s_wait_dscnt 0x0
	s_barrier_signal -1
	s_barrier_wait -1
	ds_load_b32 v4, v9
	v_add_nc_u32_e32 v7, 0x400, v7
	v_add_nc_u32_e32 v6, 0x2000, v6
	;; [unrolled: 1-line block ×3, first 2 shown]
	s_delay_alu instid0(VALU_DEP_3)
	v_cmp_lt_u32_e64 s15, 0x7bff, v7
	s_or_b32 s16, s15, s16
	s_wait_dscnt 0x0
	v_add_nc_u32_e32 v3, v4, v3
	s_and_not1_b32 exec_lo, exec_lo, s16
	s_cbranch_execz .LBB57_82
.LBB57_48:                              ; =>This Inner Loop Header: Depth=1
	ds_load_b32 v10, v1
	ds_load_2addr_b32 v[4:5], v6 offset1:1
	s_wait_dscnt 0x0
	s_barrier_signal -1
	s_barrier_wait -1
	v_cmp_gt_i32_e64 s15, s28, v10
	s_bcnt1_i32_b32 s41, s15
	s_delay_alu instid0(SALU_CYCLE_1) | instskip(NEXT) | instid1(VALU_DEP_1)
	v_dual_mov_b32 v12, s41 :: v_dual_bitop2_b32 v11, s15, v2 bitop3:0x40
	v_bcnt_u32_b32 v11, v11, 0
	ds_store_b32 v8, v12
	s_wait_dscnt 0x0
	s_barrier_signal -1
	s_barrier_wait -1
	s_and_saveexec_b32 s41, s0
	s_cbranch_execz .LBB57_65
; %bb.49:                               ;   in Loop: Header=BB57_48 Depth=1
	v_mov_b32_e32 v12, s17
	ds_load_b32 v12, v12
	s_wait_dscnt 0x0
	v_add_nc_u32_e32 v11, v12, v11
	s_or_b32 exec_lo, exec_lo, s41
	s_and_saveexec_b32 s41, s1
	s_cbranch_execnz .LBB57_66
.LBB57_50:                              ;   in Loop: Header=BB57_48 Depth=1
	s_or_b32 exec_lo, exec_lo, s41
	s_and_saveexec_b32 s41, s2
	s_cbranch_execz .LBB57_67
.LBB57_51:                              ;   in Loop: Header=BB57_48 Depth=1
	v_mov_b32_e32 v12, s21
	ds_load_b32 v12, v12
	s_wait_dscnt 0x0
	v_add_nc_u32_e32 v11, v12, v11
	s_or_b32 exec_lo, exec_lo, s41
	s_and_saveexec_b32 s41, s3
	s_cbranch_execnz .LBB57_68
.LBB57_52:                              ;   in Loop: Header=BB57_48 Depth=1
	s_or_b32 exec_lo, exec_lo, s41
	s_and_saveexec_b32 s41, s4
	s_cbranch_execz .LBB57_69
.LBB57_53:                              ;   in Loop: Header=BB57_48 Depth=1
	v_mov_b32_e32 v12, s23
	ds_load_b32 v12, v12
	s_wait_dscnt 0x0
	v_add_nc_u32_e32 v11, v12, v11
	s_or_b32 exec_lo, exec_lo, s41
	s_and_saveexec_b32 s41, s5
	s_cbranch_execnz .LBB57_70
.LBB57_54:                              ;   in Loop: Header=BB57_48 Depth=1
	s_or_b32 exec_lo, exec_lo, s41
	s_and_saveexec_b32 s41, s6
	s_cbranch_execz .LBB57_71
.LBB57_55:                              ;   in Loop: Header=BB57_48 Depth=1
	v_mov_b32_e32 v12, s30
	ds_load_b32 v12, v12
	s_wait_dscnt 0x0
	v_add_nc_u32_e32 v11, v12, v11
	s_or_b32 exec_lo, exec_lo, s41
	s_and_saveexec_b32 s41, s7
	s_cbranch_execnz .LBB57_72
.LBB57_56:                              ;   in Loop: Header=BB57_48 Depth=1
	s_or_b32 exec_lo, exec_lo, s41
	s_and_saveexec_b32 s41, s8
	s_cbranch_execz .LBB57_73
.LBB57_57:                              ;   in Loop: Header=BB57_48 Depth=1
	v_mov_b32_e32 v12, s33
	ds_load_b32 v12, v12
	s_wait_dscnt 0x0
	v_add_nc_u32_e32 v11, v12, v11
	s_or_b32 exec_lo, exec_lo, s41
	s_and_saveexec_b32 s41, s9
	s_cbranch_execnz .LBB57_74
.LBB57_58:                              ;   in Loop: Header=BB57_48 Depth=1
	s_or_b32 exec_lo, exec_lo, s41
	s_and_saveexec_b32 s41, s10
	s_cbranch_execz .LBB57_75
.LBB57_59:                              ;   in Loop: Header=BB57_48 Depth=1
	v_mov_b32_e32 v12, s35
	ds_load_b32 v12, v12
	s_wait_dscnt 0x0
	v_add_nc_u32_e32 v11, v12, v11
	s_or_b32 exec_lo, exec_lo, s41
	s_and_saveexec_b32 s41, s11
	s_cbranch_execnz .LBB57_76
.LBB57_60:                              ;   in Loop: Header=BB57_48 Depth=1
	s_or_b32 exec_lo, exec_lo, s41
	s_and_saveexec_b32 s41, s12
	s_cbranch_execz .LBB57_77
.LBB57_61:                              ;   in Loop: Header=BB57_48 Depth=1
	v_mov_b32_e32 v12, s38
	ds_load_b32 v12, v12
	s_wait_dscnt 0x0
	v_add_nc_u32_e32 v11, v12, v11
	s_or_b32 exec_lo, exec_lo, s41
	s_and_saveexec_b32 s41, s13
	s_cbranch_execnz .LBB57_78
.LBB57_62:                              ;   in Loop: Header=BB57_48 Depth=1
	s_or_b32 exec_lo, exec_lo, s41
	s_and_saveexec_b32 s41, s14
	s_cbranch_execz .LBB57_79
.LBB57_63:                              ;   in Loop: Header=BB57_48 Depth=1
	v_mov_b32_e32 v12, s40
	ds_load_b32 v12, v12
	s_wait_dscnt 0x0
	v_add_nc_u32_e32 v11, v12, v11
	s_or_b32 exec_lo, exec_lo, s41
	s_and_saveexec_b32 s41, s15
	s_cbranch_execnz .LBB57_80
.LBB57_64:                              ;   in Loop: Header=BB57_48 Depth=1
	s_or_b32 exec_lo, exec_lo, s41
	s_and_saveexec_b32 s15, vcc_lo
	s_cbranch_execz .LBB57_47
	s_branch .LBB57_81
.LBB57_65:                              ;   in Loop: Header=BB57_48 Depth=1
	s_or_b32 exec_lo, exec_lo, s41
	s_and_saveexec_b32 s41, s1
	s_cbranch_execz .LBB57_50
.LBB57_66:                              ;   in Loop: Header=BB57_48 Depth=1
	v_mov_b32_e32 v12, s19
	ds_load_b32 v12, v12
	s_wait_dscnt 0x0
	v_add_nc_u32_e32 v11, v12, v11
	s_or_b32 exec_lo, exec_lo, s41
	s_and_saveexec_b32 s41, s2
	s_cbranch_execnz .LBB57_51
.LBB57_67:                              ;   in Loop: Header=BB57_48 Depth=1
	s_or_b32 exec_lo, exec_lo, s41
	s_and_saveexec_b32 s41, s3
	s_cbranch_execz .LBB57_52
.LBB57_68:                              ;   in Loop: Header=BB57_48 Depth=1
	v_mov_b32_e32 v12, s22
	ds_load_b32 v12, v12
	s_wait_dscnt 0x0
	v_add_nc_u32_e32 v11, v12, v11
	s_or_b32 exec_lo, exec_lo, s41
	s_and_saveexec_b32 s41, s4
	s_cbranch_execnz .LBB57_53
.LBB57_69:                              ;   in Loop: Header=BB57_48 Depth=1
	s_or_b32 exec_lo, exec_lo, s41
	s_and_saveexec_b32 s41, s5
	s_cbranch_execz .LBB57_54
.LBB57_70:                              ;   in Loop: Header=BB57_48 Depth=1
	v_mov_b32_e32 v12, s29
	ds_load_b32 v12, v12
	s_wait_dscnt 0x0
	v_add_nc_u32_e32 v11, v12, v11
	s_or_b32 exec_lo, exec_lo, s41
	s_and_saveexec_b32 s41, s6
	s_cbranch_execnz .LBB57_55
.LBB57_71:                              ;   in Loop: Header=BB57_48 Depth=1
	s_or_b32 exec_lo, exec_lo, s41
	s_and_saveexec_b32 s41, s7
	s_cbranch_execz .LBB57_56
.LBB57_72:                              ;   in Loop: Header=BB57_48 Depth=1
	v_mov_b32_e32 v12, s31
	ds_load_b32 v12, v12
	s_wait_dscnt 0x0
	v_add_nc_u32_e32 v11, v12, v11
	s_or_b32 exec_lo, exec_lo, s41
	s_and_saveexec_b32 s41, s8
	s_cbranch_execnz .LBB57_57
.LBB57_73:                              ;   in Loop: Header=BB57_48 Depth=1
	s_or_b32 exec_lo, exec_lo, s41
	s_and_saveexec_b32 s41, s9
	s_cbranch_execz .LBB57_58
.LBB57_74:                              ;   in Loop: Header=BB57_48 Depth=1
	v_mov_b32_e32 v12, s34
	ds_load_b32 v12, v12
	s_wait_dscnt 0x0
	v_add_nc_u32_e32 v11, v12, v11
	s_or_b32 exec_lo, exec_lo, s41
	s_and_saveexec_b32 s41, s10
	s_cbranch_execnz .LBB57_59
.LBB57_75:                              ;   in Loop: Header=BB57_48 Depth=1
	s_or_b32 exec_lo, exec_lo, s41
	s_and_saveexec_b32 s41, s11
	s_cbranch_execz .LBB57_60
.LBB57_76:                              ;   in Loop: Header=BB57_48 Depth=1
	v_mov_b32_e32 v12, s37
	ds_load_b32 v12, v12
	s_wait_dscnt 0x0
	v_add_nc_u32_e32 v11, v12, v11
	s_or_b32 exec_lo, exec_lo, s41
	s_and_saveexec_b32 s41, s12
	s_cbranch_execnz .LBB57_61
.LBB57_77:                              ;   in Loop: Header=BB57_48 Depth=1
	s_or_b32 exec_lo, exec_lo, s41
	s_and_saveexec_b32 s41, s13
	s_cbranch_execz .LBB57_62
.LBB57_78:                              ;   in Loop: Header=BB57_48 Depth=1
	v_mov_b32_e32 v12, s39
	ds_load_b32 v12, v12
	s_wait_dscnt 0x0
	v_add_nc_u32_e32 v11, v12, v11
	s_or_b32 exec_lo, exec_lo, s41
	s_and_saveexec_b32 s41, s14
	s_cbranch_execnz .LBB57_63
.LBB57_79:                              ;   in Loop: Header=BB57_48 Depth=1
	s_or_b32 exec_lo, exec_lo, s41
	s_and_saveexec_b32 s41, s15
	s_cbranch_execz .LBB57_64
.LBB57_80:                              ;   in Loop: Header=BB57_48 Depth=1
	s_delay_alu instid0(VALU_DEP_1) | instskip(NEXT) | instid1(VALU_DEP_1)
	v_add3_u32 v12, v3, -1, v11
	v_lshlrev_b32_e32 v13, 3, v12
	v_lshl_add_u32 v12, v12, 2, 0
	s_delay_alu instid0(VALU_DEP_2)
	v_add3_u32 v13, 0, v13, 0x20000
	ds_store_b32 v12, v10
	ds_store_2addr_b32 v13, v4, v5 offset1:1
	s_or_b32 exec_lo, exec_lo, s41
	s_and_saveexec_b32 s15, vcc_lo
	s_cbranch_execz .LBB57_47
.LBB57_81:                              ;   in Loop: Header=BB57_48 Depth=1
	v_mov_b32_e32 v4, s36
	ds_store_b32 v4, v11
	s_branch .LBB57_47
.LBB57_82:
	s_or_b32 exec_lo, exec_lo, s16
	s_wait_kmcnt 0x0
	s_ashr_i32 s21, s20, 31
	s_delay_alu instid0(SALU_CYCLE_1) | instskip(NEXT) | instid1(SALU_CYCLE_1)
	s_lshl_b64 s[0:1], s[20:21], 2
	s_add_nc_u64 s[2:3], s[26:27], s[0:1]
	s_load_b64 s[0:1], s[2:3], 0x0
	s_wait_kmcnt 0x0
	s_sub_co_i32 s4, s1, s0
	s_mov_b32 s1, exec_lo
	v_cmpx_gt_i32_e64 s4, v0
	s_cbranch_execz .LBB57_96
; %bb.83:
	v_sub_co_u32 v1, s1, s4, 2
	s_sub_co_i32 s2, s0, s18
	s_xor_b32 s6, s1, -1
	s_and_b32 s5, s4, -2
	v_readfirstlane_b32 s3, v1
	s_lshr_b32 s0, s3, 1
	s_mov_b32 s3, 0
	s_add_co_i32 s0, s0, 1
	s_mov_b32 s11, s3
	s_and_b32 s1, s0, 7
	s_and_b32 s7, s0, -8
	s_cmp_lg_u32 s1, 0
	v_cmp_lt_u32_e64 s0, 13, v1
	s_cselect_b32 s8, -1, 0
	s_cmp_lg_u32 s4, s5
	s_cselect_b32 s9, -1, 0
	s_lshl_b32 s10, s1, 3
	s_branch .LBB57_85
.LBB57_84:                              ;   in Loop: Header=BB57_85 Depth=1
	v_add_nc_u32_e32 v0, 0x400, v0
	s_wait_dscnt 0x0
	global_store_b64 v4, v[2:3], s[24:25] scale_offset
	v_cmp_le_i32_e32 vcc_lo, s4, v0
	s_or_b32 s11, vcc_lo, s11
	s_wait_xcnt 0x0
	s_and_not1_b32 exec_lo, exec_lo, s11
	s_cbranch_execz .LBB57_96
.LBB57_85:                              ; =>This Loop Header: Depth=1
                                        ;     Child Loop BB57_88 Depth 2
                                        ;     Child Loop BB57_91 Depth 2
	;; [unrolled: 1-line block ×3, first 2 shown]
	v_dual_mov_b32 v4, s2 :: v_dual_lshlrev_b32 v1, 3, v0
	v_lshl_add_u32 v2, v0, 2, 0
	s_and_not1_b32 vcc_lo, exec_lo, s6
	s_mov_b32 s1, 0
	s_delay_alu instid0(VALU_DEP_2)
	v_add3_u32 v3, 0, v1, 0x20000
	s_mov_b32 s12, -1
	ds_load_b32 v1, v2
	ds_load_2addr_b32 v[2:3], v3 offset1:1
	s_cbranch_vccnz .LBB57_93
; %bb.86:                               ;   in Loop: Header=BB57_85 Depth=1
	v_mov_b64_e32 v[4:5], s[2:3]
	s_and_not1_b32 vcc_lo, exec_lo, s0
	s_mov_b32 s12, 0
	s_cbranch_vccnz .LBB57_89
; %bb.87:                               ;   in Loop: Header=BB57_85 Depth=1
	v_dual_mov_b32 v4, s2 :: v_dual_mov_b32 v5, 0
	s_mov_b32 s13, 0
	s_mov_b32 s14, s7
.LBB57_88:                              ;   Parent Loop BB57_85 Depth=1
                                        ; =>  This Inner Loop Header: Depth=2
	v_mov_b32_e32 v20, s13
	s_add_co_i32 s14, s14, -8
	s_add_co_i32 s12, s12, 16
	s_add_co_i32 s13, s13, 64
	s_cmp_lg_u32 s14, 0
	ds_load_2addr_b32 v[6:7], v20 offset1:1
	ds_load_2addr_b32 v[8:9], v20 offset0:2 offset1:3
	ds_load_2addr_b32 v[10:11], v20 offset0:4 offset1:5
	;; [unrolled: 1-line block ×7, first 2 shown]
	s_wait_dscnt 0x7
	v_cmp_gt_i32_e32 vcc_lo, v1, v7
	s_wait_dscnt 0x5
	v_cmp_gt_i32_e64 s1, v1, v10
	v_cndmask_b32_e64 v7, 0, 1, vcc_lo
	v_cmp_gt_i32_e32 vcc_lo, v1, v6
	v_cndmask_b32_e64 v6, 0, 1, vcc_lo
	v_cmp_gt_i32_e32 vcc_lo, v1, v8
	v_cndmask_b32_e64 v8, 0, 1, s1
	v_cmp_gt_i32_e64 s1, v1, v11
	s_delay_alu instid0(VALU_DEP_4) | instskip(NEXT) | instid1(VALU_DEP_2)
	v_add_co_ci_u32_e64 v4, null, v4, v6, vcc_lo
	v_cndmask_b32_e64 v10, 0, 1, s1
	s_wait_dscnt 0x4
	v_cmp_gt_i32_e64 s1, v1, v13
	s_wait_dscnt 0x2
	v_cmp_gt_i32_e32 vcc_lo, v1, v16
	s_delay_alu instid0(VALU_DEP_2) | instskip(SKIP_4) | instid1(VALU_DEP_3)
	v_cndmask_b32_e64 v11, 0, 1, s1
	v_cmp_gt_i32_e64 s1, v1, v12
	v_add_co_ci_u32_e64 v4, null, v4, v8, vcc_lo
	s_wait_dscnt 0x1
	v_cmp_gt_i32_e32 vcc_lo, v1, v18
	v_cndmask_b32_e64 v12, 0, 1, s1
	v_cmp_gt_i32_e64 s1, v1, v14
	s_delay_alu instid0(VALU_DEP_2) | instskip(NEXT) | instid1(VALU_DEP_2)
	v_add_co_ci_u32_e64 v4, null, v4, v12, vcc_lo
	v_cndmask_b32_e64 v13, 0, 1, s1
	v_cmp_gt_i32_e64 s1, v1, v15
	s_wait_dscnt 0x0
	v_cmp_gt_i32_e32 vcc_lo, v1, v20
	s_delay_alu instid0(VALU_DEP_2) | instskip(SKIP_2) | instid1(VALU_DEP_2)
	v_cndmask_b32_e64 v14, 0, 1, s1
	v_cmp_gt_i32_e64 s1, v1, v9
	v_add_co_ci_u32_e64 v4, null, v4, v13, vcc_lo
	v_add_co_ci_u32_e64 v5, null, v5, v7, s1
	v_cmp_gt_i32_e64 s1, v1, v17
	s_delay_alu instid0(VALU_DEP_1) | instskip(SKIP_1) | instid1(VALU_DEP_1)
	v_add_co_ci_u32_e64 v5, null, v5, v10, s1
	v_cmp_gt_i32_e64 s1, v1, v19
	v_add_co_ci_u32_e64 v5, null, v5, v11, s1
	v_cmp_gt_i32_e64 s1, v1, v21
	s_delay_alu instid0(VALU_DEP_1)
	v_add_co_ci_u32_e64 v5, null, v5, v14, s1
	s_cbranch_scc1 .LBB57_88
.LBB57_89:                              ;   in Loop: Header=BB57_85 Depth=1
	s_and_not1_b32 vcc_lo, exec_lo, s8
	s_cbranch_vccnz .LBB57_92
; %bb.90:                               ;   in Loop: Header=BB57_85 Depth=1
	s_lshl_b32 s1, s12, 2
	s_mov_b32 s12, s10
	s_add_co_i32 s1, s1, 0
.LBB57_91:                              ;   Parent Loop BB57_85 Depth=1
                                        ; =>  This Inner Loop Header: Depth=2
	s_delay_alu instid0(SALU_CYCLE_1)
	v_mov_b32_e32 v6, s1
	s_add_co_i32 s12, s12, -8
	s_add_co_i32 s1, s1, 8
	s_cmp_lg_u32 s12, 0
	ds_load_2addr_b32 v[6:7], v6 offset1:1
	s_wait_dscnt 0x0
	v_cmp_gt_i32_e32 vcc_lo, v1, v7
	v_add_co_ci_u32_e64 v5, null, 0, v5, vcc_lo
	v_cmp_gt_i32_e32 vcc_lo, v1, v6
	v_add_co_ci_u32_e64 v4, null, 0, v4, vcc_lo
	s_cbranch_scc1 .LBB57_91
.LBB57_92:                              ;   in Loop: Header=BB57_85 Depth=1
	s_delay_alu instid0(VALU_DEP_1)
	v_add_nc_u32_e32 v4, v4, v5
	s_mov_b32 s1, s5
	s_mov_b32 s12, s9
.LBB57_93:                              ;   in Loop: Header=BB57_85 Depth=1
	s_delay_alu instid0(SALU_CYCLE_1)
	s_and_b32 vcc_lo, exec_lo, s12
	s_cbranch_vccz .LBB57_84
; %bb.94:                               ;   in Loop: Header=BB57_85 Depth=1
	s_lshl_b32 s12, s1, 2
	s_delay_alu instid0(SALU_CYCLE_1)
	s_add_co_i32 s12, s12, 0
.LBB57_95:                              ;   Parent Loop BB57_85 Depth=1
                                        ; =>  This Inner Loop Header: Depth=2
	s_delay_alu instid0(SALU_CYCLE_1)
	v_mov_b32_e32 v5, s12
	s_add_co_i32 s1, s1, 1
	s_add_co_i32 s12, s12, 4
	s_cmp_ge_i32 s1, s4
	ds_load_b32 v5, v5
	s_wait_dscnt 0x0
	v_cmp_gt_i32_e32 vcc_lo, v1, v5
	v_add_co_ci_u32_e64 v4, null, 0, v4, vcc_lo
	s_cbranch_scc0 .LBB57_95
	s_branch .LBB57_84
.LBB57_96:
	s_endpgm
	.section	.rodata,"a",@progbits
	.p2align	6, 0x0
	.amdhsa_kernel _ZN9rocsparseL41csrgemm_numeric_fill_block_per_row_kernelILj1024ELj64ELj32768ELj137ELj64Eii21rocsparse_complex_numIfEEEvT5_PKS3_S5_NS_24const_host_device_scalarIT6_EEPKT4_S5_PKS7_SB_S5_SD_S8_SB_S5_SD_SB_S5_PS7_21rocsparse_index_base_SF_SF_SF_bbb
		.amdhsa_group_segment_fixed_size 0
		.amdhsa_private_segment_fixed_size 0
		.amdhsa_kernarg_size 156
		.amdhsa_user_sgpr_count 2
		.amdhsa_user_sgpr_dispatch_ptr 0
		.amdhsa_user_sgpr_queue_ptr 0
		.amdhsa_user_sgpr_kernarg_segment_ptr 1
		.amdhsa_user_sgpr_dispatch_id 0
		.amdhsa_user_sgpr_kernarg_preload_length 0
		.amdhsa_user_sgpr_kernarg_preload_offset 0
		.amdhsa_user_sgpr_private_segment_size 0
		.amdhsa_wavefront_size32 1
		.amdhsa_uses_dynamic_stack 0
		.amdhsa_enable_private_segment 0
		.amdhsa_system_sgpr_workgroup_id_x 1
		.amdhsa_system_sgpr_workgroup_id_y 0
		.amdhsa_system_sgpr_workgroup_id_z 0
		.amdhsa_system_sgpr_workgroup_info 0
		.amdhsa_system_vgpr_workitem_id 0
		.amdhsa_next_free_vgpr 22
		.amdhsa_next_free_sgpr 42
		.amdhsa_named_barrier_count 0
		.amdhsa_reserve_vcc 1
		.amdhsa_float_round_mode_32 0
		.amdhsa_float_round_mode_16_64 0
		.amdhsa_float_denorm_mode_32 3
		.amdhsa_float_denorm_mode_16_64 3
		.amdhsa_fp16_overflow 0
		.amdhsa_memory_ordered 1
		.amdhsa_forward_progress 1
		.amdhsa_inst_pref_size 30
		.amdhsa_round_robin_scheduling 0
		.amdhsa_exception_fp_ieee_invalid_op 0
		.amdhsa_exception_fp_denorm_src 0
		.amdhsa_exception_fp_ieee_div_zero 0
		.amdhsa_exception_fp_ieee_overflow 0
		.amdhsa_exception_fp_ieee_underflow 0
		.amdhsa_exception_fp_ieee_inexact 0
		.amdhsa_exception_int_div_zero 0
	.end_amdhsa_kernel
	.section	.text._ZN9rocsparseL41csrgemm_numeric_fill_block_per_row_kernelILj1024ELj64ELj32768ELj137ELj64Eii21rocsparse_complex_numIfEEEvT5_PKS3_S5_NS_24const_host_device_scalarIT6_EEPKT4_S5_PKS7_SB_S5_SD_S8_SB_S5_SD_SB_S5_PS7_21rocsparse_index_base_SF_SF_SF_bbb,"axG",@progbits,_ZN9rocsparseL41csrgemm_numeric_fill_block_per_row_kernelILj1024ELj64ELj32768ELj137ELj64Eii21rocsparse_complex_numIfEEEvT5_PKS3_S5_NS_24const_host_device_scalarIT6_EEPKT4_S5_PKS7_SB_S5_SD_S8_SB_S5_SD_SB_S5_PS7_21rocsparse_index_base_SF_SF_SF_bbb,comdat
.Lfunc_end57:
	.size	_ZN9rocsparseL41csrgemm_numeric_fill_block_per_row_kernelILj1024ELj64ELj32768ELj137ELj64Eii21rocsparse_complex_numIfEEEvT5_PKS3_S5_NS_24const_host_device_scalarIT6_EEPKT4_S5_PKS7_SB_S5_SD_S8_SB_S5_SD_SB_S5_PS7_21rocsparse_index_base_SF_SF_SF_bbb, .Lfunc_end57-_ZN9rocsparseL41csrgemm_numeric_fill_block_per_row_kernelILj1024ELj64ELj32768ELj137ELj64Eii21rocsparse_complex_numIfEEEvT5_PKS3_S5_NS_24const_host_device_scalarIT6_EEPKT4_S5_PKS7_SB_S5_SD_S8_SB_S5_SD_SB_S5_PS7_21rocsparse_index_base_SF_SF_SF_bbb
                                        ; -- End function
	.set _ZN9rocsparseL41csrgemm_numeric_fill_block_per_row_kernelILj1024ELj64ELj32768ELj137ELj64Eii21rocsparse_complex_numIfEEEvT5_PKS3_S5_NS_24const_host_device_scalarIT6_EEPKT4_S5_PKS7_SB_S5_SD_S8_SB_S5_SD_SB_S5_PS7_21rocsparse_index_base_SF_SF_SF_bbb.num_vgpr, 22
	.set _ZN9rocsparseL41csrgemm_numeric_fill_block_per_row_kernelILj1024ELj64ELj32768ELj137ELj64Eii21rocsparse_complex_numIfEEEvT5_PKS3_S5_NS_24const_host_device_scalarIT6_EEPKT4_S5_PKS7_SB_S5_SD_S8_SB_S5_SD_SB_S5_PS7_21rocsparse_index_base_SF_SF_SF_bbb.num_agpr, 0
	.set _ZN9rocsparseL41csrgemm_numeric_fill_block_per_row_kernelILj1024ELj64ELj32768ELj137ELj64Eii21rocsparse_complex_numIfEEEvT5_PKS3_S5_NS_24const_host_device_scalarIT6_EEPKT4_S5_PKS7_SB_S5_SD_S8_SB_S5_SD_SB_S5_PS7_21rocsparse_index_base_SF_SF_SF_bbb.numbered_sgpr, 42
	.set _ZN9rocsparseL41csrgemm_numeric_fill_block_per_row_kernelILj1024ELj64ELj32768ELj137ELj64Eii21rocsparse_complex_numIfEEEvT5_PKS3_S5_NS_24const_host_device_scalarIT6_EEPKT4_S5_PKS7_SB_S5_SD_S8_SB_S5_SD_SB_S5_PS7_21rocsparse_index_base_SF_SF_SF_bbb.num_named_barrier, 0
	.set _ZN9rocsparseL41csrgemm_numeric_fill_block_per_row_kernelILj1024ELj64ELj32768ELj137ELj64Eii21rocsparse_complex_numIfEEEvT5_PKS3_S5_NS_24const_host_device_scalarIT6_EEPKT4_S5_PKS7_SB_S5_SD_S8_SB_S5_SD_SB_S5_PS7_21rocsparse_index_base_SF_SF_SF_bbb.private_seg_size, 0
	.set _ZN9rocsparseL41csrgemm_numeric_fill_block_per_row_kernelILj1024ELj64ELj32768ELj137ELj64Eii21rocsparse_complex_numIfEEEvT5_PKS3_S5_NS_24const_host_device_scalarIT6_EEPKT4_S5_PKS7_SB_S5_SD_S8_SB_S5_SD_SB_S5_PS7_21rocsparse_index_base_SF_SF_SF_bbb.uses_vcc, 1
	.set _ZN9rocsparseL41csrgemm_numeric_fill_block_per_row_kernelILj1024ELj64ELj32768ELj137ELj64Eii21rocsparse_complex_numIfEEEvT5_PKS3_S5_NS_24const_host_device_scalarIT6_EEPKT4_S5_PKS7_SB_S5_SD_S8_SB_S5_SD_SB_S5_PS7_21rocsparse_index_base_SF_SF_SF_bbb.uses_flat_scratch, 0
	.set _ZN9rocsparseL41csrgemm_numeric_fill_block_per_row_kernelILj1024ELj64ELj32768ELj137ELj64Eii21rocsparse_complex_numIfEEEvT5_PKS3_S5_NS_24const_host_device_scalarIT6_EEPKT4_S5_PKS7_SB_S5_SD_S8_SB_S5_SD_SB_S5_PS7_21rocsparse_index_base_SF_SF_SF_bbb.has_dyn_sized_stack, 0
	.set _ZN9rocsparseL41csrgemm_numeric_fill_block_per_row_kernelILj1024ELj64ELj32768ELj137ELj64Eii21rocsparse_complex_numIfEEEvT5_PKS3_S5_NS_24const_host_device_scalarIT6_EEPKT4_S5_PKS7_SB_S5_SD_S8_SB_S5_SD_SB_S5_PS7_21rocsparse_index_base_SF_SF_SF_bbb.has_recursion, 0
	.set _ZN9rocsparseL41csrgemm_numeric_fill_block_per_row_kernelILj1024ELj64ELj32768ELj137ELj64Eii21rocsparse_complex_numIfEEEvT5_PKS3_S5_NS_24const_host_device_scalarIT6_EEPKT4_S5_PKS7_SB_S5_SD_S8_SB_S5_SD_SB_S5_PS7_21rocsparse_index_base_SF_SF_SF_bbb.has_indirect_call, 0
	.section	.AMDGPU.csdata,"",@progbits
; Kernel info:
; codeLenInByte = 3824
; TotalNumSgprs: 44
; NumVgprs: 22
; ScratchSize: 0
; MemoryBound: 0
; FloatMode: 240
; IeeeMode: 1
; LDSByteSize: 0 bytes/workgroup (compile time only)
; SGPRBlocks: 0
; VGPRBlocks: 1
; NumSGPRsForWavesPerEU: 44
; NumVGPRsForWavesPerEU: 22
; NamedBarCnt: 0
; Occupancy: 16
; WaveLimiterHint : 1
; COMPUTE_PGM_RSRC2:SCRATCH_EN: 0
; COMPUTE_PGM_RSRC2:USER_SGPR: 2
; COMPUTE_PGM_RSRC2:TRAP_HANDLER: 0
; COMPUTE_PGM_RSRC2:TGID_X_EN: 1
; COMPUTE_PGM_RSRC2:TGID_Y_EN: 0
; COMPUTE_PGM_RSRC2:TGID_Z_EN: 0
; COMPUTE_PGM_RSRC2:TIDIG_COMP_CNT: 0
	.section	.text._ZN9rocsparseL51csrgemm_numeric_fill_block_per_row_multipass_kernelILj512ELj16ELj2048ELj32Eii21rocsparse_complex_numIfEEEvT4_PKS3_S5_NS_24const_host_device_scalarIT5_EEPKT3_S5_PKS7_SB_S5_SD_S8_SB_S5_SD_SB_S5_PS7_PS9_21rocsparse_index_base_SG_SG_SG_bbb,"axG",@progbits,_ZN9rocsparseL51csrgemm_numeric_fill_block_per_row_multipass_kernelILj512ELj16ELj2048ELj32Eii21rocsparse_complex_numIfEEEvT4_PKS3_S5_NS_24const_host_device_scalarIT5_EEPKT3_S5_PKS7_SB_S5_SD_S8_SB_S5_SD_SB_S5_PS7_PS9_21rocsparse_index_base_SG_SG_SG_bbb,comdat
	.globl	_ZN9rocsparseL51csrgemm_numeric_fill_block_per_row_multipass_kernelILj512ELj16ELj2048ELj32Eii21rocsparse_complex_numIfEEEvT4_PKS3_S5_NS_24const_host_device_scalarIT5_EEPKT3_S5_PKS7_SB_S5_SD_S8_SB_S5_SD_SB_S5_PS7_PS9_21rocsparse_index_base_SG_SG_SG_bbb ; -- Begin function _ZN9rocsparseL51csrgemm_numeric_fill_block_per_row_multipass_kernelILj512ELj16ELj2048ELj32Eii21rocsparse_complex_numIfEEEvT4_PKS3_S5_NS_24const_host_device_scalarIT5_EEPKT3_S5_PKS7_SB_S5_SD_S8_SB_S5_SD_SB_S5_PS7_PS9_21rocsparse_index_base_SG_SG_SG_bbb
	.p2align	8
	.type	_ZN9rocsparseL51csrgemm_numeric_fill_block_per_row_multipass_kernelILj512ELj16ELj2048ELj32Eii21rocsparse_complex_numIfEEEvT4_PKS3_S5_NS_24const_host_device_scalarIT5_EEPKT3_S5_PKS7_SB_S5_SD_S8_SB_S5_SD_SB_S5_PS7_PS9_21rocsparse_index_base_SG_SG_SG_bbb,@function
_ZN9rocsparseL51csrgemm_numeric_fill_block_per_row_multipass_kernelILj512ELj16ELj2048ELj32Eii21rocsparse_complex_numIfEEEvT4_PKS3_S5_NS_24const_host_device_scalarIT5_EEPKT3_S5_PKS7_SB_S5_SD_S8_SB_S5_SD_SB_S5_PS7_PS9_21rocsparse_index_base_SG_SG_SG_bbb: ; @_ZN9rocsparseL51csrgemm_numeric_fill_block_per_row_multipass_kernelILj512ELj16ELj2048ELj32Eii21rocsparse_complex_numIfEEEvT4_PKS3_S5_NS_24const_host_device_scalarIT5_EEPKT3_S5_PKS7_SB_S5_SD_S8_SB_S5_SD_SB_S5_PS7_PS9_21rocsparse_index_base_SG_SG_SG_bbb
; %bb.0:
	s_clause 0x6
	s_load_b32 s10, s[0:1], 0xa0
	s_load_b128 s[36:39], s[0:1], 0x90
	s_load_b128 s[4:7], s[0:1], 0x8
	s_load_b256 s[24:31], s[0:1], 0x28
	s_load_b64 s[22:23], s[0:1], 0x80
	s_load_b64 s[34:35], s[0:1], 0x60
	;; [unrolled: 1-line block ×3, first 2 shown]
	s_mov_b32 s21, 0
	s_mov_b32 s33, 0
	s_wait_kmcnt 0x0
	s_bitcmp1_b32 s10, 0
	s_cselect_b32 s53, -1, 0
	s_bitcmp1_b32 s10, 16
	s_cselect_b32 s8, -1, 0
	s_delay_alu instid0(SALU_CYCLE_1)
	s_xor_b32 s11, s8, -1
	s_bitcmp0_b32 s10, 0
	s_cbranch_scc1 .LBB58_5
; %bb.1:
	s_load_b64 s[20:21], s[0:1], 0x18
	s_and_not1_b32 vcc_lo, exec_lo, s11
	s_wait_kmcnt 0x0
	s_mov_b32 s33, s20
	s_cbranch_vccnz .LBB58_3
; %bb.2:
	s_load_b32 s33, s[20:21], 0x0
.LBB58_3:
	s_and_not1_b32 vcc_lo, exec_lo, s11
	s_cbranch_vccnz .LBB58_5
; %bb.4:
	s_wait_xcnt 0x0
	s_load_b32 s21, s[20:21], 0x4
.LBB58_5:
	s_clause 0x4
	s_load_b64 s[44:45], s[0:1], 0x88
	s_load_b128 s[40:43], s[0:1], 0x68
	s_load_b64 s[18:19], s[0:1], 0x58
	s_load_b64 s[46:47], s[0:1], 0x48
	;; [unrolled: 1-line block ×3, first 2 shown]
	s_bitcmp1_b32 s10, 8
	s_mov_b32 s49, 0
	s_cselect_b32 s48, -1, 0
	s_bfe_u32 s10, s10, 0x10008
	s_mov_b32 s50, 0
	s_cmp_eq_u32 s10, 0
	s_cbranch_scc1 .LBB58_11
; %bb.6:
	v_cndmask_b32_e64 v1, 0, 1, s11
	s_and_not1_b32 vcc_lo, exec_lo, s11
	s_mov_b32 s49, s2
	s_cbranch_vccnz .LBB58_8
; %bb.7:
	s_load_b32 s49, s[2:3], 0x0
.LBB58_8:
	s_delay_alu instid0(VALU_DEP_1)
	v_cmp_ne_u32_e32 vcc_lo, 1, v1
	s_cbranch_vccnz .LBB58_10
; %bb.9:
	s_wait_xcnt 0x0
	s_load_b32 s3, s[2:3], 0x4
.LBB58_10:
	s_wait_kmcnt 0x0
	s_mov_b32 s50, s3
.LBB58_11:
	s_load_b32 s2, s[4:5], 0x0
	s_bfe_u32 s3, ttmp6, 0x4000c
	s_wait_xcnt 0x0
	s_and_b32 s4, ttmp6, 15
	s_add_co_i32 s3, s3, 1
	s_getreg_b32 s5, hwreg(HW_REG_IB_STS2, 6, 4)
	s_mul_i32 s3, ttmp9, s3
	s_mov_b32 s51, 0
	s_add_co_i32 s4, s4, s3
	s_cmp_eq_u32 s5, 0
	s_cselect_b32 s3, ttmp9, s4
	s_and_not1_b32 vcc_lo, exec_lo, s53
	s_mov_b32 s4, 0
	s_wait_kmcnt 0x0
	s_add_co_i32 s2, s2, s3
	s_load_b32 s2, s[6:7], s2 offset:0x0 scale_offset
	s_cbranch_vccz .LBB58_14
; %bb.12:
	s_and_not1_b32 vcc_lo, exec_lo, s53
	s_cbranch_vccz .LBB58_15
.LBB58_13:
	s_load_b32 s52, s[0:1], 0x0
	s_wait_kmcnt 0x0
	s_cmp_lt_i32 s52, 1
	s_cbranch_scc0 .LBB58_16
	s_branch .LBB58_69
.LBB58_14:
	s_wait_kmcnt 0x0
	s_ashr_i32 s3, s2, 31
	s_delay_alu instid0(SALU_CYCLE_1) | instskip(NEXT) | instid1(SALU_CYCLE_1)
	s_lshl_b64 s[4:5], s[2:3], 2
	s_add_nc_u64 s[4:5], s[8:9], s[4:5]
	s_load_b32 s3, s[4:5], 0x0
	s_wait_kmcnt 0x0
	s_sub_co_i32 s4, s3, s36
	s_and_not1_b32 vcc_lo, exec_lo, s53
	s_cbranch_vccnz .LBB58_13
.LBB58_15:
	s_wait_kmcnt 0x0
	s_ashr_i32 s3, s2, 31
	s_delay_alu instid0(SALU_CYCLE_1) | instskip(NEXT) | instid1(SALU_CYCLE_1)
	s_lshl_b64 s[6:7], s[2:3], 2
	s_add_nc_u64 s[6:7], s[8:9], s[6:7]
	s_load_b32 s3, s[6:7], 0x4
	s_wait_kmcnt 0x0
	s_sub_co_i32 s51, s3, s36
	s_load_b32 s52, s[0:1], 0x0
	s_wait_kmcnt 0x0
	s_cmp_lt_i32 s52, 1
	s_cbranch_scc1 .LBB58_69
.LBB58_16:
	v_dual_lshrrev_b32 v1, 4, v0 :: v_dual_bitop2_b32 v3, 15, v0 bitop3:0x40
	v_mbcnt_lo_u32_b32 v2, -1, 0
	s_ashr_i32 s3, s2, 31
	v_subrev_nc_u32_e32 v12, s39, v0
	s_lshl_b64 s[54:55], s[2:3], 2
	s_delay_alu instid0(VALU_DEP_2)
	v_dual_add_nc_u32 v13, s4, v1 :: v_dual_bitop2_b32 v1, 8, v2 bitop3:0x14
	s_add_nc_u64 s[0:1], s[42:43], s[54:55]
	v_cmp_gt_u32_e64 s4, 64, v0
	s_load_b32 s3, s[0:1], 0x0
	s_wait_xcnt 0x0
	v_cmp_eq_u32_e64 s0, 0, v0
	v_cmp_gt_i32_e64 s2, 32, v1
	v_xor_b32_e32 v4, 4, v2
	v_cmp_gt_i32_e32 vcc_lo, s51, v13
	v_cmp_gt_u32_e64 s5, 0x60, v0
	v_cmp_gt_u32_e64 s6, 0x80, v0
	v_cndmask_b32_e64 v1, v2, v1, s2
	v_cmp_gt_i32_e64 s2, 32, v4
	v_xor_b32_e32 v5, 2, v2
	v_xor_b32_e32 v7, 31, v2
	v_cmp_gt_u32_e64 s7, 0xa0, v0
	s_delay_alu instid0(VALU_DEP_4) | instskip(NEXT) | instid1(VALU_DEP_4)
	v_dual_lshlrev_b32 v14, 2, v1 :: v_dual_cndmask_b32 v4, v2, v4, s2
	v_cmp_gt_i32_e64 s2, 32, v5
	v_xor_b32_e32 v6, 1, v2
	v_cmp_gt_u32_e64 s8, 0xc0, v0
	v_cmp_gt_u32_e64 s9, 0xe0, v0
	;; [unrolled: 1-line block ×3, first 2 shown]
	v_cndmask_b32_e64 v5, v2, v5, s2
	v_cmp_gt_i32_e64 s2, 32, v6
	v_lshrrev_b32_e32 v1, 3, v0
	s_wait_kmcnt 0x0
	s_sub_co_i32 s20, s3, s38
	v_cmp_gt_u32_e64 s3, 32, v0
	v_dual_lshlrev_b32 v16, 2, v5 :: v_dual_cndmask_b32 v2, v2, v6, s2
	v_dual_lshlrev_b32 v15, 2, v4 :: v_dual_bitop2_b32 v19, 60, v1 bitop3:0x40
	v_lshlrev_b32_e32 v21, 3, v0
	v_cmp_eq_u32_e64 s2, 0x1ff, v0
	v_cmp_gt_u32_e64 s11, 0x120, v0
	v_cmp_gt_u32_e64 s12, 0x140, v0
	;; [unrolled: 1-line block ×7, first 2 shown]
	v_or_b32_e32 v20, 0xfffffe00, v0
	v_mov_b64_e32 v[0:1], 0
	v_cmp_eq_u32_e64 s1, 15, v3
	v_dual_mov_b32 v18, 0 :: v_dual_lshlrev_b32 v17, 2, v2
	v_lshrrev_b32_e64 v2, v7, -1
	v_dual_mov_b32 v25, 0x800 :: v_dual_mov_b32 v22, s20
	v_dual_mov_b32 v23, 1 :: v_dual_mov_b32 v24, 0
	s_add_nc_u64 s[42:43], s[18:19], s[54:55]
	s_and_b32 s38, s53, vcc_lo
	s_branch .LBB58_18
.LBB58_17:                              ;   in Loop: Header=BB58_18 Depth=1
	s_or_b32 exec_lo, exec_lo, s18
	ds_load_b32 v24, v18 offset:18432
	s_wait_dscnt 0x0
	s_barrier_signal -1
	s_barrier_wait -1
	v_cmp_le_i32_e32 vcc_lo, s52, v24
	v_add_nc_u32_e32 v25, 0x800, v24
	s_cbranch_vccnz .LBB58_69
.LBB58_18:                              ; =>This Loop Header: Depth=1
                                        ;     Child Loop BB58_19 Depth 2
                                        ;     Child Loop BB58_25 Depth 2
                                        ;       Child Loop BB58_31 Depth 3
                                        ;     Child Loop BB58_48 Depth 2
                                        ;     Child Loop BB58_60 Depth 2
	;; [unrolled: 1-line block ×3, first 2 shown]
	v_dual_mov_b32 v4, v21 :: v_dual_mov_b32 v5, v20
	s_mov_b32 s18, 0
.LBB58_19:                              ;   Parent Loop BB58_18 Depth=1
                                        ; =>  This Inner Loop Header: Depth=2
	ds_store_b8 v5, v18 offset:16896
	v_add_nc_u32_e32 v5, 0x200, v5
	ds_store_b64 v4, v[0:1]
	v_add_nc_u32_e32 v4, 0x1000, v4
	v_cmp_lt_u32_e32 vcc_lo, 0x5ff, v5
	s_or_b32 s18, vcc_lo, s18
	s_delay_alu instid0(SALU_CYCLE_1)
	s_and_not1_b32 exec_lo, exec_lo, s18
	s_cbranch_execnz .LBB58_19
; %bb.20:                               ;   in Loop: Header=BB58_18 Depth=1
	s_or_b32 exec_lo, exec_lo, s18
	s_and_saveexec_b32 s18, s0
; %bb.21:                               ;   in Loop: Header=BB58_18 Depth=1
	v_mov_b32_e32 v4, s52
	ds_store_b32 v18, v4 offset:18432
; %bb.22:                               ;   in Loop: Header=BB58_18 Depth=1
	s_or_b32 exec_lo, exec_lo, s18
	v_mov_b32_e32 v26, s52
	s_wait_dscnt 0x0
	s_barrier_signal -1
	s_barrier_wait -1
	s_and_saveexec_b32 s53, s38
	s_cbranch_execz .LBB58_44
; %bb.23:                               ;   in Loop: Header=BB58_18 Depth=1
	v_cmp_ne_u32_e64 s18, 0, v24
	v_dual_mov_b32 v26, s52 :: v_dual_mov_b32 v4, v13
	s_mov_b32 s54, 0
	s_branch .LBB58_25
.LBB58_24:                              ;   in Loop: Header=BB58_25 Depth=2
	s_wait_xcnt 0x0
	s_or_b32 exec_lo, exec_lo, s19
	v_add_nc_u32_e32 v4, 32, v4
	s_delay_alu instid0(VALU_DEP_1) | instskip(SKIP_1) | instid1(SALU_CYCLE_1)
	v_cmp_le_i32_e32 vcc_lo, s51, v4
	s_or_b32 s54, vcc_lo, s54
	s_and_not1_b32 exec_lo, exec_lo, s54
	s_cbranch_execz .LBB58_43
.LBB58_25:                              ;   Parent Loop BB58_18 Depth=1
                                        ; =>  This Loop Header: Depth=2
                                        ;       Child Loop BB58_31 Depth 3
	global_load_b32 v6, v4, s[24:25] scale_offset
	s_wait_dscnt 0x0
	global_load_b64 v[8:9], v4, s[26:27] scale_offset
	s_and_b32 vcc_lo, exec_lo, s18
	s_wait_loadcnt 0x1
	v_subrev_nc_u32_e32 v10, s36, v6
	s_delay_alu instid0(VALU_DEP_1) | instskip(NEXT) | instid1(VALU_DEP_1)
	v_dual_ashrrev_i32 v5, 31, v4 :: v_dual_ashrrev_i32 v11, 31, v10
	v_lshl_add_u64 v[6:7], v[4:5], 2, s[44:45]
	s_cbranch_vccz .LBB58_42
; %bb.26:                               ;   in Loop: Header=BB58_25 Depth=2
	global_load_b32 v5, v[6:7], off
	s_cbranch_execnz .LBB58_28
.LBB58_27:                              ;   in Loop: Header=BB58_25 Depth=2
	s_wait_loadcnt 0x0
	global_load_b32 v5, v10, s[28:29] scale_offset
	s_wait_loadcnt 0x0
	v_subrev_nc_u32_e32 v5, s37, v5
.LBB58_28:                              ;   in Loop: Header=BB58_25 Depth=2
	s_wait_xcnt 0x0
	v_lshl_add_u64 v[10:11], v[10:11], 2, s[28:29]
	s_wait_loadcnt 0x0
	s_delay_alu instid0(VALU_DEP_2)
	v_add_nc_u32_e32 v5, v5, v3
	s_mov_b32 s55, exec_lo
	global_load_b32 v10, v[10:11], off offset:4
	s_wait_loadcnt 0x0
	s_wait_xcnt 0x0
	v_subrev_nc_u32_e32 v10, s37, v10
	s_delay_alu instid0(VALU_DEP_1)
	v_cmpx_lt_i32_e64 v5, v10
	s_cbranch_execz .LBB58_40
; %bb.29:                               ;   in Loop: Header=BB58_25 Depth=2
	v_mul_f32_e64 v11, v9, -s21
	v_mul_f32_e32 v27, s33, v9
	s_mov_b32 s57, 0
                                        ; implicit-def: $sgpr56
                                        ; implicit-def: $sgpr58
	s_delay_alu instid0(VALU_DEP_2) | instskip(NEXT) | instid1(VALU_DEP_2)
	v_dual_mov_b32 v9, v5 :: v_dual_fmac_f32 v11, s33, v8
	v_fmac_f32_e32 v27, s21, v8
	s_branch .LBB58_31
.LBB58_30:                              ;   in Loop: Header=BB58_31 Depth=3
	s_or_b32 exec_lo, exec_lo, s59
	s_delay_alu instid0(SALU_CYCLE_1) | instskip(NEXT) | instid1(SALU_CYCLE_1)
	s_and_b32 s19, exec_lo, s20
	s_or_b32 s57, s19, s57
	s_and_not1_b32 s19, s56, exec_lo
	s_and_b32 s20, s58, exec_lo
	s_delay_alu instid0(SALU_CYCLE_1)
	s_or_b32 s56, s19, s20
	s_and_not1_b32 exec_lo, exec_lo, s57
	s_cbranch_execz .LBB58_37
.LBB58_31:                              ;   Parent Loop BB58_18 Depth=1
                                        ;     Parent Loop BB58_25 Depth=2
                                        ; =>    This Inner Loop Header: Depth=3
	s_delay_alu instid0(VALU_DEP_2) | instskip(SKIP_3) | instid1(VALU_DEP_1)
	v_mov_b32_e32 v8, v9
	global_load_b32 v9, v9, s[30:31] scale_offset
	s_wait_loadcnt 0x0
	v_subrev_nc_u32_e32 v28, s37, v9
	v_cmp_lt_i32_e64 s19, v28, v24
	v_cmp_ge_i32_e64 s20, v28, v25
	v_cmp_lt_i32_e32 vcc_lo, v28, v25
	s_or_b32 s20, s19, s20
	s_mov_b32 s19, 0
	s_wait_xcnt 0x0
	s_and_saveexec_b32 s59, s20
	s_delay_alu instid0(SALU_CYCLE_1)
	s_xor_b32 s20, exec_lo, s59
; %bb.32:                               ;   in Loop: Header=BB58_31 Depth=3
	s_and_b32 s19, vcc_lo, exec_lo
; %bb.33:                               ;   in Loop: Header=BB58_31 Depth=3
	s_and_not1_saveexec_b32 s20, s20
	s_cbranch_execz .LBB58_35
; %bb.34:                               ;   in Loop: Header=BB58_31 Depth=3
	v_ashrrev_i32_e32 v9, 31, v8
	s_or_b32 s19, s19, exec_lo
	s_delay_alu instid0(VALU_DEP_1) | instskip(SKIP_4) | instid1(VALU_DEP_1)
	v_lshl_add_u64 v[30:31], v[8:9], 3, s[46:47]
	global_load_b64 v[30:31], v[30:31], off
	s_wait_loadcnt 0x0
	v_dual_sub_nc_u32 v9, v28, v24 :: v_dual_mul_f32 v29, v31, -v27
	s_wait_xcnt 0x0
	v_dual_mul_f32 v31, v11, v31 :: v_dual_lshlrev_b32 v32, 3, v9
	ds_store_b8 v9, v23 offset:16384
	v_fmac_f32_e32 v29, v11, v30
	v_fmac_f32_e32 v31, v27, v30
	ds_add_f32 v32, v29
	ds_add_f32 v32, v31 offset:4
.LBB58_35:                              ;   in Loop: Header=BB58_31 Depth=3
	s_or_b32 exec_lo, exec_lo, s20
	s_mov_b32 s20, -1
	s_or_b32 s58, s58, exec_lo
                                        ; implicit-def: $vgpr9
	s_and_saveexec_b32 s59, s19
	s_cbranch_execz .LBB58_30
; %bb.36:                               ;   in Loop: Header=BB58_31 Depth=3
	v_add_nc_u32_e32 v9, 16, v8
	s_and_not1_b32 s58, s58, exec_lo
	s_delay_alu instid0(VALU_DEP_1)
	v_cmp_ge_i32_e32 vcc_lo, v9, v10
	s_or_not1_b32 s20, vcc_lo, exec_lo
	s_branch .LBB58_30
.LBB58_37:                              ;   in Loop: Header=BB58_25 Depth=2
	s_or_b32 exec_lo, exec_lo, s57
	s_and_saveexec_b32 s19, s56
	s_delay_alu instid0(SALU_CYCLE_1)
	s_xor_b32 s19, exec_lo, s19
; %bb.38:                               ;   in Loop: Header=BB58_25 Depth=2
	v_min_i32_e32 v26, v28, v26
	v_mov_b32_e32 v5, v8
; %bb.39:                               ;   in Loop: Header=BB58_25 Depth=2
	s_or_b32 exec_lo, exec_lo, s19
.LBB58_40:                              ;   in Loop: Header=BB58_25 Depth=2
	s_delay_alu instid0(SALU_CYCLE_1)
	s_or_b32 exec_lo, exec_lo, s55
	ds_bpermute_b32 v8, v14, v5
	s_wait_dscnt 0x0
	v_min_i32_e32 v5, v8, v5
	ds_bpermute_b32 v8, v15, v5
	s_wait_dscnt 0x0
	v_min_i32_e32 v5, v8, v5
	ds_bpermute_b32 v8, v16, v5
	s_wait_dscnt 0x0
	v_min_i32_e32 v5, v8, v5
	ds_bpermute_b32 v8, v17, v5
	s_and_saveexec_b32 s19, s1
	s_cbranch_execz .LBB58_24
; %bb.41:                               ;   in Loop: Header=BB58_25 Depth=2
	s_wait_dscnt 0x0
	v_min_i32_e32 v5, v8, v5
	global_store_b32 v[6:7], v5, off
	s_branch .LBB58_24
.LBB58_42:                              ;   in Loop: Header=BB58_25 Depth=2
                                        ; implicit-def: $vgpr5
	s_branch .LBB58_27
.LBB58_43:                              ;   in Loop: Header=BB58_18 Depth=1
	s_or_b32 exec_lo, exec_lo, s54
.LBB58_44:                              ;   in Loop: Header=BB58_18 Depth=1
	s_delay_alu instid0(SALU_CYCLE_1) | instskip(NEXT) | instid1(SALU_CYCLE_1)
	s_or_b32 exec_lo, exec_lo, s53
	s_and_not1_b32 vcc_lo, exec_lo, s48
	s_cbranch_vccnz .LBB58_58
; %bb.45:                               ;   in Loop: Header=BB58_18 Depth=1
	s_load_b64 s[18:19], s[42:43], 0x0
	s_mov_b32 s20, exec_lo
	s_wait_kmcnt 0x0
	v_add_nc_u32_e32 v4, s18, v12
	s_sub_co_i32 s53, s19, s39
	s_delay_alu instid0(VALU_DEP_1) | instid1(SALU_CYCLE_1)
	v_cmpx_gt_i32_e64 s53, v4
	s_cbranch_execz .LBB58_57
; %bb.46:                               ;   in Loop: Header=BB58_18 Depth=1
	s_mov_b32 s54, 0
                                        ; implicit-def: $sgpr55
                                        ; implicit-def: $sgpr56
	s_branch .LBB58_48
.LBB58_47:                              ;   in Loop: Header=BB58_48 Depth=2
	s_or_b32 exec_lo, exec_lo, s57
	s_delay_alu instid0(SALU_CYCLE_1) | instskip(NEXT) | instid1(SALU_CYCLE_1)
	s_and_b32 s18, exec_lo, s19
	s_or_b32 s54, s18, s54
	s_and_not1_b32 s18, s55, exec_lo
	s_and_b32 s19, s56, exec_lo
	s_delay_alu instid0(SALU_CYCLE_1)
	s_or_b32 s55, s18, s19
	s_and_not1_b32 exec_lo, exec_lo, s54
	s_cbranch_execz .LBB58_54
.LBB58_48:                              ;   Parent Loop BB58_18 Depth=1
                                        ; =>  This Inner Loop Header: Depth=2
	global_load_b32 v5, v4, s[34:35] scale_offset
	s_wait_loadcnt 0x0
	v_subrev_nc_u32_e32 v6, s39, v5
	s_delay_alu instid0(VALU_DEP_1)
	v_cmp_lt_i32_e64 s18, v6, v24
	v_cmp_ge_i32_e64 s19, v6, v25
	v_cmp_lt_i32_e32 vcc_lo, v6, v25
	s_or_b32 s19, s18, s19
	s_mov_b32 s18, 0
	s_wait_xcnt 0x0
	s_and_saveexec_b32 s57, s19
	s_delay_alu instid0(SALU_CYCLE_1)
	s_xor_b32 s19, exec_lo, s57
; %bb.49:                               ;   in Loop: Header=BB58_48 Depth=2
	s_and_b32 s18, vcc_lo, exec_lo
; %bb.50:                               ;   in Loop: Header=BB58_48 Depth=2
	s_or_saveexec_b32 s19, s19
	v_ashrrev_i32_e32 v5, 31, v4
	s_xor_b32 exec_lo, exec_lo, s19
	s_cbranch_execz .LBB58_52
; %bb.51:                               ;   in Loop: Header=BB58_48 Depth=2
	s_wait_dscnt 0x0
	s_delay_alu instid0(VALU_DEP_1)
	v_lshl_add_u64 v[8:9], v[4:5], 3, s[40:41]
	s_or_b32 s18, s18, exec_lo
	global_load_b64 v[8:9], v[8:9], off
	v_sub_nc_u32_e32 v5, v6, v24
	s_wait_loadcnt 0x0
	v_mul_f32_e64 v7, v9, -s50
	s_wait_xcnt 0x0
	v_mul_f32_e32 v9, s49, v9
	v_lshlrev_b32_e32 v10, 3, v5
	ds_store_b8 v5, v23 offset:16384
	v_dual_fmac_f32 v7, s49, v8 :: v_dual_fmac_f32 v9, s50, v8
	ds_add_f32 v10, v7
	ds_add_f32 v10, v9 offset:4
.LBB58_52:                              ;   in Loop: Header=BB58_48 Depth=2
	s_or_b32 exec_lo, exec_lo, s19
	s_mov_b32 s19, -1
	s_or_b32 s56, s56, exec_lo
	s_and_saveexec_b32 s57, s18
	s_cbranch_execz .LBB58_47
; %bb.53:                               ;   in Loop: Header=BB58_48 Depth=2
	v_add_nc_u32_e32 v4, 0x200, v4
	s_and_not1_b32 s56, s56, exec_lo
	s_delay_alu instid0(VALU_DEP_1)
	v_cmp_le_i32_e32 vcc_lo, s53, v4
	s_or_not1_b32 s19, vcc_lo, exec_lo
	s_branch .LBB58_47
.LBB58_54:                              ;   in Loop: Header=BB58_18 Depth=1
	s_or_b32 exec_lo, exec_lo, s54
	s_and_saveexec_b32 s18, s55
	s_delay_alu instid0(SALU_CYCLE_1)
	s_xor_b32 s18, exec_lo, s18
; %bb.55:                               ;   in Loop: Header=BB58_18 Depth=1
	v_min_i32_e32 v26, v6, v26
; %bb.56:                               ;   in Loop: Header=BB58_18 Depth=1
	s_or_b32 exec_lo, exec_lo, s18
.LBB58_57:                              ;   in Loop: Header=BB58_18 Depth=1
	s_delay_alu instid0(SALU_CYCLE_1)
	s_or_b32 exec_lo, exec_lo, s20
.LBB58_58:                              ;   in Loop: Header=BB58_18 Depth=1
	ds_bpermute_b32 v4, v14, v26
	s_wait_dscnt 0x0
	v_min_i32_e32 v4, v4, v26
	ds_bpermute_b32 v5, v15, v4
	s_wait_dscnt 0x0
	v_min_i32_e32 v4, v5, v4
	;; [unrolled: 3-line block ×3, first 2 shown]
	ds_bpermute_b32 v5, v17, v4
	s_and_saveexec_b32 s18, s1
	s_cbranch_execz .LBB58_63
; %bb.59:                               ;   in Loop: Header=BB58_18 Depth=1
	s_wait_dscnt 0x0
	v_min_i32_e32 v4, v5, v4
	s_mov_b32 s20, exec_lo
	s_brev_b32 s19, -2
.LBB58_60:                              ;   Parent Loop BB58_18 Depth=1
                                        ; =>  This Inner Loop Header: Depth=2
	s_ctz_i32_b32 s53, s20
	s_delay_alu instid0(VALU_DEP_1) | instid1(SALU_CYCLE_1)
	v_readlane_b32 s54, v4, s53
	s_lshl_b32 s53, 1, s53
	s_delay_alu instid0(SALU_CYCLE_1)
	s_and_not1_b32 s20, s20, s53
	s_min_i32 s19, s19, s54
	s_cmp_lg_u32 s20, 0
	s_cbranch_scc1 .LBB58_60
; %bb.61:                               ;   in Loop: Header=BB58_18 Depth=1
	v_mbcnt_lo_u32_b32 v4, exec_lo, 0
	s_mov_b32 s20, exec_lo
	s_delay_alu instid0(VALU_DEP_1)
	v_cmpx_eq_u32_e32 0, v4
	s_xor_b32 s20, exec_lo, s20
; %bb.62:                               ;   in Loop: Header=BB58_18 Depth=1
	v_mov_b32_e32 v4, s19
	ds_min_i32 v18, v4 offset:18432
.LBB58_63:                              ;   in Loop: Header=BB58_18 Depth=1
	s_or_b32 exec_lo, exec_lo, s18
	v_dual_mov_b32 v6, v21 :: v_dual_mov_b32 v7, v20
	s_mov_b32 s18, 0
	s_wait_storecnt_dscnt 0x0
	s_barrier_signal -1
	s_barrier_wait -1
	s_branch .LBB58_65
.LBB58_64:                              ;   in Loop: Header=BB58_65 Depth=2
	s_or_b32 exec_lo, exec_lo, s19
	s_wait_storecnt_dscnt 0x0
	s_barrier_signal -1
	s_barrier_wait -1
	ds_load_b32 v4, v18 offset:60
	v_add_nc_u32_e32 v7, 0x200, v7
	v_add_nc_u32_e32 v6, 0x1000, v6
	s_delay_alu instid0(VALU_DEP_2)
	v_cmp_lt_u32_e32 vcc_lo, 0x5ff, v7
	s_or_b32 s18, vcc_lo, s18
	s_wait_dscnt 0x0
	v_add_nc_u32_e32 v22, v4, v22
	s_and_not1_b32 exec_lo, exec_lo, s18
	s_cbranch_execz .LBB58_17
.LBB58_65:                              ;   Parent Loop BB58_18 Depth=1
                                        ; =>  This Inner Loop Header: Depth=2
	ds_load_u8 v32, v7 offset:16896
	ds_load_b64 v[4:5], v6
	s_wait_dscnt 0x0
	s_barrier_signal -1
	s_barrier_wait -1
	v_cmp_ne_u16_e32 vcc_lo, 0, v32
	s_bcnt1_i32_b32 s19, vcc_lo
	s_delay_alu instid0(SALU_CYCLE_1)
	v_dual_mov_b32 v8, s19 :: v_dual_bitop2_b32 v33, vcc_lo, v2 bitop3:0x40
	s_mov_b32 s19, exec_lo
	ds_store_b32 v19, v8
	s_wait_dscnt 0x0
	s_barrier_signal -1
	s_barrier_wait -1
	ds_load_b128 v[8:11], v18
	ds_load_b128 v[24:27], v18 offset:16
	ds_load_b128 v[28:31], v18 offset:32
	s_wait_dscnt 0x2
	v_cndmask_b32_e64 v8, v8, 0, s3
	v_cndmask_b32_e64 v34, v9, 0, s4
	;; [unrolled: 1-line block ×4, first 2 shown]
	s_wait_dscnt 0x1
	v_cndmask_b32_e64 v24, v24, 0, s7
	v_bcnt_u32_b32 v33, v33, v8
	ds_load_b96 v[8:10], v18 offset:48
	v_cndmask_b32_e64 v25, v25, 0, s8
	v_cndmask_b32_e64 v26, v26, 0, s9
	v_add3_u32 v33, v33, v34, v35
	s_delay_alu instid0(VALU_DEP_1) | instskip(SKIP_3) | instid1(VALU_DEP_3)
	v_add3_u32 v11, v33, v11, v24
	v_cndmask_b32_e64 v24, v27, 0, s10
	s_wait_dscnt 0x1
	v_cndmask_b32_e64 v27, v28, 0, s11
	v_add3_u32 v11, v11, v25, v26
	v_cndmask_b32_e64 v25, v29, 0, s12
	v_cndmask_b32_e64 v26, v30, 0, s13
	s_delay_alu instid0(VALU_DEP_3)
	v_add3_u32 v11, v11, v24, v27
	v_cndmask_b32_e64 v24, v31, 0, s14
	s_wait_dscnt 0x0
	v_cndmask_b32_e64 v8, v8, 0, s15
	v_cndmask_b32_e64 v9, v9, 0, s16
	;; [unrolled: 1-line block ×3, first 2 shown]
	v_add3_u32 v11, v11, v25, v26
	s_delay_alu instid0(VALU_DEP_1) | instskip(SKIP_1) | instid1(VALU_DEP_2)
	v_add3_u32 v8, v11, v24, v8
	v_and_b32_e32 v11, 1, v32
	v_add3_u32 v8, v8, v9, v10
	s_delay_alu instid0(VALU_DEP_2)
	v_cmpx_eq_u32_e32 1, v11
	s_cbranch_execz .LBB58_67
; %bb.66:                               ;   in Loop: Header=BB58_65 Depth=2
	s_delay_alu instid0(VALU_DEP_2)
	v_add_nc_u32_e32 v9, v8, v22
	global_store_b64 v9, v[4:5], s[22:23] offset:-8 scale_offset
.LBB58_67:                              ;   in Loop: Header=BB58_65 Depth=2
	s_wait_xcnt 0x0
	s_or_b32 exec_lo, exec_lo, s19
	s_and_saveexec_b32 s19, s2
	s_cbranch_execz .LBB58_64
; %bb.68:                               ;   in Loop: Header=BB58_65 Depth=2
	ds_store_b32 v18, v8 offset:60
	s_branch .LBB58_64
.LBB58_69:
	s_endpgm
	.section	.rodata,"a",@progbits
	.p2align	6, 0x0
	.amdhsa_kernel _ZN9rocsparseL51csrgemm_numeric_fill_block_per_row_multipass_kernelILj512ELj16ELj2048ELj32Eii21rocsparse_complex_numIfEEEvT4_PKS3_S5_NS_24const_host_device_scalarIT5_EEPKT3_S5_PKS7_SB_S5_SD_S8_SB_S5_SD_SB_S5_PS7_PS9_21rocsparse_index_base_SG_SG_SG_bbb
		.amdhsa_group_segment_fixed_size 18436
		.amdhsa_private_segment_fixed_size 0
		.amdhsa_kernarg_size 164
		.amdhsa_user_sgpr_count 2
		.amdhsa_user_sgpr_dispatch_ptr 0
		.amdhsa_user_sgpr_queue_ptr 0
		.amdhsa_user_sgpr_kernarg_segment_ptr 1
		.amdhsa_user_sgpr_dispatch_id 0
		.amdhsa_user_sgpr_kernarg_preload_length 0
		.amdhsa_user_sgpr_kernarg_preload_offset 0
		.amdhsa_user_sgpr_private_segment_size 0
		.amdhsa_wavefront_size32 1
		.amdhsa_uses_dynamic_stack 0
		.amdhsa_enable_private_segment 0
		.amdhsa_system_sgpr_workgroup_id_x 1
		.amdhsa_system_sgpr_workgroup_id_y 0
		.amdhsa_system_sgpr_workgroup_id_z 0
		.amdhsa_system_sgpr_workgroup_info 0
		.amdhsa_system_vgpr_workitem_id 0
		.amdhsa_next_free_vgpr 36
		.amdhsa_next_free_sgpr 60
		.amdhsa_named_barrier_count 0
		.amdhsa_reserve_vcc 1
		.amdhsa_float_round_mode_32 0
		.amdhsa_float_round_mode_16_64 0
		.amdhsa_float_denorm_mode_32 3
		.amdhsa_float_denorm_mode_16_64 3
		.amdhsa_fp16_overflow 0
		.amdhsa_memory_ordered 1
		.amdhsa_forward_progress 1
		.amdhsa_inst_pref_size 22
		.amdhsa_round_robin_scheduling 0
		.amdhsa_exception_fp_ieee_invalid_op 0
		.amdhsa_exception_fp_denorm_src 0
		.amdhsa_exception_fp_ieee_div_zero 0
		.amdhsa_exception_fp_ieee_overflow 0
		.amdhsa_exception_fp_ieee_underflow 0
		.amdhsa_exception_fp_ieee_inexact 0
		.amdhsa_exception_int_div_zero 0
	.end_amdhsa_kernel
	.section	.text._ZN9rocsparseL51csrgemm_numeric_fill_block_per_row_multipass_kernelILj512ELj16ELj2048ELj32Eii21rocsparse_complex_numIfEEEvT4_PKS3_S5_NS_24const_host_device_scalarIT5_EEPKT3_S5_PKS7_SB_S5_SD_S8_SB_S5_SD_SB_S5_PS7_PS9_21rocsparse_index_base_SG_SG_SG_bbb,"axG",@progbits,_ZN9rocsparseL51csrgemm_numeric_fill_block_per_row_multipass_kernelILj512ELj16ELj2048ELj32Eii21rocsparse_complex_numIfEEEvT4_PKS3_S5_NS_24const_host_device_scalarIT5_EEPKT3_S5_PKS7_SB_S5_SD_S8_SB_S5_SD_SB_S5_PS7_PS9_21rocsparse_index_base_SG_SG_SG_bbb,comdat
.Lfunc_end58:
	.size	_ZN9rocsparseL51csrgemm_numeric_fill_block_per_row_multipass_kernelILj512ELj16ELj2048ELj32Eii21rocsparse_complex_numIfEEEvT4_PKS3_S5_NS_24const_host_device_scalarIT5_EEPKT3_S5_PKS7_SB_S5_SD_S8_SB_S5_SD_SB_S5_PS7_PS9_21rocsparse_index_base_SG_SG_SG_bbb, .Lfunc_end58-_ZN9rocsparseL51csrgemm_numeric_fill_block_per_row_multipass_kernelILj512ELj16ELj2048ELj32Eii21rocsparse_complex_numIfEEEvT4_PKS3_S5_NS_24const_host_device_scalarIT5_EEPKT3_S5_PKS7_SB_S5_SD_S8_SB_S5_SD_SB_S5_PS7_PS9_21rocsparse_index_base_SG_SG_SG_bbb
                                        ; -- End function
	.set _ZN9rocsparseL51csrgemm_numeric_fill_block_per_row_multipass_kernelILj512ELj16ELj2048ELj32Eii21rocsparse_complex_numIfEEEvT4_PKS3_S5_NS_24const_host_device_scalarIT5_EEPKT3_S5_PKS7_SB_S5_SD_S8_SB_S5_SD_SB_S5_PS7_PS9_21rocsparse_index_base_SG_SG_SG_bbb.num_vgpr, 36
	.set _ZN9rocsparseL51csrgemm_numeric_fill_block_per_row_multipass_kernelILj512ELj16ELj2048ELj32Eii21rocsparse_complex_numIfEEEvT4_PKS3_S5_NS_24const_host_device_scalarIT5_EEPKT3_S5_PKS7_SB_S5_SD_S8_SB_S5_SD_SB_S5_PS7_PS9_21rocsparse_index_base_SG_SG_SG_bbb.num_agpr, 0
	.set _ZN9rocsparseL51csrgemm_numeric_fill_block_per_row_multipass_kernelILj512ELj16ELj2048ELj32Eii21rocsparse_complex_numIfEEEvT4_PKS3_S5_NS_24const_host_device_scalarIT5_EEPKT3_S5_PKS7_SB_S5_SD_S8_SB_S5_SD_SB_S5_PS7_PS9_21rocsparse_index_base_SG_SG_SG_bbb.numbered_sgpr, 60
	.set _ZN9rocsparseL51csrgemm_numeric_fill_block_per_row_multipass_kernelILj512ELj16ELj2048ELj32Eii21rocsparse_complex_numIfEEEvT4_PKS3_S5_NS_24const_host_device_scalarIT5_EEPKT3_S5_PKS7_SB_S5_SD_S8_SB_S5_SD_SB_S5_PS7_PS9_21rocsparse_index_base_SG_SG_SG_bbb.num_named_barrier, 0
	.set _ZN9rocsparseL51csrgemm_numeric_fill_block_per_row_multipass_kernelILj512ELj16ELj2048ELj32Eii21rocsparse_complex_numIfEEEvT4_PKS3_S5_NS_24const_host_device_scalarIT5_EEPKT3_S5_PKS7_SB_S5_SD_S8_SB_S5_SD_SB_S5_PS7_PS9_21rocsparse_index_base_SG_SG_SG_bbb.private_seg_size, 0
	.set _ZN9rocsparseL51csrgemm_numeric_fill_block_per_row_multipass_kernelILj512ELj16ELj2048ELj32Eii21rocsparse_complex_numIfEEEvT4_PKS3_S5_NS_24const_host_device_scalarIT5_EEPKT3_S5_PKS7_SB_S5_SD_S8_SB_S5_SD_SB_S5_PS7_PS9_21rocsparse_index_base_SG_SG_SG_bbb.uses_vcc, 1
	.set _ZN9rocsparseL51csrgemm_numeric_fill_block_per_row_multipass_kernelILj512ELj16ELj2048ELj32Eii21rocsparse_complex_numIfEEEvT4_PKS3_S5_NS_24const_host_device_scalarIT5_EEPKT3_S5_PKS7_SB_S5_SD_S8_SB_S5_SD_SB_S5_PS7_PS9_21rocsparse_index_base_SG_SG_SG_bbb.uses_flat_scratch, 0
	.set _ZN9rocsparseL51csrgemm_numeric_fill_block_per_row_multipass_kernelILj512ELj16ELj2048ELj32Eii21rocsparse_complex_numIfEEEvT4_PKS3_S5_NS_24const_host_device_scalarIT5_EEPKT3_S5_PKS7_SB_S5_SD_S8_SB_S5_SD_SB_S5_PS7_PS9_21rocsparse_index_base_SG_SG_SG_bbb.has_dyn_sized_stack, 0
	.set _ZN9rocsparseL51csrgemm_numeric_fill_block_per_row_multipass_kernelILj512ELj16ELj2048ELj32Eii21rocsparse_complex_numIfEEEvT4_PKS3_S5_NS_24const_host_device_scalarIT5_EEPKT3_S5_PKS7_SB_S5_SD_S8_SB_S5_SD_SB_S5_PS7_PS9_21rocsparse_index_base_SG_SG_SG_bbb.has_recursion, 0
	.set _ZN9rocsparseL51csrgemm_numeric_fill_block_per_row_multipass_kernelILj512ELj16ELj2048ELj32Eii21rocsparse_complex_numIfEEEvT4_PKS3_S5_NS_24const_host_device_scalarIT5_EEPKT3_S5_PKS7_SB_S5_SD_S8_SB_S5_SD_SB_S5_PS7_PS9_21rocsparse_index_base_SG_SG_SG_bbb.has_indirect_call, 0
	.section	.AMDGPU.csdata,"",@progbits
; Kernel info:
; codeLenInByte = 2792
; TotalNumSgprs: 62
; NumVgprs: 36
; ScratchSize: 0
; MemoryBound: 0
; FloatMode: 240
; IeeeMode: 1
; LDSByteSize: 18436 bytes/workgroup (compile time only)
; SGPRBlocks: 0
; VGPRBlocks: 2
; NumSGPRsForWavesPerEU: 62
; NumVGPRsForWavesPerEU: 36
; NamedBarCnt: 0
; Occupancy: 16
; WaveLimiterHint : 1
; COMPUTE_PGM_RSRC2:SCRATCH_EN: 0
; COMPUTE_PGM_RSRC2:USER_SGPR: 2
; COMPUTE_PGM_RSRC2:TRAP_HANDLER: 0
; COMPUTE_PGM_RSRC2:TGID_X_EN: 1
; COMPUTE_PGM_RSRC2:TGID_Y_EN: 0
; COMPUTE_PGM_RSRC2:TGID_Z_EN: 0
; COMPUTE_PGM_RSRC2:TIDIG_COMP_CNT: 0
	.section	.text._ZN9rocsparseL51csrgemm_numeric_fill_block_per_row_multipass_kernelILj512ELj16ELj2048ELj64Eii21rocsparse_complex_numIfEEEvT4_PKS3_S5_NS_24const_host_device_scalarIT5_EEPKT3_S5_PKS7_SB_S5_SD_S8_SB_S5_SD_SB_S5_PS7_PS9_21rocsparse_index_base_SG_SG_SG_bbb,"axG",@progbits,_ZN9rocsparseL51csrgemm_numeric_fill_block_per_row_multipass_kernelILj512ELj16ELj2048ELj64Eii21rocsparse_complex_numIfEEEvT4_PKS3_S5_NS_24const_host_device_scalarIT5_EEPKT3_S5_PKS7_SB_S5_SD_S8_SB_S5_SD_SB_S5_PS7_PS9_21rocsparse_index_base_SG_SG_SG_bbb,comdat
	.globl	_ZN9rocsparseL51csrgemm_numeric_fill_block_per_row_multipass_kernelILj512ELj16ELj2048ELj64Eii21rocsparse_complex_numIfEEEvT4_PKS3_S5_NS_24const_host_device_scalarIT5_EEPKT3_S5_PKS7_SB_S5_SD_S8_SB_S5_SD_SB_S5_PS7_PS9_21rocsparse_index_base_SG_SG_SG_bbb ; -- Begin function _ZN9rocsparseL51csrgemm_numeric_fill_block_per_row_multipass_kernelILj512ELj16ELj2048ELj64Eii21rocsparse_complex_numIfEEEvT4_PKS3_S5_NS_24const_host_device_scalarIT5_EEPKT3_S5_PKS7_SB_S5_SD_S8_SB_S5_SD_SB_S5_PS7_PS9_21rocsparse_index_base_SG_SG_SG_bbb
	.p2align	8
	.type	_ZN9rocsparseL51csrgemm_numeric_fill_block_per_row_multipass_kernelILj512ELj16ELj2048ELj64Eii21rocsparse_complex_numIfEEEvT4_PKS3_S5_NS_24const_host_device_scalarIT5_EEPKT3_S5_PKS7_SB_S5_SD_S8_SB_S5_SD_SB_S5_PS7_PS9_21rocsparse_index_base_SG_SG_SG_bbb,@function
_ZN9rocsparseL51csrgemm_numeric_fill_block_per_row_multipass_kernelILj512ELj16ELj2048ELj64Eii21rocsparse_complex_numIfEEEvT4_PKS3_S5_NS_24const_host_device_scalarIT5_EEPKT3_S5_PKS7_SB_S5_SD_S8_SB_S5_SD_SB_S5_PS7_PS9_21rocsparse_index_base_SG_SG_SG_bbb: ; @_ZN9rocsparseL51csrgemm_numeric_fill_block_per_row_multipass_kernelILj512ELj16ELj2048ELj64Eii21rocsparse_complex_numIfEEEvT4_PKS3_S5_NS_24const_host_device_scalarIT5_EEPKT3_S5_PKS7_SB_S5_SD_S8_SB_S5_SD_SB_S5_PS7_PS9_21rocsparse_index_base_SG_SG_SG_bbb
; %bb.0:
	s_clause 0x6
	s_load_b32 s41, s[0:1], 0xa0
	s_load_b128 s[24:27], s[0:1], 0x90
	s_load_b128 s[4:7], s[0:1], 0x8
	s_load_b256 s[16:23], s[0:1], 0x28
	s_load_b64 s[14:15], s[0:1], 0x80
	s_load_b64 s[34:35], s[0:1], 0x60
	;; [unrolled: 1-line block ×3, first 2 shown]
	s_mov_b32 s13, 0
	s_mov_b32 s33, 0
	s_wait_kmcnt 0x0
	s_bitcmp1_b32 s41, 0
	s_cselect_b32 s45, -1, 0
	s_bitcmp1_b32 s41, 16
	s_cselect_b32 s8, -1, 0
	s_delay_alu instid0(SALU_CYCLE_1)
	s_xor_b32 s43, s8, -1
	s_bitcmp0_b32 s41, 0
	s_cbranch_scc1 .LBB59_5
; %bb.1:
	s_load_b64 s[12:13], s[0:1], 0x18
	s_and_not1_b32 vcc_lo, exec_lo, s43
	s_wait_kmcnt 0x0
	s_mov_b32 s33, s12
	s_cbranch_vccnz .LBB59_3
; %bb.2:
	s_load_b32 s33, s[12:13], 0x0
.LBB59_3:
	s_and_not1_b32 vcc_lo, exec_lo, s43
	s_cbranch_vccnz .LBB59_5
; %bb.4:
	s_wait_xcnt 0x0
	s_load_b32 s13, s[12:13], 0x4
.LBB59_5:
	s_clause 0x4
	s_load_b64 s[36:37], s[0:1], 0x88
	s_load_b128 s[28:31], s[0:1], 0x68
	s_load_b64 s[10:11], s[0:1], 0x58
	s_load_b64 s[38:39], s[0:1], 0x48
	;; [unrolled: 1-line block ×3, first 2 shown]
	s_bitcmp1_b32 s41, 8
	s_mov_b32 s42, 0
	s_cselect_b32 s40, -1, 0
	s_wait_xcnt 0x0
	s_bfe_u32 s12, s41, 0x10008
	s_mov_b32 s41, 0
	s_cmp_eq_u32 s12, 0
	s_cbranch_scc1 .LBB59_11
; %bb.6:
	v_cndmask_b32_e64 v1, 0, 1, s43
	s_and_not1_b32 vcc_lo, exec_lo, s43
	s_mov_b32 s41, s2
	s_cbranch_vccnz .LBB59_8
; %bb.7:
	s_load_b32 s41, s[2:3], 0x0
.LBB59_8:
	s_delay_alu instid0(VALU_DEP_1)
	v_cmp_ne_u32_e32 vcc_lo, 1, v1
	s_cbranch_vccnz .LBB59_10
; %bb.9:
	s_wait_xcnt 0x0
	s_load_b32 s3, s[2:3], 0x4
.LBB59_10:
	s_wait_kmcnt 0x0
	s_mov_b32 s42, s3
.LBB59_11:
	s_load_b32 s2, s[4:5], 0x0
	s_bfe_u32 s3, ttmp6, 0x4000c
	s_wait_xcnt 0x0
	s_and_b32 s4, ttmp6, 15
	s_add_co_i32 s3, s3, 1
	s_getreg_b32 s5, hwreg(HW_REG_IB_STS2, 6, 4)
	s_mul_i32 s3, ttmp9, s3
	s_mov_b32 s43, 0
	s_add_co_i32 s4, s4, s3
	s_cmp_eq_u32 s5, 0
	s_cselect_b32 s3, ttmp9, s4
	s_and_not1_b32 vcc_lo, exec_lo, s45
	s_mov_b32 s4, 0
	s_wait_kmcnt 0x0
	s_add_co_i32 s2, s2, s3
	s_load_b32 s2, s[6:7], s2 offset:0x0 scale_offset
	s_cbranch_vccz .LBB59_14
; %bb.12:
	s_and_not1_b32 vcc_lo, exec_lo, s45
	s_cbranch_vccz .LBB59_15
.LBB59_13:
	s_load_b32 s44, s[0:1], 0x0
	s_wait_kmcnt 0x0
	s_cmp_lt_i32 s44, 1
	s_cbranch_scc0 .LBB59_16
	s_branch .LBB59_69
.LBB59_14:
	s_wait_kmcnt 0x0
	s_ashr_i32 s3, s2, 31
	s_delay_alu instid0(SALU_CYCLE_1) | instskip(NEXT) | instid1(SALU_CYCLE_1)
	s_lshl_b64 s[4:5], s[2:3], 2
	s_add_nc_u64 s[4:5], s[8:9], s[4:5]
	s_load_b32 s3, s[4:5], 0x0
	s_wait_kmcnt 0x0
	s_sub_co_i32 s4, s3, s24
	s_and_not1_b32 vcc_lo, exec_lo, s45
	s_cbranch_vccnz .LBB59_13
.LBB59_15:
	s_wait_kmcnt 0x0
	s_ashr_i32 s3, s2, 31
	s_delay_alu instid0(SALU_CYCLE_1) | instskip(NEXT) | instid1(SALU_CYCLE_1)
	s_lshl_b64 s[6:7], s[2:3], 2
	s_add_nc_u64 s[6:7], s[8:9], s[6:7]
	s_load_b32 s3, s[6:7], 0x4
	s_wait_kmcnt 0x0
	s_sub_co_i32 s43, s3, s24
	s_load_b32 s44, s[0:1], 0x0
	s_wait_kmcnt 0x0
	s_cmp_lt_i32 s44, 1
	s_cbranch_scc1 .LBB59_69
.LBB59_16:
	v_dual_lshrrev_b32 v1, 4, v0 :: v_dual_bitop2_b32 v3, 15, v0 bitop3:0x40
	v_mbcnt_lo_u32_b32 v2, -1, 0
	s_ashr_i32 s3, s2, 31
	v_subrev_nc_u32_e32 v12, s27, v0
	s_lshl_b64 s[46:47], s[2:3], 2
	s_delay_alu instid0(VALU_DEP_2)
	v_dual_add_nc_u32 v13, s4, v1 :: v_dual_bitop2_b32 v4, 8, v2 bitop3:0x14
	s_add_nc_u64 s[0:1], s[30:31], s[46:47]
	v_cmp_gt_u32_e64 s4, 0x80, v0
	s_load_b32 s3, s[0:1], 0x0
	s_wait_xcnt 0x0
	v_cmp_eq_u32_e64 s0, 0, v0
	v_cmp_gt_i32_e64 s2, 32, v4
	v_xor_b32_e32 v5, 4, v2
	v_cmp_gt_i32_e32 vcc_lo, s43, v13
	v_cmp_gt_u32_e64 s5, 0xc0, v0
	v_cmp_gt_u32_e64 s6, 0x100, v0
	v_cndmask_b32_e64 v4, v2, v4, s2
	v_cmp_gt_i32_e64 s2, 32, v5
	v_xor_b32_e32 v6, 2, v2
	v_xor_b32_e32 v7, 1, v2
	v_cmp_gt_u32_e64 s7, 0x140, v0
	s_delay_alu instid0(VALU_DEP_4) | instskip(NEXT) | instid1(VALU_DEP_4)
	v_dual_lshlrev_b32 v14, 2, v4 :: v_dual_cndmask_b32 v5, v2, v5, s2
	v_cmp_gt_i32_e64 s2, 32, v6
	v_cmp_gt_u32_e64 s8, 0x180, v0
	v_cmp_gt_u32_e64 s9, 0x1c0, v0
	v_or_b32_e32 v20, 0xfffffe00, v0
	v_cmp_eq_u32_e64 s1, 15, v3
	v_dual_cndmask_b32 v6, v2, v6, s2 :: v_dual_lshlrev_b32 v15, 2, v5
	v_cmp_gt_i32_e64 s2, 32, v7
	v_xor_b32_e32 v8, 31, v2
	s_wait_kmcnt 0x0
	s_sub_co_i32 s12, s3, s26
	v_cmp_gt_u32_e64 s3, 64, v0
	v_dual_cndmask_b32 v2, v2, v7, s2 :: v_dual_bitop2_b32 v19, 28, v1 bitop3:0x40
	v_cmp_eq_u32_e64 s2, 0x1ff, v0
	v_dual_mov_b32 v22, s12 :: v_dual_lshlrev_b32 v21, 3, v0
	v_mov_b64_e32 v[0:1], 0
	s_delay_alu instid0(VALU_DEP_4)
	v_lshlrev_b32_e32 v17, 2, v2
	v_dual_lshlrev_b32 v16, 2, v6 :: v_dual_mov_b32 v18, 0
	v_lshrrev_b32_e64 v2, v8, -1
	v_dual_mov_b32 v25, 0x800 :: v_dual_mov_b32 v24, 0
	v_mov_b32_e32 v23, 1
	s_add_nc_u64 s[30:31], s[10:11], s[46:47]
	s_and_b32 s26, s45, vcc_lo
	s_branch .LBB59_18
.LBB59_17:                              ;   in Loop: Header=BB59_18 Depth=1
	s_or_b32 exec_lo, exec_lo, s10
	ds_load_b32 v24, v18 offset:18432
	s_wait_dscnt 0x0
	s_barrier_signal -1
	s_barrier_wait -1
	v_cmp_le_i32_e32 vcc_lo, s44, v24
	v_add_nc_u32_e32 v25, 0x800, v24
	s_cbranch_vccnz .LBB59_69
.LBB59_18:                              ; =>This Loop Header: Depth=1
                                        ;     Child Loop BB59_19 Depth 2
                                        ;     Child Loop BB59_25 Depth 2
                                        ;       Child Loop BB59_31 Depth 3
                                        ;     Child Loop BB59_48 Depth 2
                                        ;     Child Loop BB59_60 Depth 2
	;; [unrolled: 1-line block ×3, first 2 shown]
	v_dual_mov_b32 v4, v21 :: v_dual_mov_b32 v5, v20
	s_mov_b32 s10, 0
.LBB59_19:                              ;   Parent Loop BB59_18 Depth=1
                                        ; =>  This Inner Loop Header: Depth=2
	ds_store_b8 v5, v18 offset:16896
	v_add_nc_u32_e32 v5, 0x200, v5
	ds_store_b64 v4, v[0:1]
	v_add_nc_u32_e32 v4, 0x1000, v4
	v_cmp_lt_u32_e32 vcc_lo, 0x5ff, v5
	s_or_b32 s10, vcc_lo, s10
	s_delay_alu instid0(SALU_CYCLE_1)
	s_and_not1_b32 exec_lo, exec_lo, s10
	s_cbranch_execnz .LBB59_19
; %bb.20:                               ;   in Loop: Header=BB59_18 Depth=1
	s_or_b32 exec_lo, exec_lo, s10
	s_and_saveexec_b32 s10, s0
; %bb.21:                               ;   in Loop: Header=BB59_18 Depth=1
	v_mov_b32_e32 v4, s44
	ds_store_b32 v18, v4 offset:18432
; %bb.22:                               ;   in Loop: Header=BB59_18 Depth=1
	s_or_b32 exec_lo, exec_lo, s10
	v_mov_b32_e32 v26, s44
	s_wait_dscnt 0x0
	s_barrier_signal -1
	s_barrier_wait -1
	s_and_saveexec_b32 s45, s26
	s_cbranch_execz .LBB59_44
; %bb.23:                               ;   in Loop: Header=BB59_18 Depth=1
	v_cmp_ne_u32_e64 s10, 0, v24
	v_dual_mov_b32 v26, s44 :: v_dual_mov_b32 v4, v13
	s_mov_b32 s46, 0
	s_branch .LBB59_25
.LBB59_24:                              ;   in Loop: Header=BB59_25 Depth=2
	s_wait_xcnt 0x0
	s_or_b32 exec_lo, exec_lo, s11
	v_add_nc_u32_e32 v4, 32, v4
	s_delay_alu instid0(VALU_DEP_1) | instskip(SKIP_1) | instid1(SALU_CYCLE_1)
	v_cmp_le_i32_e32 vcc_lo, s43, v4
	s_or_b32 s46, vcc_lo, s46
	s_and_not1_b32 exec_lo, exec_lo, s46
	s_cbranch_execz .LBB59_43
.LBB59_25:                              ;   Parent Loop BB59_18 Depth=1
                                        ; =>  This Loop Header: Depth=2
                                        ;       Child Loop BB59_31 Depth 3
	global_load_b32 v6, v4, s[16:17] scale_offset
	s_wait_dscnt 0x0
	global_load_b64 v[8:9], v4, s[18:19] scale_offset
	s_and_b32 vcc_lo, exec_lo, s10
	s_wait_loadcnt 0x1
	v_subrev_nc_u32_e32 v10, s24, v6
	s_delay_alu instid0(VALU_DEP_1) | instskip(NEXT) | instid1(VALU_DEP_1)
	v_dual_ashrrev_i32 v5, 31, v4 :: v_dual_ashrrev_i32 v11, 31, v10
	v_lshl_add_u64 v[6:7], v[4:5], 2, s[36:37]
	s_cbranch_vccz .LBB59_42
; %bb.26:                               ;   in Loop: Header=BB59_25 Depth=2
	global_load_b32 v5, v[6:7], off
	s_cbranch_execnz .LBB59_28
.LBB59_27:                              ;   in Loop: Header=BB59_25 Depth=2
	s_wait_loadcnt 0x0
	global_load_b32 v5, v10, s[20:21] scale_offset
	s_wait_loadcnt 0x0
	v_subrev_nc_u32_e32 v5, s25, v5
.LBB59_28:                              ;   in Loop: Header=BB59_25 Depth=2
	s_wait_xcnt 0x0
	v_lshl_add_u64 v[10:11], v[10:11], 2, s[20:21]
	s_wait_loadcnt 0x0
	s_delay_alu instid0(VALU_DEP_2)
	v_add_nc_u32_e32 v5, v5, v3
	s_mov_b32 s47, exec_lo
	global_load_b32 v10, v[10:11], off offset:4
	s_wait_loadcnt 0x0
	s_wait_xcnt 0x0
	v_subrev_nc_u32_e32 v10, s25, v10
	s_delay_alu instid0(VALU_DEP_1)
	v_cmpx_lt_i32_e64 v5, v10
	s_cbranch_execz .LBB59_40
; %bb.29:                               ;   in Loop: Header=BB59_25 Depth=2
	v_mul_f32_e64 v11, v9, -s13
	v_mul_f32_e32 v27, s33, v9
	s_mov_b32 s49, 0
                                        ; implicit-def: $sgpr48
                                        ; implicit-def: $sgpr50
	s_delay_alu instid0(VALU_DEP_2) | instskip(NEXT) | instid1(VALU_DEP_2)
	v_dual_mov_b32 v9, v5 :: v_dual_fmac_f32 v11, s33, v8
	v_fmac_f32_e32 v27, s13, v8
	s_branch .LBB59_31
.LBB59_30:                              ;   in Loop: Header=BB59_31 Depth=3
	s_or_b32 exec_lo, exec_lo, s51
	s_delay_alu instid0(SALU_CYCLE_1) | instskip(NEXT) | instid1(SALU_CYCLE_1)
	s_and_b32 s11, exec_lo, s12
	s_or_b32 s49, s11, s49
	s_and_not1_b32 s11, s48, exec_lo
	s_and_b32 s12, s50, exec_lo
	s_delay_alu instid0(SALU_CYCLE_1)
	s_or_b32 s48, s11, s12
	s_and_not1_b32 exec_lo, exec_lo, s49
	s_cbranch_execz .LBB59_37
.LBB59_31:                              ;   Parent Loop BB59_18 Depth=1
                                        ;     Parent Loop BB59_25 Depth=2
                                        ; =>    This Inner Loop Header: Depth=3
	s_delay_alu instid0(VALU_DEP_2) | instskip(SKIP_3) | instid1(VALU_DEP_1)
	v_mov_b32_e32 v8, v9
	global_load_b32 v9, v9, s[22:23] scale_offset
	s_wait_loadcnt 0x0
	v_subrev_nc_u32_e32 v28, s25, v9
	v_cmp_lt_i32_e64 s11, v28, v24
	v_cmp_ge_i32_e64 s12, v28, v25
	v_cmp_lt_i32_e32 vcc_lo, v28, v25
	s_or_b32 s12, s11, s12
	s_mov_b32 s11, 0
	s_wait_xcnt 0x0
	s_and_saveexec_b32 s51, s12
	s_delay_alu instid0(SALU_CYCLE_1)
	s_xor_b32 s12, exec_lo, s51
; %bb.32:                               ;   in Loop: Header=BB59_31 Depth=3
	s_and_b32 s11, vcc_lo, exec_lo
; %bb.33:                               ;   in Loop: Header=BB59_31 Depth=3
	s_and_not1_saveexec_b32 s12, s12
	s_cbranch_execz .LBB59_35
; %bb.34:                               ;   in Loop: Header=BB59_31 Depth=3
	v_ashrrev_i32_e32 v9, 31, v8
	s_or_b32 s11, s11, exec_lo
	s_delay_alu instid0(VALU_DEP_1) | instskip(SKIP_4) | instid1(VALU_DEP_1)
	v_lshl_add_u64 v[30:31], v[8:9], 3, s[38:39]
	global_load_b64 v[30:31], v[30:31], off
	s_wait_loadcnt 0x0
	v_dual_sub_nc_u32 v9, v28, v24 :: v_dual_mul_f32 v29, v31, -v27
	s_wait_xcnt 0x0
	v_dual_mul_f32 v31, v11, v31 :: v_dual_lshlrev_b32 v32, 3, v9
	ds_store_b8 v9, v23 offset:16384
	v_fmac_f32_e32 v29, v11, v30
	v_fmac_f32_e32 v31, v27, v30
	ds_add_f32 v32, v29
	ds_add_f32 v32, v31 offset:4
.LBB59_35:                              ;   in Loop: Header=BB59_31 Depth=3
	s_or_b32 exec_lo, exec_lo, s12
	s_mov_b32 s12, -1
	s_or_b32 s50, s50, exec_lo
                                        ; implicit-def: $vgpr9
	s_and_saveexec_b32 s51, s11
	s_cbranch_execz .LBB59_30
; %bb.36:                               ;   in Loop: Header=BB59_31 Depth=3
	v_add_nc_u32_e32 v9, 16, v8
	s_and_not1_b32 s50, s50, exec_lo
	s_delay_alu instid0(VALU_DEP_1)
	v_cmp_ge_i32_e32 vcc_lo, v9, v10
	s_or_not1_b32 s12, vcc_lo, exec_lo
	s_branch .LBB59_30
.LBB59_37:                              ;   in Loop: Header=BB59_25 Depth=2
	s_or_b32 exec_lo, exec_lo, s49
	s_and_saveexec_b32 s11, s48
	s_delay_alu instid0(SALU_CYCLE_1)
	s_xor_b32 s11, exec_lo, s11
; %bb.38:                               ;   in Loop: Header=BB59_25 Depth=2
	v_min_i32_e32 v26, v28, v26
	v_mov_b32_e32 v5, v8
; %bb.39:                               ;   in Loop: Header=BB59_25 Depth=2
	s_or_b32 exec_lo, exec_lo, s11
.LBB59_40:                              ;   in Loop: Header=BB59_25 Depth=2
	s_delay_alu instid0(SALU_CYCLE_1)
	s_or_b32 exec_lo, exec_lo, s47
	ds_bpermute_b32 v8, v14, v5
	s_wait_dscnt 0x0
	v_min_i32_e32 v5, v8, v5
	ds_bpermute_b32 v8, v15, v5
	s_wait_dscnt 0x0
	v_min_i32_e32 v5, v8, v5
	;; [unrolled: 3-line block ×3, first 2 shown]
	ds_bpermute_b32 v8, v17, v5
	s_and_saveexec_b32 s11, s1
	s_cbranch_execz .LBB59_24
; %bb.41:                               ;   in Loop: Header=BB59_25 Depth=2
	s_wait_dscnt 0x0
	v_min_i32_e32 v5, v8, v5
	global_store_b32 v[6:7], v5, off
	s_branch .LBB59_24
.LBB59_42:                              ;   in Loop: Header=BB59_25 Depth=2
                                        ; implicit-def: $vgpr5
	s_branch .LBB59_27
.LBB59_43:                              ;   in Loop: Header=BB59_18 Depth=1
	s_or_b32 exec_lo, exec_lo, s46
.LBB59_44:                              ;   in Loop: Header=BB59_18 Depth=1
	s_delay_alu instid0(SALU_CYCLE_1) | instskip(NEXT) | instid1(SALU_CYCLE_1)
	s_or_b32 exec_lo, exec_lo, s45
	s_and_not1_b32 vcc_lo, exec_lo, s40
	s_cbranch_vccnz .LBB59_58
; %bb.45:                               ;   in Loop: Header=BB59_18 Depth=1
	s_load_b64 s[10:11], s[30:31], 0x0
	s_mov_b32 s12, exec_lo
	s_wait_kmcnt 0x0
	v_add_nc_u32_e32 v4, s10, v12
	s_sub_co_i32 s45, s11, s27
	s_delay_alu instid0(VALU_DEP_1) | instid1(SALU_CYCLE_1)
	v_cmpx_gt_i32_e64 s45, v4
	s_cbranch_execz .LBB59_57
; %bb.46:                               ;   in Loop: Header=BB59_18 Depth=1
	s_mov_b32 s46, 0
                                        ; implicit-def: $sgpr47
                                        ; implicit-def: $sgpr48
	s_branch .LBB59_48
.LBB59_47:                              ;   in Loop: Header=BB59_48 Depth=2
	s_or_b32 exec_lo, exec_lo, s49
	s_delay_alu instid0(SALU_CYCLE_1) | instskip(NEXT) | instid1(SALU_CYCLE_1)
	s_and_b32 s10, exec_lo, s11
	s_or_b32 s46, s10, s46
	s_and_not1_b32 s10, s47, exec_lo
	s_and_b32 s11, s48, exec_lo
	s_delay_alu instid0(SALU_CYCLE_1)
	s_or_b32 s47, s10, s11
	s_and_not1_b32 exec_lo, exec_lo, s46
	s_cbranch_execz .LBB59_54
.LBB59_48:                              ;   Parent Loop BB59_18 Depth=1
                                        ; =>  This Inner Loop Header: Depth=2
	global_load_b32 v5, v4, s[34:35] scale_offset
	s_wait_loadcnt 0x0
	v_subrev_nc_u32_e32 v6, s27, v5
	s_delay_alu instid0(VALU_DEP_1)
	v_cmp_lt_i32_e64 s10, v6, v24
	v_cmp_ge_i32_e64 s11, v6, v25
	v_cmp_lt_i32_e32 vcc_lo, v6, v25
	s_or_b32 s11, s10, s11
	s_mov_b32 s10, 0
	s_wait_xcnt 0x0
	s_and_saveexec_b32 s49, s11
	s_delay_alu instid0(SALU_CYCLE_1)
	s_xor_b32 s11, exec_lo, s49
; %bb.49:                               ;   in Loop: Header=BB59_48 Depth=2
	s_and_b32 s10, vcc_lo, exec_lo
; %bb.50:                               ;   in Loop: Header=BB59_48 Depth=2
	s_or_saveexec_b32 s11, s11
	v_ashrrev_i32_e32 v5, 31, v4
	s_xor_b32 exec_lo, exec_lo, s11
	s_cbranch_execz .LBB59_52
; %bb.51:                               ;   in Loop: Header=BB59_48 Depth=2
	s_wait_dscnt 0x0
	s_delay_alu instid0(VALU_DEP_1)
	v_lshl_add_u64 v[8:9], v[4:5], 3, s[28:29]
	s_or_b32 s10, s10, exec_lo
	global_load_b64 v[8:9], v[8:9], off
	v_sub_nc_u32_e32 v5, v6, v24
	s_wait_loadcnt 0x0
	v_mul_f32_e64 v7, v9, -s42
	s_wait_xcnt 0x0
	v_mul_f32_e32 v9, s41, v9
	v_lshlrev_b32_e32 v10, 3, v5
	ds_store_b8 v5, v23 offset:16384
	v_dual_fmac_f32 v7, s41, v8 :: v_dual_fmac_f32 v9, s42, v8
	ds_add_f32 v10, v7
	ds_add_f32 v10, v9 offset:4
.LBB59_52:                              ;   in Loop: Header=BB59_48 Depth=2
	s_or_b32 exec_lo, exec_lo, s11
	s_mov_b32 s11, -1
	s_or_b32 s48, s48, exec_lo
	s_and_saveexec_b32 s49, s10
	s_cbranch_execz .LBB59_47
; %bb.53:                               ;   in Loop: Header=BB59_48 Depth=2
	v_add_nc_u32_e32 v4, 0x200, v4
	s_and_not1_b32 s48, s48, exec_lo
	s_delay_alu instid0(VALU_DEP_1)
	v_cmp_le_i32_e32 vcc_lo, s45, v4
	s_or_not1_b32 s11, vcc_lo, exec_lo
	s_branch .LBB59_47
.LBB59_54:                              ;   in Loop: Header=BB59_18 Depth=1
	s_or_b32 exec_lo, exec_lo, s46
	s_and_saveexec_b32 s10, s47
	s_delay_alu instid0(SALU_CYCLE_1)
	s_xor_b32 s10, exec_lo, s10
; %bb.55:                               ;   in Loop: Header=BB59_18 Depth=1
	v_min_i32_e32 v26, v6, v26
; %bb.56:                               ;   in Loop: Header=BB59_18 Depth=1
	s_or_b32 exec_lo, exec_lo, s10
.LBB59_57:                              ;   in Loop: Header=BB59_18 Depth=1
	s_delay_alu instid0(SALU_CYCLE_1)
	s_or_b32 exec_lo, exec_lo, s12
.LBB59_58:                              ;   in Loop: Header=BB59_18 Depth=1
	ds_bpermute_b32 v4, v14, v26
	s_wait_dscnt 0x0
	v_min_i32_e32 v4, v4, v26
	ds_bpermute_b32 v5, v15, v4
	s_wait_dscnt 0x0
	v_min_i32_e32 v4, v5, v4
	;; [unrolled: 3-line block ×3, first 2 shown]
	ds_bpermute_b32 v5, v17, v4
	s_and_saveexec_b32 s10, s1
	s_cbranch_execz .LBB59_63
; %bb.59:                               ;   in Loop: Header=BB59_18 Depth=1
	s_wait_dscnt 0x0
	v_min_i32_e32 v4, v5, v4
	s_mov_b32 s12, exec_lo
	s_brev_b32 s11, -2
.LBB59_60:                              ;   Parent Loop BB59_18 Depth=1
                                        ; =>  This Inner Loop Header: Depth=2
	s_ctz_i32_b32 s45, s12
	s_delay_alu instid0(VALU_DEP_1) | instid1(SALU_CYCLE_1)
	v_readlane_b32 s46, v4, s45
	s_lshl_b32 s45, 1, s45
	s_delay_alu instid0(SALU_CYCLE_1)
	s_and_not1_b32 s12, s12, s45
	s_min_i32 s11, s11, s46
	s_cmp_lg_u32 s12, 0
	s_cbranch_scc1 .LBB59_60
; %bb.61:                               ;   in Loop: Header=BB59_18 Depth=1
	v_mbcnt_lo_u32_b32 v4, exec_lo, 0
	s_mov_b32 s12, exec_lo
	s_delay_alu instid0(VALU_DEP_1)
	v_cmpx_eq_u32_e32 0, v4
	s_xor_b32 s12, exec_lo, s12
; %bb.62:                               ;   in Loop: Header=BB59_18 Depth=1
	v_mov_b32_e32 v4, s11
	ds_min_i32 v18, v4 offset:18432
.LBB59_63:                              ;   in Loop: Header=BB59_18 Depth=1
	s_or_b32 exec_lo, exec_lo, s10
	v_dual_mov_b32 v6, v21 :: v_dual_mov_b32 v7, v20
	s_mov_b32 s10, 0
	s_wait_storecnt_dscnt 0x0
	s_barrier_signal -1
	s_barrier_wait -1
	s_branch .LBB59_65
.LBB59_64:                              ;   in Loop: Header=BB59_65 Depth=2
	s_or_b32 exec_lo, exec_lo, s11
	s_wait_storecnt_dscnt 0x0
	s_barrier_signal -1
	s_barrier_wait -1
	ds_load_b32 v4, v18 offset:28
	v_add_nc_u32_e32 v7, 0x200, v7
	v_add_nc_u32_e32 v6, 0x1000, v6
	s_delay_alu instid0(VALU_DEP_2)
	v_cmp_lt_u32_e32 vcc_lo, 0x5ff, v7
	s_or_b32 s10, vcc_lo, s10
	s_wait_dscnt 0x0
	v_add_nc_u32_e32 v22, v4, v22
	s_and_not1_b32 exec_lo, exec_lo, s10
	s_cbranch_execz .LBB59_17
.LBB59_65:                              ;   Parent Loop BB59_18 Depth=1
                                        ; =>  This Inner Loop Header: Depth=2
	ds_load_u8 v27, v7 offset:16896
	ds_load_b64 v[4:5], v6
	s_wait_dscnt 0x0
	s_barrier_signal -1
	s_barrier_wait -1
	v_cmp_ne_u16_e32 vcc_lo, 0, v27
	s_bcnt1_i32_b32 s11, vcc_lo
	s_delay_alu instid0(SALU_CYCLE_1)
	v_dual_mov_b32 v8, s11 :: v_dual_bitop2_b32 v28, vcc_lo, v2 bitop3:0x40
	s_mov_b32 s11, exec_lo
	ds_store_b32 v19, v8
	s_wait_dscnt 0x0
	s_barrier_signal -1
	s_barrier_wait -1
	ds_load_b128 v[8:11], v18
	ds_load_b96 v[24:26], v18 offset:16
	s_wait_dscnt 0x1
	v_cndmask_b32_e64 v8, v8, 0, s3
	v_cndmask_b32_e64 v9, v9, 0, s4
	;; [unrolled: 1-line block ×4, first 2 shown]
	s_wait_dscnt 0x0
	v_cndmask_b32_e64 v24, v24, 0, s7
	v_bcnt_u32_b32 v8, v28, v8
	s_delay_alu instid0(VALU_DEP_1) | instskip(SKIP_2) | instid1(VALU_DEP_3)
	v_add3_u32 v8, v8, v9, v10
	v_cndmask_b32_e64 v9, v25, 0, s8
	v_cndmask_b32_e64 v10, v26, 0, s9
	v_add3_u32 v8, v8, v11, v24
	v_and_b32_e32 v11, 1, v27
	s_delay_alu instid0(VALU_DEP_2) | instskip(NEXT) | instid1(VALU_DEP_2)
	v_add3_u32 v8, v8, v9, v10
	v_cmpx_eq_u32_e32 1, v11
	s_cbranch_execz .LBB59_67
; %bb.66:                               ;   in Loop: Header=BB59_65 Depth=2
	s_delay_alu instid0(VALU_DEP_2)
	v_add_nc_u32_e32 v9, v8, v22
	global_store_b64 v9, v[4:5], s[14:15] offset:-8 scale_offset
.LBB59_67:                              ;   in Loop: Header=BB59_65 Depth=2
	s_wait_xcnt 0x0
	s_or_b32 exec_lo, exec_lo, s11
	s_and_saveexec_b32 s11, s2
	s_cbranch_execz .LBB59_64
; %bb.68:                               ;   in Loop: Header=BB59_65 Depth=2
	ds_store_b32 v18, v8 offset:28
	s_branch .LBB59_64
.LBB59_69:
	s_endpgm
	.section	.rodata,"a",@progbits
	.p2align	6, 0x0
	.amdhsa_kernel _ZN9rocsparseL51csrgemm_numeric_fill_block_per_row_multipass_kernelILj512ELj16ELj2048ELj64Eii21rocsparse_complex_numIfEEEvT4_PKS3_S5_NS_24const_host_device_scalarIT5_EEPKT3_S5_PKS7_SB_S5_SD_S8_SB_S5_SD_SB_S5_PS7_PS9_21rocsparse_index_base_SG_SG_SG_bbb
		.amdhsa_group_segment_fixed_size 18436
		.amdhsa_private_segment_fixed_size 0
		.amdhsa_kernarg_size 164
		.amdhsa_user_sgpr_count 2
		.amdhsa_user_sgpr_dispatch_ptr 0
		.amdhsa_user_sgpr_queue_ptr 0
		.amdhsa_user_sgpr_kernarg_segment_ptr 1
		.amdhsa_user_sgpr_dispatch_id 0
		.amdhsa_user_sgpr_kernarg_preload_length 0
		.amdhsa_user_sgpr_kernarg_preload_offset 0
		.amdhsa_user_sgpr_private_segment_size 0
		.amdhsa_wavefront_size32 1
		.amdhsa_uses_dynamic_stack 0
		.amdhsa_enable_private_segment 0
		.amdhsa_system_sgpr_workgroup_id_x 1
		.amdhsa_system_sgpr_workgroup_id_y 0
		.amdhsa_system_sgpr_workgroup_id_z 0
		.amdhsa_system_sgpr_workgroup_info 0
		.amdhsa_system_vgpr_workitem_id 0
		.amdhsa_next_free_vgpr 33
		.amdhsa_next_free_sgpr 52
		.amdhsa_named_barrier_count 0
		.amdhsa_reserve_vcc 1
		.amdhsa_float_round_mode_32 0
		.amdhsa_float_round_mode_16_64 0
		.amdhsa_float_denorm_mode_32 3
		.amdhsa_float_denorm_mode_16_64 3
		.amdhsa_fp16_overflow 0
		.amdhsa_memory_ordered 1
		.amdhsa_forward_progress 1
		.amdhsa_inst_pref_size 21
		.amdhsa_round_robin_scheduling 0
		.amdhsa_exception_fp_ieee_invalid_op 0
		.amdhsa_exception_fp_denorm_src 0
		.amdhsa_exception_fp_ieee_div_zero 0
		.amdhsa_exception_fp_ieee_overflow 0
		.amdhsa_exception_fp_ieee_underflow 0
		.amdhsa_exception_fp_ieee_inexact 0
		.amdhsa_exception_int_div_zero 0
	.end_amdhsa_kernel
	.section	.text._ZN9rocsparseL51csrgemm_numeric_fill_block_per_row_multipass_kernelILj512ELj16ELj2048ELj64Eii21rocsparse_complex_numIfEEEvT4_PKS3_S5_NS_24const_host_device_scalarIT5_EEPKT3_S5_PKS7_SB_S5_SD_S8_SB_S5_SD_SB_S5_PS7_PS9_21rocsparse_index_base_SG_SG_SG_bbb,"axG",@progbits,_ZN9rocsparseL51csrgemm_numeric_fill_block_per_row_multipass_kernelILj512ELj16ELj2048ELj64Eii21rocsparse_complex_numIfEEEvT4_PKS3_S5_NS_24const_host_device_scalarIT5_EEPKT3_S5_PKS7_SB_S5_SD_S8_SB_S5_SD_SB_S5_PS7_PS9_21rocsparse_index_base_SG_SG_SG_bbb,comdat
.Lfunc_end59:
	.size	_ZN9rocsparseL51csrgemm_numeric_fill_block_per_row_multipass_kernelILj512ELj16ELj2048ELj64Eii21rocsparse_complex_numIfEEEvT4_PKS3_S5_NS_24const_host_device_scalarIT5_EEPKT3_S5_PKS7_SB_S5_SD_S8_SB_S5_SD_SB_S5_PS7_PS9_21rocsparse_index_base_SG_SG_SG_bbb, .Lfunc_end59-_ZN9rocsparseL51csrgemm_numeric_fill_block_per_row_multipass_kernelILj512ELj16ELj2048ELj64Eii21rocsparse_complex_numIfEEEvT4_PKS3_S5_NS_24const_host_device_scalarIT5_EEPKT3_S5_PKS7_SB_S5_SD_S8_SB_S5_SD_SB_S5_PS7_PS9_21rocsparse_index_base_SG_SG_SG_bbb
                                        ; -- End function
	.set _ZN9rocsparseL51csrgemm_numeric_fill_block_per_row_multipass_kernelILj512ELj16ELj2048ELj64Eii21rocsparse_complex_numIfEEEvT4_PKS3_S5_NS_24const_host_device_scalarIT5_EEPKT3_S5_PKS7_SB_S5_SD_S8_SB_S5_SD_SB_S5_PS7_PS9_21rocsparse_index_base_SG_SG_SG_bbb.num_vgpr, 33
	.set _ZN9rocsparseL51csrgemm_numeric_fill_block_per_row_multipass_kernelILj512ELj16ELj2048ELj64Eii21rocsparse_complex_numIfEEEvT4_PKS3_S5_NS_24const_host_device_scalarIT5_EEPKT3_S5_PKS7_SB_S5_SD_S8_SB_S5_SD_SB_S5_PS7_PS9_21rocsparse_index_base_SG_SG_SG_bbb.num_agpr, 0
	.set _ZN9rocsparseL51csrgemm_numeric_fill_block_per_row_multipass_kernelILj512ELj16ELj2048ELj64Eii21rocsparse_complex_numIfEEEvT4_PKS3_S5_NS_24const_host_device_scalarIT5_EEPKT3_S5_PKS7_SB_S5_SD_S8_SB_S5_SD_SB_S5_PS7_PS9_21rocsparse_index_base_SG_SG_SG_bbb.numbered_sgpr, 52
	.set _ZN9rocsparseL51csrgemm_numeric_fill_block_per_row_multipass_kernelILj512ELj16ELj2048ELj64Eii21rocsparse_complex_numIfEEEvT4_PKS3_S5_NS_24const_host_device_scalarIT5_EEPKT3_S5_PKS7_SB_S5_SD_S8_SB_S5_SD_SB_S5_PS7_PS9_21rocsparse_index_base_SG_SG_SG_bbb.num_named_barrier, 0
	.set _ZN9rocsparseL51csrgemm_numeric_fill_block_per_row_multipass_kernelILj512ELj16ELj2048ELj64Eii21rocsparse_complex_numIfEEEvT4_PKS3_S5_NS_24const_host_device_scalarIT5_EEPKT3_S5_PKS7_SB_S5_SD_S8_SB_S5_SD_SB_S5_PS7_PS9_21rocsparse_index_base_SG_SG_SG_bbb.private_seg_size, 0
	.set _ZN9rocsparseL51csrgemm_numeric_fill_block_per_row_multipass_kernelILj512ELj16ELj2048ELj64Eii21rocsparse_complex_numIfEEEvT4_PKS3_S5_NS_24const_host_device_scalarIT5_EEPKT3_S5_PKS7_SB_S5_SD_S8_SB_S5_SD_SB_S5_PS7_PS9_21rocsparse_index_base_SG_SG_SG_bbb.uses_vcc, 1
	.set _ZN9rocsparseL51csrgemm_numeric_fill_block_per_row_multipass_kernelILj512ELj16ELj2048ELj64Eii21rocsparse_complex_numIfEEEvT4_PKS3_S5_NS_24const_host_device_scalarIT5_EEPKT3_S5_PKS7_SB_S5_SD_S8_SB_S5_SD_SB_S5_PS7_PS9_21rocsparse_index_base_SG_SG_SG_bbb.uses_flat_scratch, 0
	.set _ZN9rocsparseL51csrgemm_numeric_fill_block_per_row_multipass_kernelILj512ELj16ELj2048ELj64Eii21rocsparse_complex_numIfEEEvT4_PKS3_S5_NS_24const_host_device_scalarIT5_EEPKT3_S5_PKS7_SB_S5_SD_S8_SB_S5_SD_SB_S5_PS7_PS9_21rocsparse_index_base_SG_SG_SG_bbb.has_dyn_sized_stack, 0
	.set _ZN9rocsparseL51csrgemm_numeric_fill_block_per_row_multipass_kernelILj512ELj16ELj2048ELj64Eii21rocsparse_complex_numIfEEEvT4_PKS3_S5_NS_24const_host_device_scalarIT5_EEPKT3_S5_PKS7_SB_S5_SD_S8_SB_S5_SD_SB_S5_PS7_PS9_21rocsparse_index_base_SG_SG_SG_bbb.has_recursion, 0
	.set _ZN9rocsparseL51csrgemm_numeric_fill_block_per_row_multipass_kernelILj512ELj16ELj2048ELj64Eii21rocsparse_complex_numIfEEEvT4_PKS3_S5_NS_24const_host_device_scalarIT5_EEPKT3_S5_PKS7_SB_S5_SD_S8_SB_S5_SD_SB_S5_PS7_PS9_21rocsparse_index_base_SG_SG_SG_bbb.has_indirect_call, 0
	.section	.AMDGPU.csdata,"",@progbits
; Kernel info:
; codeLenInByte = 2576
; TotalNumSgprs: 54
; NumVgprs: 33
; ScratchSize: 0
; MemoryBound: 0
; FloatMode: 240
; IeeeMode: 1
; LDSByteSize: 18436 bytes/workgroup (compile time only)
; SGPRBlocks: 0
; VGPRBlocks: 2
; NumSGPRsForWavesPerEU: 54
; NumVGPRsForWavesPerEU: 33
; NamedBarCnt: 0
; Occupancy: 16
; WaveLimiterHint : 1
; COMPUTE_PGM_RSRC2:SCRATCH_EN: 0
; COMPUTE_PGM_RSRC2:USER_SGPR: 2
; COMPUTE_PGM_RSRC2:TRAP_HANDLER: 0
; COMPUTE_PGM_RSRC2:TGID_X_EN: 1
; COMPUTE_PGM_RSRC2:TGID_Y_EN: 0
; COMPUTE_PGM_RSRC2:TGID_Z_EN: 0
; COMPUTE_PGM_RSRC2:TIDIG_COMP_CNT: 0
	.section	.text._ZN9rocsparseL38csrgemm_numeric_fill_wf_per_row_kernelILj256ELj8ELj16ELj137Eii21rocsparse_complex_numIdEEEvT4_S3_PKS3_S5_NS_24const_host_device_scalarIT5_EEPKT3_S5_PKS7_SB_S5_SD_S8_SB_S5_SD_SB_S5_PS7_21rocsparse_index_base_SF_SF_SF_bbb,"axG",@progbits,_ZN9rocsparseL38csrgemm_numeric_fill_wf_per_row_kernelILj256ELj8ELj16ELj137Eii21rocsparse_complex_numIdEEEvT4_S3_PKS3_S5_NS_24const_host_device_scalarIT5_EEPKT3_S5_PKS7_SB_S5_SD_S8_SB_S5_SD_SB_S5_PS7_21rocsparse_index_base_SF_SF_SF_bbb,comdat
	.globl	_ZN9rocsparseL38csrgemm_numeric_fill_wf_per_row_kernelILj256ELj8ELj16ELj137Eii21rocsparse_complex_numIdEEEvT4_S3_PKS3_S5_NS_24const_host_device_scalarIT5_EEPKT3_S5_PKS7_SB_S5_SD_S8_SB_S5_SD_SB_S5_PS7_21rocsparse_index_base_SF_SF_SF_bbb ; -- Begin function _ZN9rocsparseL38csrgemm_numeric_fill_wf_per_row_kernelILj256ELj8ELj16ELj137Eii21rocsparse_complex_numIdEEEvT4_S3_PKS3_S5_NS_24const_host_device_scalarIT5_EEPKT3_S5_PKS7_SB_S5_SD_S8_SB_S5_SD_SB_S5_PS7_21rocsparse_index_base_SF_SF_SF_bbb
	.p2align	8
	.type	_ZN9rocsparseL38csrgemm_numeric_fill_wf_per_row_kernelILj256ELj8ELj16ELj137Eii21rocsparse_complex_numIdEEEvT4_S3_PKS3_S5_NS_24const_host_device_scalarIT5_EEPKT3_S5_PKS7_SB_S5_SD_S8_SB_S5_SD_SB_S5_PS7_21rocsparse_index_base_SF_SF_SF_bbb,@function
_ZN9rocsparseL38csrgemm_numeric_fill_wf_per_row_kernelILj256ELj8ELj16ELj137Eii21rocsparse_complex_numIdEEEvT4_S3_PKS3_S5_NS_24const_host_device_scalarIT5_EEPKT3_S5_PKS7_SB_S5_SD_S8_SB_S5_SD_SB_S5_PS7_21rocsparse_index_base_SF_SF_SF_bbb: ; @_ZN9rocsparseL38csrgemm_numeric_fill_wf_per_row_kernelILj256ELj8ELj16ELj137Eii21rocsparse_complex_numIdEEEvT4_S3_PKS3_S5_NS_24const_host_device_scalarIT5_EEPKT3_S5_PKS7_SB_S5_SD_S8_SB_S5_SD_SB_S5_PS7_21rocsparse_index_base_SF_SF_SF_bbb
; %bb.0:
	s_clause 0x3
	s_load_b32 s3, s[0:1], 0xa8
	s_load_b128 s[8:11], s[0:1], 0x18
	s_load_b128 s[16:19], s[0:1], 0x58
	;; [unrolled: 1-line block ×3, first 2 shown]
	v_mov_b64_e32 v[4:5], 0
	v_mov_b64_e32 v[10:11], 0
	;; [unrolled: 1-line block ×3, first 2 shown]
	v_mbcnt_lo_u32_b32 v1, -1, 0
	s_wait_kmcnt 0x0
	s_bitcmp1_b32 s3, 0
	v_mov_b64_e32 v[2:3], s[8:9]
	s_cselect_b32 s36, -1, 0
	s_bitcmp1_b32 s3, 16
	v_mov_b64_e32 v[6:7], s[16:17]
	s_cselect_b32 s2, -1, 0
	s_clause 0x1
	scratch_store_b64 off, v[2:3], off
	scratch_store_b64 off, v[6:7], off offset:8
	s_xor_b32 s26, s2, -1
	s_bitcmp0_b32 s3, 0
	v_cndmask_b32_e64 v8, 0, 1, s26
	s_delay_alu instid0(VALU_DEP_1)
	v_cmp_ne_u32_e32 vcc_lo, 1, v8
	s_cbranch_scc1 .LBB60_3
; %bb.1:
	s_wait_xcnt 0x1
	v_dual_mov_b32 v2, 0 :: v_dual_lshlrev_b32 v3, 20, v1
	v_mov_b64_e32 v[12:13], s[10:11]
	s_and_b32 vcc_lo, exec_lo, vcc_lo
	s_delay_alu instid0(VALU_DEP_2) | instskip(NEXT) | instid1(VALU_DEP_1)
	v_add_nc_u64_e32 v[2:3], src_flat_scratch_base_lo, v[2:3]
	v_cndmask_b32_e64 v3, s9, v3, s2
	s_delay_alu instid0(VALU_DEP_2)
	v_cndmask_b32_e64 v2, s8, v2, s2
	flat_load_b64 v[10:11], v[2:3]
	s_cbranch_vccnz .LBB60_3
; %bb.2:
	s_wait_xcnt 0x0
	v_mov_b32_e32 v2, 0
	flat_load_b64 v[12:13], v2, s[8:9] offset:8
.LBB60_3:
	s_clause 0x4
	s_load_b64 s[24:25], s[0:1], 0x90
	s_load_b128 s[8:11], s[0:1], 0x70
	s_load_b128 s[12:15], s[0:1], 0x48
	;; [unrolled: 1-line block ×3, first 2 shown]
	s_load_b64 s[28:29], s[0:1], 0x30
	v_mov_b64_e32 v[6:7], 0
	s_bitcmp1_b32 s3, 8
	s_cselect_b32 s33, -1, 0
	s_bfe_u32 s3, s3, 0x10008
	s_delay_alu instid0(SALU_CYCLE_1)
	s_cmp_eq_u32 s3, 0
	s_cbranch_scc1 .LBB60_6
; %bb.4:
	v_dual_mov_b32 v2, 8 :: v_dual_lshlrev_b32 v3, 20, v1
	v_mov_b64_e32 v[4:5], s[18:19]
	s_and_not1_b32 vcc_lo, exec_lo, s26
	s_delay_alu instid0(VALU_DEP_2) | instskip(NEXT) | instid1(VALU_DEP_1)
	v_add_nc_u64_e32 v[2:3], src_flat_scratch_base_lo, v[2:3]
	v_cndmask_b32_e64 v3, s17, v3, s2
	s_delay_alu instid0(VALU_DEP_2)
	v_cndmask_b32_e64 v2, s16, v2, s2
	flat_load_b64 v[6:7], v[2:3]
	s_cbranch_vccnz .LBB60_6
; %bb.5:
	v_mov_b32_e32 v1, 0
	flat_load_b64 v[4:5], v1, s[16:17] offset:8
.LBB60_6:
	s_clause 0x4
	s_load_b64 s[2:3], s[0:1], 0x0
	s_load_b64 s[34:35], s[0:1], 0x28
	;; [unrolled: 1-line block ×4, first 2 shown]
	s_load_b128 s[16:19], s[0:1], 0x38
	v_dual_lshrrev_b32 v9, 3, v0 :: v_dual_bitop2_b32 v25, 7, v0 bitop3:0x40
	s_wait_xcnt 0x0
	s_mov_b32 s0, 0
	s_delay_alu instid0(VALU_DEP_1) | instskip(NEXT) | instid1(VALU_DEP_2)
	v_dual_mov_b32 v0, 0 :: v_dual_lshlrev_b32 v1, 6, v9
	v_dual_lshlrev_b32 v2, 2, v25 :: v_dual_lshlrev_b32 v3, 4, v25
	v_or_b32_e32 v20, -8, v25
	s_delay_alu instid0(VALU_DEP_2) | instskip(NEXT) | instid1(VALU_DEP_3)
	v_or3_b32 v21, v1, v2, 0x2000
	v_lshl_or_b32 v22, v9, 8, v3
	v_dual_mov_b32 v1, v0 :: v_dual_mov_b32 v2, v0
	s_delay_alu instid0(VALU_DEP_3) | instskip(SKIP_1) | instid1(VALU_DEP_3)
	v_dual_mov_b32 v3, v0 :: v_dual_mov_b32 v8, v21
	s_wait_kmcnt 0x0
	v_dual_mov_b32 v14, v22 :: v_dual_mov_b32 v15, s3
	v_mov_b32_e32 v16, v20
.LBB60_7:                               ; =>This Inner Loop Header: Depth=1
	s_delay_alu instid0(VALU_DEP_1)
	v_add_co_u32 v16, s1, v16, 8
	s_xor_b32 s1, s1, -1
	ds_store_b32 v8, v15
	ds_store_b128 v14, v[0:3]
	v_add_nc_u32_e32 v14, 0x80, v14
	v_add_nc_u32_e32 v8, 32, v8
	s_and_b32 s1, exec_lo, s1
	s_delay_alu instid0(SALU_CYCLE_1) | instskip(NEXT) | instid1(SALU_CYCLE_1)
	s_or_b32 s0, s1, s0
	s_and_not1_b32 exec_lo, exec_lo, s0
	s_cbranch_execnz .LBB60_7
; %bb.8:
	s_or_b32 exec_lo, exec_lo, s0
	s_bfe_u32 s0, ttmp6, 0x4000c
	s_and_b32 s1, ttmp6, 15
	s_add_co_i32 s0, s0, 1
	s_getreg_b32 s37, hwreg(HW_REG_IB_STS2, 6, 4)
	s_mul_i32 s0, ttmp9, s0
	s_wait_storecnt 0x0
	s_wait_loadcnt_dscnt 0x0
	s_add_co_i32 s1, s1, s0
	s_cmp_eq_u32 s37, 0
	s_cselect_b32 s0, ttmp9, s1
	s_delay_alu instid0(SALU_CYCLE_1) | instskip(NEXT) | instid1(SALU_CYCLE_1)
	s_lshl_b32 s0, s0, 5
	v_and_or_b32 v8, 0x1fffffe0, s0, v9
	s_mov_b32 s0, exec_lo
	s_delay_alu instid0(VALU_DEP_1)
	v_cmpx_gt_i32_e64 s2, v8
	s_cbranch_execz .LBB60_48
; %bb.9:
	s_cmp_eq_u64 s[22:23], 0
	s_cbranch_scc1 .LBB60_11
; %bb.10:
	s_load_b32 s0, s[20:21], 0x0
	s_wait_kmcnt 0x0
	v_add_nc_u32_e32 v0, s0, v8
	global_load_b32 v8, v0, s[22:23] scale_offset
.LBB60_11:
	v_lshl_or_b32 v23, v9, 6, 0x2000
	s_wait_loadcnt 0x0
	v_dual_lshlrev_b32 v24, 8, v9 :: v_dual_ashrrev_i32 v9, 31, v8
	s_and_not1_b32 vcc_lo, exec_lo, s36
	s_cbranch_vccnz .LBB60_29
; %bb.12:
	s_delay_alu instid0(VALU_DEP_1)
	v_lshl_add_u64 v[0:1], v[8:9], 2, s[34:35]
	v_subrev_nc_u32_e32 v2, s4, v25
	s_mov_b32 s0, exec_lo
	global_load_b64 v[0:1], v[0:1], off
	s_wait_loadcnt 0x0
	v_subrev_nc_u32_e32 v26, s4, v1
	v_add_nc_u32_e32 v14, v0, v2
	s_delay_alu instid0(VALU_DEP_1)
	v_cmpx_lt_i32_e64 v14, v26
	s_cbranch_execz .LBB60_28
; %bb.13:
	s_mov_b32 s1, 0
	s_branch .LBB60_15
.LBB60_14:                              ;   in Loop: Header=BB60_15 Depth=1
	s_or_b32 exec_lo, exec_lo, s2
	v_add_nc_u32_e32 v14, 8, v14
	s_delay_alu instid0(VALU_DEP_1) | instskip(SKIP_1) | instid1(SALU_CYCLE_1)
	v_cmp_ge_i32_e32 vcc_lo, v14, v26
	s_or_b32 s1, vcc_lo, s1
	s_and_not1_b32 exec_lo, exec_lo, s1
	s_cbranch_execz .LBB60_28
.LBB60_15:                              ; =>This Loop Header: Depth=1
                                        ;     Child Loop BB60_19 Depth 2
                                        ;       Child Loop BB60_22 Depth 3
	global_load_b32 v0, v14, s[28:29] scale_offset
	s_mov_b32 s2, exec_lo
	s_wait_loadcnt 0x0
	v_subrev_nc_u32_e32 v0, s4, v0
	s_delay_alu instid0(VALU_DEP_1) | instskip(NEXT) | instid1(VALU_DEP_1)
	v_ashrrev_i32_e32 v1, 31, v0
	v_lshl_add_u64 v[0:1], v[0:1], 2, s[18:19]
	global_load_b64 v[0:1], v[0:1], off
	s_wait_loadcnt 0x0
	s_wait_xcnt 0x0
	v_cmpx_lt_i32_e64 v0, v1
	s_cbranch_execz .LBB60_14
; %bb.16:                               ;   in Loop: Header=BB60_15 Depth=1
	v_ashrrev_i32_e32 v15, 31, v14
	v_subrev_nc_u32_e32 v27, s5, v0
	s_mov_b32 s20, 0
	s_delay_alu instid0(VALU_DEP_2)
	v_lshl_add_u64 v[2:3], v[14:15], 4, s[16:17]
	v_subrev_nc_u32_e32 v15, s5, v1
	global_load_b128 v[28:31], v[2:3], off
	s_wait_loadcnt 0x0
	v_mul_f64_e64 v[16:17], v[30:31], -v[12:13]
	v_mul_f64_e32 v[18:19], v[10:11], v[30:31]
	s_delay_alu instid0(VALU_DEP_2) | instskip(NEXT) | instid1(VALU_DEP_2)
	v_fmac_f64_e32 v[16:17], v[10:11], v[28:29]
	v_fmac_f64_e32 v[18:19], v[12:13], v[28:29]
	s_branch .LBB60_19
.LBB60_17:                              ;   in Loop: Header=BB60_19 Depth=2
	s_or_b32 exec_lo, exec_lo, s22
.LBB60_18:                              ;   in Loop: Header=BB60_19 Depth=2
	s_delay_alu instid0(SALU_CYCLE_1) | instskip(SKIP_4) | instid1(VALU_DEP_1)
	s_or_b32 exec_lo, exec_lo, s21
	s_wait_loadcnt 0x0
	v_mul_f64_e64 v[30:31], v[2:3], -v[18:19]
	v_mul_f64_e32 v[2:3], v[16:17], v[2:3]
	v_add_nc_u32_e32 v27, 1, v27
	v_cmp_ge_i32_e32 vcc_lo, v27, v15
	s_or_b32 s20, vcc_lo, s20
	s_delay_alu instid0(VALU_DEP_4) | instskip(NEXT) | instid1(VALU_DEP_4)
	v_fmac_f64_e32 v[30:31], v[16:17], v[0:1]
	v_fmac_f64_e32 v[2:3], v[18:19], v[0:1]
	v_lshl_add_u32 v0, v28, 4, v24
	ds_add_f64 v0, v[30:31]
	ds_add_f64 v0, v[2:3] offset:8
	s_and_not1_b32 exec_lo, exec_lo, s20
	s_cbranch_execz .LBB60_14
.LBB60_19:                              ;   Parent Loop BB60_15 Depth=1
                                        ; =>  This Loop Header: Depth=2
                                        ;       Child Loop BB60_22 Depth 3
	s_clause 0x1
	global_load_b32 v28, v27, s[12:13] scale_offset
	global_load_b128 v[0:3], v27, s[14:15] scale_offset
	s_mov_b32 s21, exec_lo
	s_wait_loadcnt 0x1
	v_subrev_nc_u32_e32 v29, s5, v28
	s_delay_alu instid0(VALU_DEP_1) | instskip(NEXT) | instid1(VALU_DEP_1)
	v_lshl_add_u32 v28, v29, 3, v29
	v_and_b32_e32 v28, 15, v28
	s_delay_alu instid0(VALU_DEP_1)
	v_lshl_add_u32 v30, v28, 2, v23
	ds_load_b32 v31, v30
	s_wait_dscnt 0x0
	s_wait_xcnt 0x0
	v_cmpx_ne_u32_e64 v31, v29
	s_cbranch_execz .LBB60_18
; %bb.20:                               ;   in Loop: Header=BB60_19 Depth=2
	s_mov_b32 s22, 0
	s_branch .LBB60_22
.LBB60_21:                              ;   in Loop: Header=BB60_22 Depth=3
	s_or_b32 exec_lo, exec_lo, s35
	s_delay_alu instid0(SALU_CYCLE_1) | instskip(NEXT) | instid1(SALU_CYCLE_1)
	s_and_b32 s23, exec_lo, s34
	s_or_b32 s22, s23, s22
	s_delay_alu instid0(SALU_CYCLE_1)
	s_and_not1_b32 exec_lo, exec_lo, s22
	s_cbranch_execz .LBB60_17
.LBB60_22:                              ;   Parent Loop BB60_15 Depth=1
                                        ;     Parent Loop BB60_19 Depth=2
                                        ; =>    This Inner Loop Header: Depth=3
	s_mov_b32 s23, 0
	s_mov_b32 s34, exec_lo
	v_cmpx_ne_u32_e64 s3, v31
	s_xor_b32 s34, exec_lo, s34
	s_cbranch_execz .LBB60_24
; %bb.23:                               ;   in Loop: Header=BB60_22 Depth=3
	v_add_nc_u32_e32 v28, 1, v28
	s_mov_b32 s23, exec_lo
                                        ; implicit-def: $vgpr30
	s_delay_alu instid0(VALU_DEP_1)
	v_and_b32_e32 v28, 15, v28
	s_and_not1_saveexec_b32 s34, s34
	s_cbranch_execz .LBB60_26
	s_branch .LBB60_25
.LBB60_24:                              ;   in Loop: Header=BB60_22 Depth=3
	s_and_not1_saveexec_b32 s34, s34
	s_cbranch_execz .LBB60_26
.LBB60_25:                              ;   in Loop: Header=BB60_22 Depth=3
	v_mov_b32_e32 v31, s3
	s_and_not1_b32 s23, s23, exec_lo
	ds_cmpstore_rtn_b32 v30, v30, v29, v31
	s_wait_dscnt 0x0
	v_cmp_ne_u32_e32 vcc_lo, s3, v30
	s_and_b32 s35, vcc_lo, exec_lo
	s_delay_alu instid0(SALU_CYCLE_1)
	s_or_b32 s23, s23, s35
.LBB60_26:                              ;   in Loop: Header=BB60_22 Depth=3
	s_or_b32 exec_lo, exec_lo, s34
	s_mov_b32 s34, -1
                                        ; implicit-def: $vgpr30
                                        ; implicit-def: $vgpr31
	s_and_saveexec_b32 s35, s23
	s_cbranch_execz .LBB60_21
; %bb.27:                               ;   in Loop: Header=BB60_22 Depth=3
	v_lshl_add_u32 v30, v28, 2, v23
	ds_load_b32 v31, v30
	s_wait_dscnt 0x0
	v_cmp_eq_u32_e32 vcc_lo, v31, v29
	s_or_not1_b32 s34, vcc_lo, exec_lo
	s_branch .LBB60_21
.LBB60_28:
	s_or_b32 exec_lo, exec_lo, s0
.LBB60_29:
	s_delay_alu instid0(SALU_CYCLE_1)
	s_and_not1_b32 vcc_lo, exec_lo, s33
	s_cbranch_vccnz .LBB60_44
; %bb.30:
	v_lshl_add_u64 v[0:1], v[8:9], 2, s[30:31]
	v_subrev_nc_u32_e32 v2, s7, v25
	s_mov_b32 s0, exec_lo
	global_load_b64 v[0:1], v[0:1], off
	s_wait_loadcnt 0x0
	v_subrev_nc_u32_e32 v10, s7, v1
	v_add_nc_u32_e32 v11, v0, v2
	s_delay_alu instid0(VALU_DEP_1)
	v_cmpx_lt_i32_e64 v11, v10
	s_cbranch_execz .LBB60_43
; %bb.31:
	s_mov_b32 s1, 0
	s_branch .LBB60_34
.LBB60_32:                              ;   in Loop: Header=BB60_34 Depth=1
	s_or_b32 exec_lo, exec_lo, s4
.LBB60_33:                              ;   in Loop: Header=BB60_34 Depth=1
	s_delay_alu instid0(SALU_CYCLE_1) | instskip(SKIP_3) | instid1(VALU_DEP_2)
	s_or_b32 exec_lo, exec_lo, s2
	s_wait_loadcnt 0x0
	v_dual_mul_f64 v[14:15], v[2:3], -v[4:5] :: v_dual_add_nc_u32 v11, 8, v11
	v_mul_f64_e32 v[2:3], v[6:7], v[2:3]
	v_cmp_ge_i32_e32 vcc_lo, v11, v10
	s_or_b32 s1, vcc_lo, s1
	s_delay_alu instid0(VALU_DEP_3) | instskip(NEXT) | instid1(VALU_DEP_3)
	v_fmac_f64_e32 v[14:15], v[6:7], v[0:1]
	v_fmac_f64_e32 v[2:3], v[4:5], v[0:1]
	v_lshl_add_u32 v0, v12, 4, v24
	ds_add_f64 v0, v[14:15]
	ds_add_f64 v0, v[2:3] offset:8
	s_and_not1_b32 exec_lo, exec_lo, s1
	s_cbranch_execz .LBB60_43
.LBB60_34:                              ; =>This Loop Header: Depth=1
                                        ;     Child Loop BB60_37 Depth 2
	s_clause 0x1
	global_load_b32 v12, v11, s[8:9] scale_offset
	global_load_b128 v[0:3], v11, s[10:11] scale_offset
	s_mov_b32 s2, exec_lo
	s_wait_loadcnt 0x1
	v_subrev_nc_u32_e32 v13, s7, v12
	s_delay_alu instid0(VALU_DEP_1) | instskip(NEXT) | instid1(VALU_DEP_1)
	v_lshl_add_u32 v12, v13, 3, v13
	v_and_b32_e32 v12, 15, v12
	s_delay_alu instid0(VALU_DEP_1)
	v_lshl_add_u32 v14, v12, 2, v23
	ds_load_b32 v15, v14
	s_wait_dscnt 0x0
	s_wait_xcnt 0x0
	v_cmpx_ne_u32_e64 v15, v13
	s_cbranch_execz .LBB60_33
; %bb.35:                               ;   in Loop: Header=BB60_34 Depth=1
	s_mov_b32 s4, 0
	s_branch .LBB60_37
.LBB60_36:                              ;   in Loop: Header=BB60_37 Depth=2
	s_or_b32 exec_lo, exec_lo, s13
	s_delay_alu instid0(SALU_CYCLE_1) | instskip(NEXT) | instid1(SALU_CYCLE_1)
	s_and_b32 s5, exec_lo, s12
	s_or_b32 s4, s5, s4
	s_delay_alu instid0(SALU_CYCLE_1)
	s_and_not1_b32 exec_lo, exec_lo, s4
	s_cbranch_execz .LBB60_32
.LBB60_37:                              ;   Parent Loop BB60_34 Depth=1
                                        ; =>  This Inner Loop Header: Depth=2
	s_mov_b32 s5, 0
	s_mov_b32 s12, exec_lo
	v_cmpx_ne_u32_e64 s3, v15
	s_xor_b32 s12, exec_lo, s12
	s_cbranch_execz .LBB60_39
; %bb.38:                               ;   in Loop: Header=BB60_37 Depth=2
	v_add_nc_u32_e32 v12, 1, v12
	s_mov_b32 s5, exec_lo
                                        ; implicit-def: $vgpr14
	s_delay_alu instid0(VALU_DEP_1)
	v_and_b32_e32 v12, 15, v12
	s_and_not1_saveexec_b32 s12, s12
	s_cbranch_execz .LBB60_41
	s_branch .LBB60_40
.LBB60_39:                              ;   in Loop: Header=BB60_37 Depth=2
	s_and_not1_saveexec_b32 s12, s12
	s_cbranch_execz .LBB60_41
.LBB60_40:                              ;   in Loop: Header=BB60_37 Depth=2
	v_mov_b32_e32 v15, s3
	s_and_not1_b32 s5, s5, exec_lo
	ds_cmpstore_rtn_b32 v14, v14, v13, v15
	s_wait_dscnt 0x0
	v_cmp_ne_u32_e32 vcc_lo, s3, v14
	s_and_b32 s13, vcc_lo, exec_lo
	s_delay_alu instid0(SALU_CYCLE_1)
	s_or_b32 s5, s5, s13
.LBB60_41:                              ;   in Loop: Header=BB60_37 Depth=2
	s_or_b32 exec_lo, exec_lo, s12
	s_mov_b32 s12, -1
                                        ; implicit-def: $vgpr14
                                        ; implicit-def: $vgpr15
	s_and_saveexec_b32 s13, s5
	s_cbranch_execz .LBB60_36
; %bb.42:                               ;   in Loop: Header=BB60_37 Depth=2
	v_lshl_add_u32 v14, v12, 2, v23
	ds_load_b32 v15, v14
	s_wait_dscnt 0x0
	v_cmp_eq_u32_e32 vcc_lo, v15, v13
	s_or_not1_b32 s12, vcc_lo, exec_lo
	s_branch .LBB60_36
.LBB60_43:
	s_or_b32 exec_lo, exec_lo, s0
.LBB60_44:
	v_lshl_add_u64 v[0:1], v[8:9], 2, s[26:27]
	s_wait_dscnt 0x0
	s_mov_b32 s0, 0
	global_load_b32 v0, v[0:1], off
	s_wait_loadcnt 0x0
	v_subrev_nc_u32_e32 v0, s6, v0
	s_branch .LBB60_46
.LBB60_45:                              ;   in Loop: Header=BB60_46 Depth=1
	s_wait_xcnt 0x0
	s_or_b32 exec_lo, exec_lo, s1
	v_add_co_u32 v20, s1, v20, 8
	s_xor_b32 s1, s1, -1
	v_add_nc_u32_e32 v22, 0x80, v22
	v_add_nc_u32_e32 v21, 32, v21
	s_and_b32 s1, exec_lo, s1
	s_delay_alu instid0(SALU_CYCLE_1) | instskip(NEXT) | instid1(SALU_CYCLE_1)
	s_or_b32 s0, s1, s0
	s_and_not1_b32 exec_lo, exec_lo, s0
	s_cbranch_execz .LBB60_48
.LBB60_46:                              ; =>This Inner Loop Header: Depth=1
	ds_load_b32 v1, v21
	s_mov_b32 s1, exec_lo
	s_wait_dscnt 0x0
	v_cmpx_gt_i32_e64 s3, v1
	s_cbranch_execz .LBB60_45
; %bb.47:                               ;   in Loop: Header=BB60_46 Depth=1
	ds_load_b128 v[2:5], v23
	ds_load_b128 v[6:9], v23 offset:16
	ds_load_b128 v[10:13], v23 offset:32
	;; [unrolled: 1-line block ×3, first 2 shown]
	ds_load_2addr_b64 v[24:27], v22 offset1:1
	s_wait_dscnt 0x4
	v_cmp_gt_i32_e32 vcc_lo, v1, v2
	v_cndmask_b32_e64 v2, 0, 1, vcc_lo
	v_cmp_gt_i32_e32 vcc_lo, v1, v4
	v_cndmask_b32_e64 v4, 0, 1, vcc_lo
	v_cmp_gt_i32_e32 vcc_lo, v1, v3
	s_delay_alu instid0(VALU_DEP_4)
	v_add_co_ci_u32_e64 v2, null, v0, v2, vcc_lo
	s_wait_dscnt 0x3
	v_cmp_gt_i32_e32 vcc_lo, v1, v6
	v_cndmask_b32_e64 v3, 0, 1, vcc_lo
	v_cmp_gt_i32_e32 vcc_lo, v1, v5
	v_add_co_ci_u32_e64 v2, null, v2, v4, vcc_lo
	v_cmp_gt_i32_e32 vcc_lo, v1, v8
	v_cndmask_b32_e64 v4, 0, 1, vcc_lo
	v_cmp_gt_i32_e32 vcc_lo, v1, v7
	s_delay_alu instid0(VALU_DEP_4)
	v_add_co_ci_u32_e64 v2, null, v2, v3, vcc_lo
	s_wait_dscnt 0x2
	v_cmp_gt_i32_e32 vcc_lo, v1, v10
	v_cndmask_b32_e64 v3, 0, 1, vcc_lo
	v_cmp_gt_i32_e32 vcc_lo, v1, v9
	v_add_co_ci_u32_e64 v2, null, v2, v4, vcc_lo
	;; [unrolled: 10-line block ×3, first 2 shown]
	v_cmp_gt_i32_e32 vcc_lo, v1, v15
	s_delay_alu instid0(VALU_DEP_2) | instskip(SKIP_3) | instid1(VALU_DEP_2)
	v_add_co_ci_u32_e64 v2, null, v2, v3, vcc_lo
	v_cmp_gt_i32_e32 vcc_lo, v1, v16
	v_cndmask_b32_e64 v3, 0, 1, vcc_lo
	v_cmp_gt_i32_e32 vcc_lo, v1, v17
	v_add_co_ci_u32_e64 v1, null, v2, v3, vcc_lo
	s_wait_dscnt 0x0
	global_store_b128 v1, v[24:27], s[24:25] scale_offset
	s_branch .LBB60_45
.LBB60_48:
	s_endpgm
	.section	.rodata,"a",@progbits
	.p2align	6, 0x0
	.amdhsa_kernel _ZN9rocsparseL38csrgemm_numeric_fill_wf_per_row_kernelILj256ELj8ELj16ELj137Eii21rocsparse_complex_numIdEEEvT4_S3_PKS3_S5_NS_24const_host_device_scalarIT5_EEPKT3_S5_PKS7_SB_S5_SD_S8_SB_S5_SD_SB_S5_PS7_21rocsparse_index_base_SF_SF_SF_bbb
		.amdhsa_group_segment_fixed_size 10240
		.amdhsa_private_segment_fixed_size 24
		.amdhsa_kernarg_size 172
		.amdhsa_user_sgpr_count 2
		.amdhsa_user_sgpr_dispatch_ptr 0
		.amdhsa_user_sgpr_queue_ptr 0
		.amdhsa_user_sgpr_kernarg_segment_ptr 1
		.amdhsa_user_sgpr_dispatch_id 0
		.amdhsa_user_sgpr_kernarg_preload_length 0
		.amdhsa_user_sgpr_kernarg_preload_offset 0
		.amdhsa_user_sgpr_private_segment_size 0
		.amdhsa_wavefront_size32 1
		.amdhsa_uses_dynamic_stack 0
		.amdhsa_enable_private_segment 1
		.amdhsa_system_sgpr_workgroup_id_x 1
		.amdhsa_system_sgpr_workgroup_id_y 0
		.amdhsa_system_sgpr_workgroup_id_z 0
		.amdhsa_system_sgpr_workgroup_info 0
		.amdhsa_system_vgpr_workitem_id 0
		.amdhsa_next_free_vgpr 32
		.amdhsa_next_free_sgpr 38
		.amdhsa_named_barrier_count 0
		.amdhsa_reserve_vcc 1
		.amdhsa_float_round_mode_32 0
		.amdhsa_float_round_mode_16_64 0
		.amdhsa_float_denorm_mode_32 3
		.amdhsa_float_denorm_mode_16_64 3
		.amdhsa_fp16_overflow 0
		.amdhsa_memory_ordered 1
		.amdhsa_forward_progress 1
		.amdhsa_inst_pref_size 18
		.amdhsa_round_robin_scheduling 0
		.amdhsa_exception_fp_ieee_invalid_op 0
		.amdhsa_exception_fp_denorm_src 0
		.amdhsa_exception_fp_ieee_div_zero 0
		.amdhsa_exception_fp_ieee_overflow 0
		.amdhsa_exception_fp_ieee_underflow 0
		.amdhsa_exception_fp_ieee_inexact 0
		.amdhsa_exception_int_div_zero 0
	.end_amdhsa_kernel
	.section	.text._ZN9rocsparseL38csrgemm_numeric_fill_wf_per_row_kernelILj256ELj8ELj16ELj137Eii21rocsparse_complex_numIdEEEvT4_S3_PKS3_S5_NS_24const_host_device_scalarIT5_EEPKT3_S5_PKS7_SB_S5_SD_S8_SB_S5_SD_SB_S5_PS7_21rocsparse_index_base_SF_SF_SF_bbb,"axG",@progbits,_ZN9rocsparseL38csrgemm_numeric_fill_wf_per_row_kernelILj256ELj8ELj16ELj137Eii21rocsparse_complex_numIdEEEvT4_S3_PKS3_S5_NS_24const_host_device_scalarIT5_EEPKT3_S5_PKS7_SB_S5_SD_S8_SB_S5_SD_SB_S5_PS7_21rocsparse_index_base_SF_SF_SF_bbb,comdat
.Lfunc_end60:
	.size	_ZN9rocsparseL38csrgemm_numeric_fill_wf_per_row_kernelILj256ELj8ELj16ELj137Eii21rocsparse_complex_numIdEEEvT4_S3_PKS3_S5_NS_24const_host_device_scalarIT5_EEPKT3_S5_PKS7_SB_S5_SD_S8_SB_S5_SD_SB_S5_PS7_21rocsparse_index_base_SF_SF_SF_bbb, .Lfunc_end60-_ZN9rocsparseL38csrgemm_numeric_fill_wf_per_row_kernelILj256ELj8ELj16ELj137Eii21rocsparse_complex_numIdEEEvT4_S3_PKS3_S5_NS_24const_host_device_scalarIT5_EEPKT3_S5_PKS7_SB_S5_SD_S8_SB_S5_SD_SB_S5_PS7_21rocsparse_index_base_SF_SF_SF_bbb
                                        ; -- End function
	.set _ZN9rocsparseL38csrgemm_numeric_fill_wf_per_row_kernelILj256ELj8ELj16ELj137Eii21rocsparse_complex_numIdEEEvT4_S3_PKS3_S5_NS_24const_host_device_scalarIT5_EEPKT3_S5_PKS7_SB_S5_SD_S8_SB_S5_SD_SB_S5_PS7_21rocsparse_index_base_SF_SF_SF_bbb.num_vgpr, 32
	.set _ZN9rocsparseL38csrgemm_numeric_fill_wf_per_row_kernelILj256ELj8ELj16ELj137Eii21rocsparse_complex_numIdEEEvT4_S3_PKS3_S5_NS_24const_host_device_scalarIT5_EEPKT3_S5_PKS7_SB_S5_SD_S8_SB_S5_SD_SB_S5_PS7_21rocsparse_index_base_SF_SF_SF_bbb.num_agpr, 0
	.set _ZN9rocsparseL38csrgemm_numeric_fill_wf_per_row_kernelILj256ELj8ELj16ELj137Eii21rocsparse_complex_numIdEEEvT4_S3_PKS3_S5_NS_24const_host_device_scalarIT5_EEPKT3_S5_PKS7_SB_S5_SD_S8_SB_S5_SD_SB_S5_PS7_21rocsparse_index_base_SF_SF_SF_bbb.numbered_sgpr, 38
	.set _ZN9rocsparseL38csrgemm_numeric_fill_wf_per_row_kernelILj256ELj8ELj16ELj137Eii21rocsparse_complex_numIdEEEvT4_S3_PKS3_S5_NS_24const_host_device_scalarIT5_EEPKT3_S5_PKS7_SB_S5_SD_S8_SB_S5_SD_SB_S5_PS7_21rocsparse_index_base_SF_SF_SF_bbb.num_named_barrier, 0
	.set _ZN9rocsparseL38csrgemm_numeric_fill_wf_per_row_kernelILj256ELj8ELj16ELj137Eii21rocsparse_complex_numIdEEEvT4_S3_PKS3_S5_NS_24const_host_device_scalarIT5_EEPKT3_S5_PKS7_SB_S5_SD_S8_SB_S5_SD_SB_S5_PS7_21rocsparse_index_base_SF_SF_SF_bbb.private_seg_size, 24
	.set _ZN9rocsparseL38csrgemm_numeric_fill_wf_per_row_kernelILj256ELj8ELj16ELj137Eii21rocsparse_complex_numIdEEEvT4_S3_PKS3_S5_NS_24const_host_device_scalarIT5_EEPKT3_S5_PKS7_SB_S5_SD_S8_SB_S5_SD_SB_S5_PS7_21rocsparse_index_base_SF_SF_SF_bbb.uses_vcc, 1
	.set _ZN9rocsparseL38csrgemm_numeric_fill_wf_per_row_kernelILj256ELj8ELj16ELj137Eii21rocsparse_complex_numIdEEEvT4_S3_PKS3_S5_NS_24const_host_device_scalarIT5_EEPKT3_S5_PKS7_SB_S5_SD_S8_SB_S5_SD_SB_S5_PS7_21rocsparse_index_base_SF_SF_SF_bbb.uses_flat_scratch, 1
	.set _ZN9rocsparseL38csrgemm_numeric_fill_wf_per_row_kernelILj256ELj8ELj16ELj137Eii21rocsparse_complex_numIdEEEvT4_S3_PKS3_S5_NS_24const_host_device_scalarIT5_EEPKT3_S5_PKS7_SB_S5_SD_S8_SB_S5_SD_SB_S5_PS7_21rocsparse_index_base_SF_SF_SF_bbb.has_dyn_sized_stack, 0
	.set _ZN9rocsparseL38csrgemm_numeric_fill_wf_per_row_kernelILj256ELj8ELj16ELj137Eii21rocsparse_complex_numIdEEEvT4_S3_PKS3_S5_NS_24const_host_device_scalarIT5_EEPKT3_S5_PKS7_SB_S5_SD_S8_SB_S5_SD_SB_S5_PS7_21rocsparse_index_base_SF_SF_SF_bbb.has_recursion, 0
	.set _ZN9rocsparseL38csrgemm_numeric_fill_wf_per_row_kernelILj256ELj8ELj16ELj137Eii21rocsparse_complex_numIdEEEvT4_S3_PKS3_S5_NS_24const_host_device_scalarIT5_EEPKT3_S5_PKS7_SB_S5_SD_S8_SB_S5_SD_SB_S5_PS7_21rocsparse_index_base_SF_SF_SF_bbb.has_indirect_call, 0
	.section	.AMDGPU.csdata,"",@progbits
; Kernel info:
; codeLenInByte = 2204
; TotalNumSgprs: 40
; NumVgprs: 32
; ScratchSize: 24
; MemoryBound: 0
; FloatMode: 240
; IeeeMode: 1
; LDSByteSize: 10240 bytes/workgroup (compile time only)
; SGPRBlocks: 0
; VGPRBlocks: 1
; NumSGPRsForWavesPerEU: 40
; NumVGPRsForWavesPerEU: 32
; NamedBarCnt: 0
; Occupancy: 16
; WaveLimiterHint : 1
; COMPUTE_PGM_RSRC2:SCRATCH_EN: 1
; COMPUTE_PGM_RSRC2:USER_SGPR: 2
; COMPUTE_PGM_RSRC2:TRAP_HANDLER: 0
; COMPUTE_PGM_RSRC2:TGID_X_EN: 1
; COMPUTE_PGM_RSRC2:TGID_Y_EN: 0
; COMPUTE_PGM_RSRC2:TGID_Z_EN: 0
; COMPUTE_PGM_RSRC2:TIDIG_COMP_CNT: 0
	.section	.text._ZN9rocsparseL38csrgemm_numeric_fill_wf_per_row_kernelILj256ELj16ELj32ELj137Eii21rocsparse_complex_numIdEEEvT4_S3_PKS3_S5_NS_24const_host_device_scalarIT5_EEPKT3_S5_PKS7_SB_S5_SD_S8_SB_S5_SD_SB_S5_PS7_21rocsparse_index_base_SF_SF_SF_bbb,"axG",@progbits,_ZN9rocsparseL38csrgemm_numeric_fill_wf_per_row_kernelILj256ELj16ELj32ELj137Eii21rocsparse_complex_numIdEEEvT4_S3_PKS3_S5_NS_24const_host_device_scalarIT5_EEPKT3_S5_PKS7_SB_S5_SD_S8_SB_S5_SD_SB_S5_PS7_21rocsparse_index_base_SF_SF_SF_bbb,comdat
	.globl	_ZN9rocsparseL38csrgemm_numeric_fill_wf_per_row_kernelILj256ELj16ELj32ELj137Eii21rocsparse_complex_numIdEEEvT4_S3_PKS3_S5_NS_24const_host_device_scalarIT5_EEPKT3_S5_PKS7_SB_S5_SD_S8_SB_S5_SD_SB_S5_PS7_21rocsparse_index_base_SF_SF_SF_bbb ; -- Begin function _ZN9rocsparseL38csrgemm_numeric_fill_wf_per_row_kernelILj256ELj16ELj32ELj137Eii21rocsparse_complex_numIdEEEvT4_S3_PKS3_S5_NS_24const_host_device_scalarIT5_EEPKT3_S5_PKS7_SB_S5_SD_S8_SB_S5_SD_SB_S5_PS7_21rocsparse_index_base_SF_SF_SF_bbb
	.p2align	8
	.type	_ZN9rocsparseL38csrgemm_numeric_fill_wf_per_row_kernelILj256ELj16ELj32ELj137Eii21rocsparse_complex_numIdEEEvT4_S3_PKS3_S5_NS_24const_host_device_scalarIT5_EEPKT3_S5_PKS7_SB_S5_SD_S8_SB_S5_SD_SB_S5_PS7_21rocsparse_index_base_SF_SF_SF_bbb,@function
_ZN9rocsparseL38csrgemm_numeric_fill_wf_per_row_kernelILj256ELj16ELj32ELj137Eii21rocsparse_complex_numIdEEEvT4_S3_PKS3_S5_NS_24const_host_device_scalarIT5_EEPKT3_S5_PKS7_SB_S5_SD_S8_SB_S5_SD_SB_S5_PS7_21rocsparse_index_base_SF_SF_SF_bbb: ; @_ZN9rocsparseL38csrgemm_numeric_fill_wf_per_row_kernelILj256ELj16ELj32ELj137Eii21rocsparse_complex_numIdEEEvT4_S3_PKS3_S5_NS_24const_host_device_scalarIT5_EEPKT3_S5_PKS7_SB_S5_SD_S8_SB_S5_SD_SB_S5_PS7_21rocsparse_index_base_SF_SF_SF_bbb
; %bb.0:
	s_clause 0x3
	s_load_b32 s3, s[0:1], 0xa8
	s_load_b128 s[8:11], s[0:1], 0x18
	s_load_b128 s[16:19], s[0:1], 0x58
	;; [unrolled: 1-line block ×3, first 2 shown]
	v_mov_b64_e32 v[4:5], 0
	v_mov_b64_e32 v[10:11], 0
	;; [unrolled: 1-line block ×3, first 2 shown]
	v_mbcnt_lo_u32_b32 v1, -1, 0
	s_wait_kmcnt 0x0
	s_bitcmp1_b32 s3, 0
	v_mov_b64_e32 v[2:3], s[8:9]
	s_cselect_b32 s36, -1, 0
	s_bitcmp1_b32 s3, 16
	v_mov_b64_e32 v[6:7], s[16:17]
	s_cselect_b32 s2, -1, 0
	s_clause 0x1
	scratch_store_b64 off, v[2:3], off
	scratch_store_b64 off, v[6:7], off offset:8
	s_xor_b32 s26, s2, -1
	s_bitcmp0_b32 s3, 0
	v_cndmask_b32_e64 v8, 0, 1, s26
	s_delay_alu instid0(VALU_DEP_1)
	v_cmp_ne_u32_e32 vcc_lo, 1, v8
	s_cbranch_scc1 .LBB61_3
; %bb.1:
	s_wait_xcnt 0x1
	v_dual_mov_b32 v2, 0 :: v_dual_lshlrev_b32 v3, 20, v1
	v_mov_b64_e32 v[12:13], s[10:11]
	s_and_b32 vcc_lo, exec_lo, vcc_lo
	s_delay_alu instid0(VALU_DEP_2) | instskip(NEXT) | instid1(VALU_DEP_1)
	v_add_nc_u64_e32 v[2:3], src_flat_scratch_base_lo, v[2:3]
	v_cndmask_b32_e64 v3, s9, v3, s2
	s_delay_alu instid0(VALU_DEP_2)
	v_cndmask_b32_e64 v2, s8, v2, s2
	flat_load_b64 v[10:11], v[2:3]
	s_cbranch_vccnz .LBB61_3
; %bb.2:
	s_wait_xcnt 0x0
	v_mov_b32_e32 v2, 0
	flat_load_b64 v[12:13], v2, s[8:9] offset:8
.LBB61_3:
	s_clause 0x4
	s_load_b64 s[24:25], s[0:1], 0x90
	s_load_b128 s[8:11], s[0:1], 0x70
	s_load_b128 s[12:15], s[0:1], 0x48
	;; [unrolled: 1-line block ×3, first 2 shown]
	s_load_b64 s[28:29], s[0:1], 0x30
	v_mov_b64_e32 v[6:7], 0
	s_bitcmp1_b32 s3, 8
	s_cselect_b32 s33, -1, 0
	s_bfe_u32 s3, s3, 0x10008
	s_delay_alu instid0(SALU_CYCLE_1)
	s_cmp_eq_u32 s3, 0
	s_cbranch_scc1 .LBB61_6
; %bb.4:
	v_dual_mov_b32 v2, 8 :: v_dual_lshlrev_b32 v3, 20, v1
	v_mov_b64_e32 v[4:5], s[18:19]
	s_and_not1_b32 vcc_lo, exec_lo, s26
	s_delay_alu instid0(VALU_DEP_2) | instskip(NEXT) | instid1(VALU_DEP_1)
	v_add_nc_u64_e32 v[2:3], src_flat_scratch_base_lo, v[2:3]
	v_cndmask_b32_e64 v3, s17, v3, s2
	s_delay_alu instid0(VALU_DEP_2)
	v_cndmask_b32_e64 v2, s16, v2, s2
	flat_load_b64 v[6:7], v[2:3]
	s_cbranch_vccnz .LBB61_6
; %bb.5:
	v_mov_b32_e32 v1, 0
	flat_load_b64 v[4:5], v1, s[16:17] offset:8
.LBB61_6:
	s_clause 0x4
	s_load_b64 s[2:3], s[0:1], 0x0
	s_load_b64 s[34:35], s[0:1], 0x28
	;; [unrolled: 1-line block ×4, first 2 shown]
	s_load_b128 s[16:19], s[0:1], 0x38
	v_dual_lshrrev_b32 v9, 4, v0 :: v_dual_bitop2_b32 v25, 15, v0 bitop3:0x40
	s_wait_xcnt 0x0
	s_mov_b32 s0, 0
	s_delay_alu instid0(VALU_DEP_1) | instskip(NEXT) | instid1(VALU_DEP_2)
	v_dual_mov_b32 v0, 0 :: v_dual_lshlrev_b32 v1, 7, v9
	v_dual_lshlrev_b32 v2, 2, v25 :: v_dual_lshlrev_b32 v3, 4, v25
	v_or_b32_e32 v20, -16, v25
	s_delay_alu instid0(VALU_DEP_2) | instskip(NEXT) | instid1(VALU_DEP_3)
	v_or3_b32 v21, v1, v2, 0x2000
	v_lshl_or_b32 v22, v9, 9, v3
	v_dual_mov_b32 v1, v0 :: v_dual_mov_b32 v2, v0
	s_delay_alu instid0(VALU_DEP_3) | instskip(SKIP_1) | instid1(VALU_DEP_3)
	v_dual_mov_b32 v3, v0 :: v_dual_mov_b32 v8, v21
	s_wait_kmcnt 0x0
	v_dual_mov_b32 v14, v22 :: v_dual_mov_b32 v15, s3
	v_mov_b32_e32 v16, v20
.LBB61_7:                               ; =>This Inner Loop Header: Depth=1
	s_delay_alu instid0(VALU_DEP_1)
	v_add_co_u32 v16, s1, v16, 16
	s_xor_b32 s1, s1, -1
	ds_store_b32 v8, v15
	ds_store_b128 v14, v[0:3]
	v_add_nc_u32_e32 v14, 0x100, v14
	v_add_nc_u32_e32 v8, 64, v8
	s_and_b32 s1, exec_lo, s1
	s_delay_alu instid0(SALU_CYCLE_1) | instskip(NEXT) | instid1(SALU_CYCLE_1)
	s_or_b32 s0, s1, s0
	s_and_not1_b32 exec_lo, exec_lo, s0
	s_cbranch_execnz .LBB61_7
; %bb.8:
	s_or_b32 exec_lo, exec_lo, s0
	s_bfe_u32 s0, ttmp6, 0x4000c
	s_and_b32 s1, ttmp6, 15
	s_add_co_i32 s0, s0, 1
	s_getreg_b32 s37, hwreg(HW_REG_IB_STS2, 6, 4)
	s_mul_i32 s0, ttmp9, s0
	s_wait_storecnt 0x0
	s_wait_loadcnt_dscnt 0x0
	s_add_co_i32 s1, s1, s0
	s_cmp_eq_u32 s37, 0
	s_cselect_b32 s0, ttmp9, s1
	s_delay_alu instid0(SALU_CYCLE_1) | instskip(NEXT) | instid1(SALU_CYCLE_1)
	s_lshl_b32 s0, s0, 4
	v_and_or_b32 v8, 0xffffff0, s0, v9
	s_mov_b32 s0, exec_lo
	s_delay_alu instid0(VALU_DEP_1)
	v_cmpx_gt_i32_e64 s2, v8
	s_cbranch_execz .LBB61_48
; %bb.9:
	s_cmp_eq_u64 s[22:23], 0
	s_cbranch_scc1 .LBB61_11
; %bb.10:
	s_load_b32 s0, s[20:21], 0x0
	s_wait_kmcnt 0x0
	v_add_nc_u32_e32 v0, s0, v8
	global_load_b32 v8, v0, s[22:23] scale_offset
.LBB61_11:
	v_lshl_or_b32 v23, v9, 7, 0x2000
	s_wait_loadcnt 0x0
	v_dual_lshlrev_b32 v24, 9, v9 :: v_dual_ashrrev_i32 v9, 31, v8
	s_and_not1_b32 vcc_lo, exec_lo, s36
	s_cbranch_vccnz .LBB61_29
; %bb.12:
	s_delay_alu instid0(VALU_DEP_1)
	v_lshl_add_u64 v[0:1], v[8:9], 2, s[34:35]
	v_subrev_nc_u32_e32 v2, s4, v25
	s_mov_b32 s0, exec_lo
	global_load_b64 v[0:1], v[0:1], off
	s_wait_loadcnt 0x0
	v_subrev_nc_u32_e32 v26, s4, v1
	v_add_nc_u32_e32 v14, v0, v2
	s_delay_alu instid0(VALU_DEP_1)
	v_cmpx_lt_i32_e64 v14, v26
	s_cbranch_execz .LBB61_28
; %bb.13:
	s_mov_b32 s1, 0
	s_branch .LBB61_15
.LBB61_14:                              ;   in Loop: Header=BB61_15 Depth=1
	s_or_b32 exec_lo, exec_lo, s2
	v_add_nc_u32_e32 v14, 16, v14
	s_delay_alu instid0(VALU_DEP_1) | instskip(SKIP_1) | instid1(SALU_CYCLE_1)
	v_cmp_ge_i32_e32 vcc_lo, v14, v26
	s_or_b32 s1, vcc_lo, s1
	s_and_not1_b32 exec_lo, exec_lo, s1
	s_cbranch_execz .LBB61_28
.LBB61_15:                              ; =>This Loop Header: Depth=1
                                        ;     Child Loop BB61_19 Depth 2
                                        ;       Child Loop BB61_22 Depth 3
	global_load_b32 v0, v14, s[28:29] scale_offset
	s_mov_b32 s2, exec_lo
	s_wait_loadcnt 0x0
	v_subrev_nc_u32_e32 v0, s4, v0
	s_delay_alu instid0(VALU_DEP_1) | instskip(NEXT) | instid1(VALU_DEP_1)
	v_ashrrev_i32_e32 v1, 31, v0
	v_lshl_add_u64 v[0:1], v[0:1], 2, s[18:19]
	global_load_b64 v[0:1], v[0:1], off
	s_wait_loadcnt 0x0
	s_wait_xcnt 0x0
	v_cmpx_lt_i32_e64 v0, v1
	s_cbranch_execz .LBB61_14
; %bb.16:                               ;   in Loop: Header=BB61_15 Depth=1
	v_ashrrev_i32_e32 v15, 31, v14
	v_subrev_nc_u32_e32 v27, s5, v0
	s_mov_b32 s20, 0
	s_delay_alu instid0(VALU_DEP_2)
	v_lshl_add_u64 v[2:3], v[14:15], 4, s[16:17]
	v_subrev_nc_u32_e32 v15, s5, v1
	global_load_b128 v[28:31], v[2:3], off
	s_wait_loadcnt 0x0
	v_mul_f64_e64 v[16:17], v[30:31], -v[12:13]
	v_mul_f64_e32 v[18:19], v[10:11], v[30:31]
	s_delay_alu instid0(VALU_DEP_2) | instskip(NEXT) | instid1(VALU_DEP_2)
	v_fmac_f64_e32 v[16:17], v[10:11], v[28:29]
	v_fmac_f64_e32 v[18:19], v[12:13], v[28:29]
	s_branch .LBB61_19
.LBB61_17:                              ;   in Loop: Header=BB61_19 Depth=2
	s_or_b32 exec_lo, exec_lo, s22
.LBB61_18:                              ;   in Loop: Header=BB61_19 Depth=2
	s_delay_alu instid0(SALU_CYCLE_1) | instskip(SKIP_4) | instid1(VALU_DEP_1)
	s_or_b32 exec_lo, exec_lo, s21
	s_wait_loadcnt 0x0
	v_mul_f64_e64 v[30:31], v[2:3], -v[18:19]
	v_mul_f64_e32 v[2:3], v[16:17], v[2:3]
	v_add_nc_u32_e32 v27, 1, v27
	v_cmp_ge_i32_e32 vcc_lo, v27, v15
	s_or_b32 s20, vcc_lo, s20
	s_delay_alu instid0(VALU_DEP_4) | instskip(NEXT) | instid1(VALU_DEP_4)
	v_fmac_f64_e32 v[30:31], v[16:17], v[0:1]
	v_fmac_f64_e32 v[2:3], v[18:19], v[0:1]
	v_lshl_add_u32 v0, v28, 4, v24
	ds_add_f64 v0, v[30:31]
	ds_add_f64 v0, v[2:3] offset:8
	s_and_not1_b32 exec_lo, exec_lo, s20
	s_cbranch_execz .LBB61_14
.LBB61_19:                              ;   Parent Loop BB61_15 Depth=1
                                        ; =>  This Loop Header: Depth=2
                                        ;       Child Loop BB61_22 Depth 3
	s_clause 0x1
	global_load_b32 v28, v27, s[12:13] scale_offset
	global_load_b128 v[0:3], v27, s[14:15] scale_offset
	s_mov_b32 s21, exec_lo
	s_wait_loadcnt 0x1
	v_subrev_nc_u32_e32 v29, s5, v28
	s_delay_alu instid0(VALU_DEP_1) | instskip(NEXT) | instid1(VALU_DEP_1)
	v_lshl_add_u32 v28, v29, 3, v29
	v_and_b32_e32 v28, 31, v28
	s_delay_alu instid0(VALU_DEP_1)
	v_lshl_add_u32 v30, v28, 2, v23
	ds_load_b32 v31, v30
	s_wait_dscnt 0x0
	s_wait_xcnt 0x0
	v_cmpx_ne_u32_e64 v31, v29
	s_cbranch_execz .LBB61_18
; %bb.20:                               ;   in Loop: Header=BB61_19 Depth=2
	s_mov_b32 s22, 0
	s_branch .LBB61_22
.LBB61_21:                              ;   in Loop: Header=BB61_22 Depth=3
	s_or_b32 exec_lo, exec_lo, s35
	s_delay_alu instid0(SALU_CYCLE_1) | instskip(NEXT) | instid1(SALU_CYCLE_1)
	s_and_b32 s23, exec_lo, s34
	s_or_b32 s22, s23, s22
	s_delay_alu instid0(SALU_CYCLE_1)
	s_and_not1_b32 exec_lo, exec_lo, s22
	s_cbranch_execz .LBB61_17
.LBB61_22:                              ;   Parent Loop BB61_15 Depth=1
                                        ;     Parent Loop BB61_19 Depth=2
                                        ; =>    This Inner Loop Header: Depth=3
	s_mov_b32 s23, 0
	s_mov_b32 s34, exec_lo
	v_cmpx_ne_u32_e64 s3, v31
	s_xor_b32 s34, exec_lo, s34
	s_cbranch_execz .LBB61_24
; %bb.23:                               ;   in Loop: Header=BB61_22 Depth=3
	v_add_nc_u32_e32 v28, 1, v28
	s_mov_b32 s23, exec_lo
                                        ; implicit-def: $vgpr30
	s_delay_alu instid0(VALU_DEP_1)
	v_and_b32_e32 v28, 31, v28
	s_and_not1_saveexec_b32 s34, s34
	s_cbranch_execz .LBB61_26
	s_branch .LBB61_25
.LBB61_24:                              ;   in Loop: Header=BB61_22 Depth=3
	s_and_not1_saveexec_b32 s34, s34
	s_cbranch_execz .LBB61_26
.LBB61_25:                              ;   in Loop: Header=BB61_22 Depth=3
	v_mov_b32_e32 v31, s3
	s_and_not1_b32 s23, s23, exec_lo
	ds_cmpstore_rtn_b32 v30, v30, v29, v31
	s_wait_dscnt 0x0
	v_cmp_ne_u32_e32 vcc_lo, s3, v30
	s_and_b32 s35, vcc_lo, exec_lo
	s_delay_alu instid0(SALU_CYCLE_1)
	s_or_b32 s23, s23, s35
.LBB61_26:                              ;   in Loop: Header=BB61_22 Depth=3
	s_or_b32 exec_lo, exec_lo, s34
	s_mov_b32 s34, -1
                                        ; implicit-def: $vgpr30
                                        ; implicit-def: $vgpr31
	s_and_saveexec_b32 s35, s23
	s_cbranch_execz .LBB61_21
; %bb.27:                               ;   in Loop: Header=BB61_22 Depth=3
	v_lshl_add_u32 v30, v28, 2, v23
	ds_load_b32 v31, v30
	s_wait_dscnt 0x0
	v_cmp_eq_u32_e32 vcc_lo, v31, v29
	s_or_not1_b32 s34, vcc_lo, exec_lo
	s_branch .LBB61_21
.LBB61_28:
	s_or_b32 exec_lo, exec_lo, s0
.LBB61_29:
	s_delay_alu instid0(SALU_CYCLE_1)
	s_and_not1_b32 vcc_lo, exec_lo, s33
	s_cbranch_vccnz .LBB61_44
; %bb.30:
	v_lshl_add_u64 v[0:1], v[8:9], 2, s[30:31]
	v_subrev_nc_u32_e32 v2, s7, v25
	s_mov_b32 s0, exec_lo
	global_load_b64 v[0:1], v[0:1], off
	s_wait_loadcnt 0x0
	v_subrev_nc_u32_e32 v10, s7, v1
	v_add_nc_u32_e32 v11, v0, v2
	s_delay_alu instid0(VALU_DEP_1)
	v_cmpx_lt_i32_e64 v11, v10
	s_cbranch_execz .LBB61_43
; %bb.31:
	s_mov_b32 s1, 0
	s_branch .LBB61_34
.LBB61_32:                              ;   in Loop: Header=BB61_34 Depth=1
	s_or_b32 exec_lo, exec_lo, s4
.LBB61_33:                              ;   in Loop: Header=BB61_34 Depth=1
	s_delay_alu instid0(SALU_CYCLE_1) | instskip(SKIP_3) | instid1(VALU_DEP_2)
	s_or_b32 exec_lo, exec_lo, s2
	s_wait_loadcnt 0x0
	v_dual_mul_f64 v[14:15], v[2:3], -v[4:5] :: v_dual_add_nc_u32 v11, 16, v11
	v_mul_f64_e32 v[2:3], v[6:7], v[2:3]
	v_cmp_ge_i32_e32 vcc_lo, v11, v10
	s_or_b32 s1, vcc_lo, s1
	s_delay_alu instid0(VALU_DEP_3) | instskip(NEXT) | instid1(VALU_DEP_3)
	v_fmac_f64_e32 v[14:15], v[6:7], v[0:1]
	v_fmac_f64_e32 v[2:3], v[4:5], v[0:1]
	v_lshl_add_u32 v0, v12, 4, v24
	ds_add_f64 v0, v[14:15]
	ds_add_f64 v0, v[2:3] offset:8
	s_and_not1_b32 exec_lo, exec_lo, s1
	s_cbranch_execz .LBB61_43
.LBB61_34:                              ; =>This Loop Header: Depth=1
                                        ;     Child Loop BB61_37 Depth 2
	s_clause 0x1
	global_load_b32 v12, v11, s[8:9] scale_offset
	global_load_b128 v[0:3], v11, s[10:11] scale_offset
	s_mov_b32 s2, exec_lo
	s_wait_loadcnt 0x1
	v_subrev_nc_u32_e32 v13, s7, v12
	s_delay_alu instid0(VALU_DEP_1) | instskip(NEXT) | instid1(VALU_DEP_1)
	v_lshl_add_u32 v12, v13, 3, v13
	v_and_b32_e32 v12, 31, v12
	s_delay_alu instid0(VALU_DEP_1)
	v_lshl_add_u32 v14, v12, 2, v23
	ds_load_b32 v15, v14
	s_wait_dscnt 0x0
	s_wait_xcnt 0x0
	v_cmpx_ne_u32_e64 v15, v13
	s_cbranch_execz .LBB61_33
; %bb.35:                               ;   in Loop: Header=BB61_34 Depth=1
	s_mov_b32 s4, 0
	s_branch .LBB61_37
.LBB61_36:                              ;   in Loop: Header=BB61_37 Depth=2
	s_or_b32 exec_lo, exec_lo, s13
	s_delay_alu instid0(SALU_CYCLE_1) | instskip(NEXT) | instid1(SALU_CYCLE_1)
	s_and_b32 s5, exec_lo, s12
	s_or_b32 s4, s5, s4
	s_delay_alu instid0(SALU_CYCLE_1)
	s_and_not1_b32 exec_lo, exec_lo, s4
	s_cbranch_execz .LBB61_32
.LBB61_37:                              ;   Parent Loop BB61_34 Depth=1
                                        ; =>  This Inner Loop Header: Depth=2
	s_mov_b32 s5, 0
	s_mov_b32 s12, exec_lo
	v_cmpx_ne_u32_e64 s3, v15
	s_xor_b32 s12, exec_lo, s12
	s_cbranch_execz .LBB61_39
; %bb.38:                               ;   in Loop: Header=BB61_37 Depth=2
	v_add_nc_u32_e32 v12, 1, v12
	s_mov_b32 s5, exec_lo
                                        ; implicit-def: $vgpr14
	s_delay_alu instid0(VALU_DEP_1)
	v_and_b32_e32 v12, 31, v12
	s_and_not1_saveexec_b32 s12, s12
	s_cbranch_execz .LBB61_41
	s_branch .LBB61_40
.LBB61_39:                              ;   in Loop: Header=BB61_37 Depth=2
	s_and_not1_saveexec_b32 s12, s12
	s_cbranch_execz .LBB61_41
.LBB61_40:                              ;   in Loop: Header=BB61_37 Depth=2
	v_mov_b32_e32 v15, s3
	s_and_not1_b32 s5, s5, exec_lo
	ds_cmpstore_rtn_b32 v14, v14, v13, v15
	s_wait_dscnt 0x0
	v_cmp_ne_u32_e32 vcc_lo, s3, v14
	s_and_b32 s13, vcc_lo, exec_lo
	s_delay_alu instid0(SALU_CYCLE_1)
	s_or_b32 s5, s5, s13
.LBB61_41:                              ;   in Loop: Header=BB61_37 Depth=2
	s_or_b32 exec_lo, exec_lo, s12
	s_mov_b32 s12, -1
                                        ; implicit-def: $vgpr14
                                        ; implicit-def: $vgpr15
	s_and_saveexec_b32 s13, s5
	s_cbranch_execz .LBB61_36
; %bb.42:                               ;   in Loop: Header=BB61_37 Depth=2
	v_lshl_add_u32 v14, v12, 2, v23
	ds_load_b32 v15, v14
	s_wait_dscnt 0x0
	v_cmp_eq_u32_e32 vcc_lo, v15, v13
	s_or_not1_b32 s12, vcc_lo, exec_lo
	s_branch .LBB61_36
.LBB61_43:
	s_or_b32 exec_lo, exec_lo, s0
.LBB61_44:
	v_lshl_add_u64 v[0:1], v[8:9], 2, s[26:27]
	s_wait_dscnt 0x0
	s_mov_b32 s0, 0
	global_load_b32 v0, v[0:1], off
	s_wait_loadcnt 0x0
	v_subrev_nc_u32_e32 v0, s6, v0
	s_branch .LBB61_46
.LBB61_45:                              ;   in Loop: Header=BB61_46 Depth=1
	s_wait_xcnt 0x0
	s_or_b32 exec_lo, exec_lo, s1
	v_add_co_u32 v20, s1, v20, 16
	s_xor_b32 s1, s1, -1
	v_add_nc_u32_e32 v22, 0x100, v22
	v_add_nc_u32_e32 v21, 64, v21
	s_and_b32 s1, exec_lo, s1
	s_delay_alu instid0(SALU_CYCLE_1) | instskip(NEXT) | instid1(SALU_CYCLE_1)
	s_or_b32 s0, s1, s0
	s_and_not1_b32 exec_lo, exec_lo, s0
	s_cbranch_execz .LBB61_48
.LBB61_46:                              ; =>This Inner Loop Header: Depth=1
	ds_load_b32 v1, v21
	s_mov_b32 s1, exec_lo
	s_wait_dscnt 0x0
	v_cmpx_gt_i32_e64 s3, v1
	s_cbranch_execz .LBB61_45
; %bb.47:                               ;   in Loop: Header=BB61_46 Depth=1
	ds_load_b128 v[2:5], v23
	ds_load_b128 v[6:9], v23 offset:16
	ds_load_b128 v[10:13], v23 offset:32
	;; [unrolled: 1-line block ×7, first 2 shown]
	ds_load_2addr_b64 v[40:43], v22 offset1:1
	s_wait_dscnt 0x8
	v_cmp_gt_i32_e32 vcc_lo, v1, v2
	v_cndmask_b32_e64 v2, 0, 1, vcc_lo
	v_cmp_gt_i32_e32 vcc_lo, v1, v4
	v_cndmask_b32_e64 v4, 0, 1, vcc_lo
	v_cmp_gt_i32_e32 vcc_lo, v1, v3
	s_delay_alu instid0(VALU_DEP_4)
	v_add_co_ci_u32_e64 v2, null, v0, v2, vcc_lo
	s_wait_dscnt 0x7
	v_cmp_gt_i32_e32 vcc_lo, v1, v6
	v_cndmask_b32_e64 v3, 0, 1, vcc_lo
	v_cmp_gt_i32_e32 vcc_lo, v1, v5
	v_add_co_ci_u32_e64 v2, null, v2, v4, vcc_lo
	v_cmp_gt_i32_e32 vcc_lo, v1, v8
	v_cndmask_b32_e64 v4, 0, 1, vcc_lo
	v_cmp_gt_i32_e32 vcc_lo, v1, v7
	s_delay_alu instid0(VALU_DEP_4)
	v_add_co_ci_u32_e64 v2, null, v2, v3, vcc_lo
	s_wait_dscnt 0x6
	v_cmp_gt_i32_e32 vcc_lo, v1, v10
	v_cndmask_b32_e64 v3, 0, 1, vcc_lo
	v_cmp_gt_i32_e32 vcc_lo, v1, v9
	v_add_co_ci_u32_e64 v2, null, v2, v4, vcc_lo
	;; [unrolled: 10-line block ×7, first 2 shown]
	v_cmp_gt_i32_e32 vcc_lo, v1, v37
	s_delay_alu instid0(VALU_DEP_2) | instskip(SKIP_3) | instid1(VALU_DEP_2)
	v_add_co_ci_u32_e64 v2, null, v2, v3, vcc_lo
	v_cmp_gt_i32_e32 vcc_lo, v1, v38
	v_cndmask_b32_e64 v3, 0, 1, vcc_lo
	v_cmp_gt_i32_e32 vcc_lo, v1, v39
	v_add_co_ci_u32_e64 v1, null, v2, v3, vcc_lo
	s_wait_dscnt 0x0
	global_store_b128 v1, v[40:43], s[24:25] scale_offset
	s_branch .LBB61_45
.LBB61_48:
	s_endpgm
	.section	.rodata,"a",@progbits
	.p2align	6, 0x0
	.amdhsa_kernel _ZN9rocsparseL38csrgemm_numeric_fill_wf_per_row_kernelILj256ELj16ELj32ELj137Eii21rocsparse_complex_numIdEEEvT4_S3_PKS3_S5_NS_24const_host_device_scalarIT5_EEPKT3_S5_PKS7_SB_S5_SD_S8_SB_S5_SD_SB_S5_PS7_21rocsparse_index_base_SF_SF_SF_bbb
		.amdhsa_group_segment_fixed_size 10240
		.amdhsa_private_segment_fixed_size 24
		.amdhsa_kernarg_size 172
		.amdhsa_user_sgpr_count 2
		.amdhsa_user_sgpr_dispatch_ptr 0
		.amdhsa_user_sgpr_queue_ptr 0
		.amdhsa_user_sgpr_kernarg_segment_ptr 1
		.amdhsa_user_sgpr_dispatch_id 0
		.amdhsa_user_sgpr_kernarg_preload_length 0
		.amdhsa_user_sgpr_kernarg_preload_offset 0
		.amdhsa_user_sgpr_private_segment_size 0
		.amdhsa_wavefront_size32 1
		.amdhsa_uses_dynamic_stack 0
		.amdhsa_enable_private_segment 1
		.amdhsa_system_sgpr_workgroup_id_x 1
		.amdhsa_system_sgpr_workgroup_id_y 0
		.amdhsa_system_sgpr_workgroup_id_z 0
		.amdhsa_system_sgpr_workgroup_info 0
		.amdhsa_system_vgpr_workitem_id 0
		.amdhsa_next_free_vgpr 44
		.amdhsa_next_free_sgpr 38
		.amdhsa_named_barrier_count 0
		.amdhsa_reserve_vcc 1
		.amdhsa_float_round_mode_32 0
		.amdhsa_float_round_mode_16_64 0
		.amdhsa_float_denorm_mode_32 3
		.amdhsa_float_denorm_mode_16_64 3
		.amdhsa_fp16_overflow 0
		.amdhsa_memory_ordered 1
		.amdhsa_forward_progress 1
		.amdhsa_inst_pref_size 20
		.amdhsa_round_robin_scheduling 0
		.amdhsa_exception_fp_ieee_invalid_op 0
		.amdhsa_exception_fp_denorm_src 0
		.amdhsa_exception_fp_ieee_div_zero 0
		.amdhsa_exception_fp_ieee_overflow 0
		.amdhsa_exception_fp_ieee_underflow 0
		.amdhsa_exception_fp_ieee_inexact 0
		.amdhsa_exception_int_div_zero 0
	.end_amdhsa_kernel
	.section	.text._ZN9rocsparseL38csrgemm_numeric_fill_wf_per_row_kernelILj256ELj16ELj32ELj137Eii21rocsparse_complex_numIdEEEvT4_S3_PKS3_S5_NS_24const_host_device_scalarIT5_EEPKT3_S5_PKS7_SB_S5_SD_S8_SB_S5_SD_SB_S5_PS7_21rocsparse_index_base_SF_SF_SF_bbb,"axG",@progbits,_ZN9rocsparseL38csrgemm_numeric_fill_wf_per_row_kernelILj256ELj16ELj32ELj137Eii21rocsparse_complex_numIdEEEvT4_S3_PKS3_S5_NS_24const_host_device_scalarIT5_EEPKT3_S5_PKS7_SB_S5_SD_S8_SB_S5_SD_SB_S5_PS7_21rocsparse_index_base_SF_SF_SF_bbb,comdat
.Lfunc_end61:
	.size	_ZN9rocsparseL38csrgemm_numeric_fill_wf_per_row_kernelILj256ELj16ELj32ELj137Eii21rocsparse_complex_numIdEEEvT4_S3_PKS3_S5_NS_24const_host_device_scalarIT5_EEPKT3_S5_PKS7_SB_S5_SD_S8_SB_S5_SD_SB_S5_PS7_21rocsparse_index_base_SF_SF_SF_bbb, .Lfunc_end61-_ZN9rocsparseL38csrgemm_numeric_fill_wf_per_row_kernelILj256ELj16ELj32ELj137Eii21rocsparse_complex_numIdEEEvT4_S3_PKS3_S5_NS_24const_host_device_scalarIT5_EEPKT3_S5_PKS7_SB_S5_SD_S8_SB_S5_SD_SB_S5_PS7_21rocsparse_index_base_SF_SF_SF_bbb
                                        ; -- End function
	.set _ZN9rocsparseL38csrgemm_numeric_fill_wf_per_row_kernelILj256ELj16ELj32ELj137Eii21rocsparse_complex_numIdEEEvT4_S3_PKS3_S5_NS_24const_host_device_scalarIT5_EEPKT3_S5_PKS7_SB_S5_SD_S8_SB_S5_SD_SB_S5_PS7_21rocsparse_index_base_SF_SF_SF_bbb.num_vgpr, 44
	.set _ZN9rocsparseL38csrgemm_numeric_fill_wf_per_row_kernelILj256ELj16ELj32ELj137Eii21rocsparse_complex_numIdEEEvT4_S3_PKS3_S5_NS_24const_host_device_scalarIT5_EEPKT3_S5_PKS7_SB_S5_SD_S8_SB_S5_SD_SB_S5_PS7_21rocsparse_index_base_SF_SF_SF_bbb.num_agpr, 0
	.set _ZN9rocsparseL38csrgemm_numeric_fill_wf_per_row_kernelILj256ELj16ELj32ELj137Eii21rocsparse_complex_numIdEEEvT4_S3_PKS3_S5_NS_24const_host_device_scalarIT5_EEPKT3_S5_PKS7_SB_S5_SD_S8_SB_S5_SD_SB_S5_PS7_21rocsparse_index_base_SF_SF_SF_bbb.numbered_sgpr, 38
	.set _ZN9rocsparseL38csrgemm_numeric_fill_wf_per_row_kernelILj256ELj16ELj32ELj137Eii21rocsparse_complex_numIdEEEvT4_S3_PKS3_S5_NS_24const_host_device_scalarIT5_EEPKT3_S5_PKS7_SB_S5_SD_S8_SB_S5_SD_SB_S5_PS7_21rocsparse_index_base_SF_SF_SF_bbb.num_named_barrier, 0
	.set _ZN9rocsparseL38csrgemm_numeric_fill_wf_per_row_kernelILj256ELj16ELj32ELj137Eii21rocsparse_complex_numIdEEEvT4_S3_PKS3_S5_NS_24const_host_device_scalarIT5_EEPKT3_S5_PKS7_SB_S5_SD_S8_SB_S5_SD_SB_S5_PS7_21rocsparse_index_base_SF_SF_SF_bbb.private_seg_size, 24
	.set _ZN9rocsparseL38csrgemm_numeric_fill_wf_per_row_kernelILj256ELj16ELj32ELj137Eii21rocsparse_complex_numIdEEEvT4_S3_PKS3_S5_NS_24const_host_device_scalarIT5_EEPKT3_S5_PKS7_SB_S5_SD_S8_SB_S5_SD_SB_S5_PS7_21rocsparse_index_base_SF_SF_SF_bbb.uses_vcc, 1
	.set _ZN9rocsparseL38csrgemm_numeric_fill_wf_per_row_kernelILj256ELj16ELj32ELj137Eii21rocsparse_complex_numIdEEEvT4_S3_PKS3_S5_NS_24const_host_device_scalarIT5_EEPKT3_S5_PKS7_SB_S5_SD_S8_SB_S5_SD_SB_S5_PS7_21rocsparse_index_base_SF_SF_SF_bbb.uses_flat_scratch, 1
	.set _ZN9rocsparseL38csrgemm_numeric_fill_wf_per_row_kernelILj256ELj16ELj32ELj137Eii21rocsparse_complex_numIdEEEvT4_S3_PKS3_S5_NS_24const_host_device_scalarIT5_EEPKT3_S5_PKS7_SB_S5_SD_S8_SB_S5_SD_SB_S5_PS7_21rocsparse_index_base_SF_SF_SF_bbb.has_dyn_sized_stack, 0
	.set _ZN9rocsparseL38csrgemm_numeric_fill_wf_per_row_kernelILj256ELj16ELj32ELj137Eii21rocsparse_complex_numIdEEEvT4_S3_PKS3_S5_NS_24const_host_device_scalarIT5_EEPKT3_S5_PKS7_SB_S5_SD_S8_SB_S5_SD_SB_S5_PS7_21rocsparse_index_base_SF_SF_SF_bbb.has_recursion, 0
	.set _ZN9rocsparseL38csrgemm_numeric_fill_wf_per_row_kernelILj256ELj16ELj32ELj137Eii21rocsparse_complex_numIdEEEvT4_S3_PKS3_S5_NS_24const_host_device_scalarIT5_EEPKT3_S5_PKS7_SB_S5_SD_S8_SB_S5_SD_SB_S5_PS7_21rocsparse_index_base_SF_SF_SF_bbb.has_indirect_call, 0
	.section	.AMDGPU.csdata,"",@progbits
; Kernel info:
; codeLenInByte = 2460
; TotalNumSgprs: 40
; NumVgprs: 44
; ScratchSize: 24
; MemoryBound: 0
; FloatMode: 240
; IeeeMode: 1
; LDSByteSize: 10240 bytes/workgroup (compile time only)
; SGPRBlocks: 0
; VGPRBlocks: 2
; NumSGPRsForWavesPerEU: 40
; NumVGPRsForWavesPerEU: 44
; NamedBarCnt: 0
; Occupancy: 16
; WaveLimiterHint : 1
; COMPUTE_PGM_RSRC2:SCRATCH_EN: 1
; COMPUTE_PGM_RSRC2:USER_SGPR: 2
; COMPUTE_PGM_RSRC2:TRAP_HANDLER: 0
; COMPUTE_PGM_RSRC2:TGID_X_EN: 1
; COMPUTE_PGM_RSRC2:TGID_Y_EN: 0
; COMPUTE_PGM_RSRC2:TGID_Z_EN: 0
; COMPUTE_PGM_RSRC2:TIDIG_COMP_CNT: 0
	.section	.text._ZN9rocsparseL41csrgemm_numeric_fill_block_per_row_kernelILj128ELj16ELj256ELj137ELj32Eii21rocsparse_complex_numIdEEEvT5_PKS3_S5_NS_24const_host_device_scalarIT6_EEPKT4_S5_PKS7_SB_S5_SD_S8_SB_S5_SD_SB_S5_PS7_21rocsparse_index_base_SF_SF_SF_bbb,"axG",@progbits,_ZN9rocsparseL41csrgemm_numeric_fill_block_per_row_kernelILj128ELj16ELj256ELj137ELj32Eii21rocsparse_complex_numIdEEEvT5_PKS3_S5_NS_24const_host_device_scalarIT6_EEPKT4_S5_PKS7_SB_S5_SD_S8_SB_S5_SD_SB_S5_PS7_21rocsparse_index_base_SF_SF_SF_bbb,comdat
	.globl	_ZN9rocsparseL41csrgemm_numeric_fill_block_per_row_kernelILj128ELj16ELj256ELj137ELj32Eii21rocsparse_complex_numIdEEEvT5_PKS3_S5_NS_24const_host_device_scalarIT6_EEPKT4_S5_PKS7_SB_S5_SD_S8_SB_S5_SD_SB_S5_PS7_21rocsparse_index_base_SF_SF_SF_bbb ; -- Begin function _ZN9rocsparseL41csrgemm_numeric_fill_block_per_row_kernelILj128ELj16ELj256ELj137ELj32Eii21rocsparse_complex_numIdEEEvT5_PKS3_S5_NS_24const_host_device_scalarIT6_EEPKT4_S5_PKS7_SB_S5_SD_S8_SB_S5_SD_SB_S5_PS7_21rocsparse_index_base_SF_SF_SF_bbb
	.p2align	8
	.type	_ZN9rocsparseL41csrgemm_numeric_fill_block_per_row_kernelILj128ELj16ELj256ELj137ELj32Eii21rocsparse_complex_numIdEEEvT5_PKS3_S5_NS_24const_host_device_scalarIT6_EEPKT4_S5_PKS7_SB_S5_SD_S8_SB_S5_SD_SB_S5_PS7_21rocsparse_index_base_SF_SF_SF_bbb,@function
_ZN9rocsparseL41csrgemm_numeric_fill_block_per_row_kernelILj128ELj16ELj256ELj137ELj32Eii21rocsparse_complex_numIdEEEvT5_PKS3_S5_NS_24const_host_device_scalarIT6_EEPKT4_S5_PKS7_SB_S5_SD_S8_SB_S5_SD_SB_S5_PS7_21rocsparse_index_base_SF_SF_SF_bbb: ; @_ZN9rocsparseL41csrgemm_numeric_fill_block_per_row_kernelILj128ELj16ELj256ELj137ELj32Eii21rocsparse_complex_numIdEEEvT5_PKS3_S5_NS_24const_host_device_scalarIT6_EEPKT4_S5_PKS7_SB_S5_SD_S8_SB_S5_SD_SB_S5_PS7_21rocsparse_index_base_SF_SF_SF_bbb
; %bb.0:
	s_clause 0x2
	s_load_b32 s13, s[0:1], 0xa8
	s_load_b128 s[4:7], s[0:1], 0x18
	s_load_b128 s[8:11], s[0:1], 0x58
	v_mov_b64_e32 v[6:7], 0
	v_mov_b64_e32 v[10:11], 0
	;; [unrolled: 1-line block ×3, first 2 shown]
	v_mbcnt_lo_u32_b32 v21, -1, 0
	s_wait_kmcnt 0x0
	s_bitcmp1_b32 s13, 0
	v_mov_b64_e32 v[2:3], s[4:5]
	s_cselect_b32 s36, -1, 0
	s_bitcmp1_b32 s13, 16
	v_mov_b64_e32 v[4:5], s[8:9]
	s_cselect_b32 s2, -1, 0
	s_clause 0x1
	scratch_store_b64 off, v[2:3], off offset:16
	scratch_store_b64 off, v[4:5], off offset:24
	s_xor_b32 s12, s2, -1
	s_bitcmp0_b32 s13, 0
	v_cndmask_b32_e64 v1, 0, 1, s12
	s_delay_alu instid0(VALU_DEP_1)
	v_cmp_ne_u32_e32 vcc_lo, 1, v1
	s_cbranch_scc1 .LBB62_3
; %bb.1:
	s_wait_xcnt 0x1
	v_dual_mov_b32 v2, 16 :: v_dual_lshlrev_b32 v3, 20, v21
	v_mov_b64_e32 v[12:13], s[6:7]
	s_and_b32 vcc_lo, exec_lo, vcc_lo
	s_delay_alu instid0(VALU_DEP_2) | instskip(NEXT) | instid1(VALU_DEP_1)
	v_add_nc_u64_e32 v[2:3], src_flat_scratch_base_lo, v[2:3]
	v_cndmask_b32_e64 v3, s5, v3, s2
	s_delay_alu instid0(VALU_DEP_2)
	v_cndmask_b32_e64 v2, s4, v2, s2
	flat_load_b64 v[10:11], v[2:3]
	s_cbranch_vccnz .LBB62_3
; %bb.2:
	v_mov_b32_e32 v1, 0
	flat_load_b64 v[12:13], v1, s[4:5] offset:8
.LBB62_3:
	s_wait_xcnt 0x0
	s_load_b128 s[4:7], s[0:1], 0x98
	v_mov_b64_e32 v[8:9], 0
	s_bitcmp1_b32 s13, 8
	s_cselect_b32 s3, -1, 0
	s_bfe_u32 s13, s13, 0x10008
	s_delay_alu instid0(SALU_CYCLE_1)
	s_cmp_eq_u32 s13, 0
	s_cbranch_scc1 .LBB62_6
; %bb.4:
	v_dual_mov_b32 v2, 24 :: v_dual_lshlrev_b32 v3, 20, v21
	v_mov_b64_e32 v[6:7], s[10:11]
	s_and_not1_b32 vcc_lo, exec_lo, s12
	s_delay_alu instid0(VALU_DEP_2) | instskip(NEXT) | instid1(VALU_DEP_1)
	v_add_nc_u64_e32 v[2:3], src_flat_scratch_base_lo, v[2:3]
	v_cndmask_b32_e64 v3, s9, v3, s2
	s_delay_alu instid0(VALU_DEP_2)
	v_cndmask_b32_e64 v2, s8, v2, s2
	flat_load_b64 v[8:9], v[2:3]
	s_cbranch_vccnz .LBB62_6
; %bb.5:
	v_mov_b32_e32 v1, 0
	flat_load_b64 v[6:7], v1, s[8:9] offset:8
.LBB62_6:
	s_clause 0x5
	s_load_b64 s[24:25], s[0:1], 0x90
	s_load_b128 s[8:11], s[0:1], 0x70
	s_load_b128 s[12:15], s[0:1], 0x48
	s_load_b64 s[28:29], s[0:1], 0x30
	s_load_b128 s[20:23], s[0:1], 0x8
	s_load_b32 s33, s[0:1], 0x0
	v_cmp_gt_u32_e64 s2, 0x100, v0
	v_lshlrev_b32_e32 v22, 4, v0
	v_or_b32_e32 v1, 0xffffff80, v0
	v_lshl_add_u32 v20, v0, 2, 0
	s_and_saveexec_b32 s18, s2
	s_cbranch_execz .LBB62_9
; %bb.7:
	s_mov_b32 s16, 0
	v_add3_u32 v14, v22, 0, 0x400
	s_mov_b32 s17, s16
	s_mov_b32 s26, s16
	;; [unrolled: 1-line block ×3, first 2 shown]
	v_mov_b64_e32 v[2:3], s[16:17]
	v_mov_b64_e32 v[4:5], s[26:27]
	v_or_b32_e32 v15, 0xffffff80, v0
	v_lshl_add_u32 v16, v0, 2, 0
	s_wait_kmcnt 0x0
	v_mov_b32_e32 v17, s33
.LBB62_8:                               ; =>This Inner Loop Header: Depth=1
	s_delay_alu instid0(VALU_DEP_3)
	v_add_co_u32 v15, s17, 0x80, v15
	s_xor_b32 s17, s17, -1
	ds_store_b32 v16, v17
	ds_store_2addr_b64 v14, v[2:3], v[4:5] offset1:1
	v_add_nc_u32_e32 v14, 0x800, v14
	v_add_nc_u32_e32 v16, 0x200, v16
	s_and_b32 s17, exec_lo, s17
	s_delay_alu instid0(SALU_CYCLE_1) | instskip(NEXT) | instid1(SALU_CYCLE_1)
	s_or_b32 s16, s17, s16
	s_and_not1_b32 exec_lo, exec_lo, s16
	s_cbranch_execnz .LBB62_8
.LBB62_9:
	s_or_b32 exec_lo, exec_lo, s18
	s_clause 0x3
	s_load_b64 s[26:27], s[0:1], 0x80
	s_load_b64 s[30:31], s[0:1], 0x68
	;; [unrolled: 1-line block ×3, first 2 shown]
	s_load_b128 s[16:19], s[0:1], 0x38
	s_wait_storecnt 0x0
	s_wait_loadcnt_dscnt 0x0
	s_barrier_signal -1
	s_barrier_wait -1
	s_wait_kmcnt 0x0
	s_load_b32 s0, s[20:21], 0x0
	s_bfe_u32 s1, ttmp6, 0x4000c
	s_wait_xcnt 0x0
	s_and_b32 s20, ttmp6, 15
	s_add_co_i32 s1, s1, 1
	s_getreg_b32 s21, hwreg(HW_REG_IB_STS2, 6, 4)
	s_mul_i32 s1, ttmp9, s1
	s_delay_alu instid0(SALU_CYCLE_1)
	s_add_co_i32 s20, s20, s1
	s_cmp_eq_u32 s21, 0
	s_cselect_b32 s1, ttmp9, s20
	s_and_b32 vcc_lo, exec_lo, s36
	s_wait_kmcnt 0x0
	s_add_co_i32 s0, s0, s1
	s_load_b32 s20, s[22:23], s0 offset:0x0 scale_offset
	s_cbranch_vccz .LBB62_27
; %bb.10:
	s_wait_kmcnt 0x0
	s_ashr_i32 s21, s20, 31
	v_lshrrev_b32_e32 v2, 4, v0
	s_lshl_b64 s[0:1], s[20:21], 2
	s_delay_alu instid0(SALU_CYCLE_1) | instskip(NEXT) | instid1(VALU_DEP_1)
	s_add_nc_u64 s[0:1], s[34:35], s[0:1]
	v_subrev_nc_u32_e32 v2, s4, v2
	s_load_b64 s[22:23], s[0:1], 0x0
	s_wait_xcnt 0x0
	s_mov_b32 s1, exec_lo
	s_wait_kmcnt 0x0
	v_add_nc_u32_e32 v14, s22, v2
	s_sub_co_i32 s0, s23, s4
	s_delay_alu instid0(VALU_DEP_1) | instid1(SALU_CYCLE_1)
	v_cmpx_gt_i32_e64 s0, v14
	s_cbranch_execz .LBB62_26
; %bb.11:
	v_and_b32_e32 v2, 15, v0
	s_mov_b32 s21, 0
	s_delay_alu instid0(VALU_DEP_1)
	v_subrev_nc_u32_e32 v23, s5, v2
	s_branch .LBB62_13
.LBB62_12:                              ;   in Loop: Header=BB62_13 Depth=1
	s_or_b32 exec_lo, exec_lo, s22
	v_add_nc_u32_e32 v14, 8, v14
	s_delay_alu instid0(VALU_DEP_1) | instskip(SKIP_1) | instid1(SALU_CYCLE_1)
	v_cmp_le_i32_e32 vcc_lo, s0, v14
	s_or_b32 s21, vcc_lo, s21
	s_and_not1_b32 exec_lo, exec_lo, s21
	s_cbranch_execz .LBB62_26
.LBB62_13:                              ; =>This Loop Header: Depth=1
                                        ;     Child Loop BB62_17 Depth 2
                                        ;       Child Loop BB62_20 Depth 3
	global_load_b32 v2, v14, s[28:29] scale_offset
	s_mov_b32 s22, exec_lo
	s_wait_loadcnt 0x0
	v_subrev_nc_u32_e32 v2, s4, v2
	s_delay_alu instid0(VALU_DEP_1) | instskip(NEXT) | instid1(VALU_DEP_1)
	v_ashrrev_i32_e32 v3, 31, v2
	v_lshl_add_u64 v[2:3], v[2:3], 2, s[18:19]
	global_load_b64 v[2:3], v[2:3], off
	s_wait_loadcnt 0x0
	v_subrev_nc_u32_e32 v24, s5, v3
	v_add_nc_u32_e32 v25, v2, v23
	s_wait_xcnt 0x0
	s_delay_alu instid0(VALU_DEP_1)
	v_cmpx_lt_i32_e64 v25, v24
	s_cbranch_execz .LBB62_12
; %bb.14:                               ;   in Loop: Header=BB62_13 Depth=1
	v_ashrrev_i32_e32 v15, 31, v14
	s_mov_b32 s23, 0
	s_delay_alu instid0(VALU_DEP_1) | instskip(SKIP_4) | instid1(VALU_DEP_2)
	v_lshl_add_u64 v[2:3], v[14:15], 4, s[16:17]
	global_load_b128 v[2:5], v[2:3], off
	s_wait_loadcnt 0x0
	v_mul_f64_e64 v[16:17], v[4:5], -v[12:13]
	v_mul_f64_e32 v[18:19], v[10:11], v[4:5]
	v_fmac_f64_e32 v[16:17], v[10:11], v[2:3]
	s_delay_alu instid0(VALU_DEP_2)
	v_fmac_f64_e32 v[18:19], v[12:13], v[2:3]
	s_branch .LBB62_17
.LBB62_15:                              ;   in Loop: Header=BB62_17 Depth=2
	s_or_b32 exec_lo, exec_lo, s35
.LBB62_16:                              ;   in Loop: Header=BB62_17 Depth=2
	s_delay_alu instid0(SALU_CYCLE_1) | instskip(SKIP_3) | instid1(VALU_DEP_2)
	s_or_b32 exec_lo, exec_lo, s34
	s_wait_loadcnt 0x0
	v_dual_mul_f64 v[26:27], v[4:5], -v[18:19] :: v_dual_add_nc_u32 v25, 16, v25
	v_mul_f64_e32 v[4:5], v[16:17], v[4:5]
	v_cmp_ge_i32_e32 vcc_lo, v25, v24
	s_or_b32 s23, vcc_lo, s23
	s_delay_alu instid0(VALU_DEP_3) | instskip(NEXT) | instid1(VALU_DEP_3)
	v_fmac_f64_e32 v[26:27], v[16:17], v[2:3]
	v_fmac_f64_e32 v[4:5], v[18:19], v[2:3]
	v_lshl_add_u32 v2, v15, 4, 0
	ds_add_f64 v2, v[26:27] offset:1024
	ds_add_f64 v2, v[4:5] offset:1032
	s_and_not1_b32 exec_lo, exec_lo, s23
	s_cbranch_execz .LBB62_12
.LBB62_17:                              ;   Parent Loop BB62_13 Depth=1
                                        ; =>  This Loop Header: Depth=2
                                        ;       Child Loop BB62_20 Depth 3
	s_clause 0x1
	global_load_b32 v15, v25, s[12:13] scale_offset
	global_load_b128 v[2:5], v25, s[14:15] scale_offset
	s_mov_b32 s34, exec_lo
	s_wait_loadcnt 0x1
	v_subrev_nc_u32_e32 v26, s5, v15
	s_delay_alu instid0(VALU_DEP_1) | instskip(NEXT) | instid1(VALU_DEP_1)
	v_mul_lo_u32 v15, 0x89, v26
	v_and_b32_e32 v15, 0xff, v15
	s_delay_alu instid0(VALU_DEP_1)
	v_lshl_add_u32 v27, v15, 2, 0
	ds_load_b32 v28, v27
	s_wait_dscnt 0x0
	s_wait_xcnt 0x0
	v_cmpx_ne_u32_e64 v28, v26
	s_cbranch_execz .LBB62_16
; %bb.18:                               ;   in Loop: Header=BB62_17 Depth=2
	s_mov_b32 s35, 0
	s_branch .LBB62_20
.LBB62_19:                              ;   in Loop: Header=BB62_20 Depth=3
	s_or_b32 exec_lo, exec_lo, s38
	s_delay_alu instid0(SALU_CYCLE_1) | instskip(NEXT) | instid1(SALU_CYCLE_1)
	s_and_b32 s36, exec_lo, s37
	s_or_b32 s35, s36, s35
	s_delay_alu instid0(SALU_CYCLE_1)
	s_and_not1_b32 exec_lo, exec_lo, s35
	s_cbranch_execz .LBB62_15
.LBB62_20:                              ;   Parent Loop BB62_13 Depth=1
                                        ;     Parent Loop BB62_17 Depth=2
                                        ; =>    This Inner Loop Header: Depth=3
	s_mov_b32 s36, 0
	s_mov_b32 s37, exec_lo
	v_cmpx_ne_u32_e64 s33, v28
	s_xor_b32 s37, exec_lo, s37
	s_cbranch_execz .LBB62_22
; %bb.21:                               ;   in Loop: Header=BB62_20 Depth=3
	v_add_nc_u32_e32 v15, 1, v15
	s_mov_b32 s36, exec_lo
                                        ; implicit-def: $vgpr27
	s_delay_alu instid0(VALU_DEP_1)
	v_and_b32_e32 v15, 0xff, v15
	s_and_not1_saveexec_b32 s37, s37
	s_cbranch_execz .LBB62_24
	s_branch .LBB62_23
.LBB62_22:                              ;   in Loop: Header=BB62_20 Depth=3
	s_and_not1_saveexec_b32 s37, s37
	s_cbranch_execz .LBB62_24
.LBB62_23:                              ;   in Loop: Header=BB62_20 Depth=3
	v_mov_b32_e32 v28, s33
	s_and_not1_b32 s36, s36, exec_lo
	ds_cmpstore_rtn_b32 v27, v27, v26, v28
	s_wait_dscnt 0x0
	v_cmp_ne_u32_e32 vcc_lo, s33, v27
	s_and_b32 s38, vcc_lo, exec_lo
	s_delay_alu instid0(SALU_CYCLE_1)
	s_or_b32 s36, s36, s38
.LBB62_24:                              ;   in Loop: Header=BB62_20 Depth=3
	s_or_b32 exec_lo, exec_lo, s37
	s_mov_b32 s37, -1
                                        ; implicit-def: $vgpr27
                                        ; implicit-def: $vgpr28
	s_and_saveexec_b32 s38, s36
	s_cbranch_execz .LBB62_19
; %bb.25:                               ;   in Loop: Header=BB62_20 Depth=3
	v_lshl_add_u32 v27, v15, 2, 0
	ds_load_b32 v28, v27
	s_wait_dscnt 0x0
	v_cmp_eq_u32_e32 vcc_lo, v28, v26
	s_or_not1_b32 s37, vcc_lo, exec_lo
	s_branch .LBB62_19
.LBB62_26:
	s_or_b32 exec_lo, exec_lo, s1
.LBB62_27:
	s_delay_alu instid0(SALU_CYCLE_1)
	s_and_not1_b32 vcc_lo, exec_lo, s3
	s_cbranch_vccnz .LBB62_42
; %bb.28:
	s_wait_kmcnt 0x0
	s_ashr_i32 s21, s20, 31
	v_subrev_nc_u32_e32 v2, s7, v0
	s_lshl_b64 s[0:1], s[20:21], 2
	s_delay_alu instid0(SALU_CYCLE_1)
	s_add_nc_u64 s[0:1], s[30:31], s[0:1]
	s_load_b64 s[4:5], s[0:1], 0x0
	s_wait_xcnt 0x0
	s_mov_b32 s1, exec_lo
	s_wait_kmcnt 0x0
	v_add_nc_u32_e32 v10, s4, v2
	s_sub_co_i32 s0, s5, s7
	s_delay_alu instid0(VALU_DEP_1) | instid1(SALU_CYCLE_1)
	v_cmpx_gt_i32_e64 s0, v10
	s_cbranch_execz .LBB62_41
; %bb.29:
	s_mov_b32 s3, 0
	s_branch .LBB62_32
.LBB62_30:                              ;   in Loop: Header=BB62_32 Depth=1
	s_or_b32 exec_lo, exec_lo, s5
.LBB62_31:                              ;   in Loop: Header=BB62_32 Depth=1
	s_delay_alu instid0(SALU_CYCLE_1) | instskip(SKIP_4) | instid1(VALU_DEP_1)
	s_or_b32 exec_lo, exec_lo, s4
	s_wait_loadcnt 0x0
	v_mul_f64_e64 v[12:13], v[4:5], -v[6:7]
	v_mul_f64_e32 v[4:5], v[8:9], v[4:5]
	v_add_nc_u32_e32 v10, 0x80, v10
	v_cmp_le_i32_e32 vcc_lo, s0, v10
	s_or_b32 s3, vcc_lo, s3
	s_delay_alu instid0(VALU_DEP_4) | instskip(NEXT) | instid1(VALU_DEP_4)
	v_fmac_f64_e32 v[12:13], v[8:9], v[2:3]
	v_fmac_f64_e32 v[4:5], v[6:7], v[2:3]
	v_lshl_add_u32 v2, v11, 4, 0
	ds_add_f64 v2, v[12:13] offset:1024
	ds_add_f64 v2, v[4:5] offset:1032
	s_and_not1_b32 exec_lo, exec_lo, s3
	s_cbranch_execz .LBB62_41
.LBB62_32:                              ; =>This Loop Header: Depth=1
                                        ;     Child Loop BB62_35 Depth 2
	s_clause 0x1
	global_load_b32 v11, v10, s[8:9] scale_offset
	global_load_b128 v[2:5], v10, s[10:11] scale_offset
	s_mov_b32 s4, exec_lo
	s_wait_loadcnt 0x1
	v_subrev_nc_u32_e32 v12, s7, v11
	s_delay_alu instid0(VALU_DEP_1) | instskip(NEXT) | instid1(VALU_DEP_1)
	v_mul_lo_u32 v11, 0x89, v12
	v_and_b32_e32 v11, 0xff, v11
	s_delay_alu instid0(VALU_DEP_1)
	v_lshl_add_u32 v13, v11, 2, 0
	ds_load_b32 v14, v13
	s_wait_dscnt 0x0
	s_wait_xcnt 0x0
	v_cmpx_ne_u32_e64 v14, v12
	s_cbranch_execz .LBB62_31
; %bb.33:                               ;   in Loop: Header=BB62_32 Depth=1
	s_mov_b32 s5, 0
	s_branch .LBB62_35
.LBB62_34:                              ;   in Loop: Header=BB62_35 Depth=2
	s_or_b32 exec_lo, exec_lo, s14
	s_delay_alu instid0(SALU_CYCLE_1) | instskip(NEXT) | instid1(SALU_CYCLE_1)
	s_and_b32 s12, exec_lo, s13
	s_or_b32 s5, s12, s5
	s_delay_alu instid0(SALU_CYCLE_1)
	s_and_not1_b32 exec_lo, exec_lo, s5
	s_cbranch_execz .LBB62_30
.LBB62_35:                              ;   Parent Loop BB62_32 Depth=1
                                        ; =>  This Inner Loop Header: Depth=2
	s_mov_b32 s12, 0
	s_mov_b32 s13, exec_lo
	v_cmpx_ne_u32_e64 s33, v14
	s_xor_b32 s13, exec_lo, s13
	s_cbranch_execz .LBB62_37
; %bb.36:                               ;   in Loop: Header=BB62_35 Depth=2
	v_add_nc_u32_e32 v11, 1, v11
	s_mov_b32 s12, exec_lo
                                        ; implicit-def: $vgpr13
	s_delay_alu instid0(VALU_DEP_1)
	v_and_b32_e32 v11, 0xff, v11
	s_and_not1_saveexec_b32 s13, s13
	s_cbranch_execz .LBB62_39
	s_branch .LBB62_38
.LBB62_37:                              ;   in Loop: Header=BB62_35 Depth=2
	s_and_not1_saveexec_b32 s13, s13
	s_cbranch_execz .LBB62_39
.LBB62_38:                              ;   in Loop: Header=BB62_35 Depth=2
	v_mov_b32_e32 v14, s33
	s_and_not1_b32 s12, s12, exec_lo
	ds_cmpstore_rtn_b32 v13, v13, v12, v14
	s_wait_dscnt 0x0
	v_cmp_ne_u32_e32 vcc_lo, s33, v13
	s_and_b32 s14, vcc_lo, exec_lo
	s_delay_alu instid0(SALU_CYCLE_1)
	s_or_b32 s12, s12, s14
.LBB62_39:                              ;   in Loop: Header=BB62_35 Depth=2
	s_or_b32 exec_lo, exec_lo, s13
	s_mov_b32 s13, -1
                                        ; implicit-def: $vgpr13
                                        ; implicit-def: $vgpr14
	s_and_saveexec_b32 s14, s12
	s_cbranch_execz .LBB62_34
; %bb.40:                               ;   in Loop: Header=BB62_35 Depth=2
	v_lshl_add_u32 v13, v11, 2, 0
	ds_load_b32 v14, v13
	s_wait_dscnt 0x0
	v_cmp_eq_u32_e32 vcc_lo, v14, v12
	s_or_not1_b32 s13, vcc_lo, exec_lo
	s_branch .LBB62_34
.LBB62_41:
	s_or_b32 exec_lo, exec_lo, s1
.LBB62_42:
	s_wait_dscnt 0x0
	s_barrier_signal -1
	s_barrier_wait -1
	s_and_saveexec_b32 s4, s2
	s_cbranch_execz .LBB62_55
; %bb.43:
	v_dual_lshrrev_b32 v2, 3, v0 :: v_dual_bitop2_b32 v5, 31, v21 bitop3:0x14
	v_mov_b32_e32 v3, 0
	s_wait_xcnt 0x0
	v_cmp_lt_u32_e64 s0, 31, v0
	v_cmp_lt_u32_e64 s1, 63, v0
	v_and_b32_e32 v6, 12, v2
	v_cmp_lt_u32_e64 s2, 0x5f, v0
	v_add3_u32 v4, v22, 0, 0x400
	v_lshrrev_b32_e64 v2, v5, -1
	s_mov_b32 s5, 0
	v_dual_mov_b32 v6, 0 :: v_dual_add_nc_u32 v5, 0, v6
	v_cmp_eq_u32_e32 vcc_lo, 0x7f, v0
	s_branch .LBB62_45
.LBB62_44:                              ;   in Loop: Header=BB62_45 Depth=1
	s_or_b32 exec_lo, exec_lo, s3
	s_wait_dscnt 0x0
	s_barrier_signal -1
	s_barrier_wait -1
	ds_load_b32 v7, v3 offset:5132
	v_add_co_u32 v1, s3, 0x80, v1
	s_xor_b32 s3, s3, -1
	v_add_nc_u32_e32 v4, 0x800, v4
	v_add_nc_u32_e32 v20, 0x200, v20
	s_and_b32 s3, exec_lo, s3
	s_delay_alu instid0(SALU_CYCLE_1)
	s_or_b32 s5, s3, s5
	s_wait_dscnt 0x0
	v_add_nc_u32_e32 v6, v7, v6
	s_and_not1_b32 exec_lo, exec_lo, s5
	s_cbranch_execz .LBB62_55
.LBB62_45:                              ; =>This Inner Loop Header: Depth=1
	ds_load_b32 v7, v20
	ds_load_2addr_b64 v[8:11], v4 offset1:1
	s_wait_dscnt 0x1
	v_cmp_gt_i32_e64 s3, s33, v7
	s_wait_dscnt 0x0
	scratch_store_b128 off, v[8:11], off
	s_wait_storecnt 0x0
	s_barrier_signal -1
	s_barrier_wait -1
	s_bcnt1_i32_b32 s7, s3
	s_wait_xcnt 0x0
	v_dual_mov_b32 v9, s7 :: v_dual_bitop2_b32 v8, s3, v2 bitop3:0x40
	s_delay_alu instid0(VALU_DEP_1)
	v_bcnt_u32_b32 v8, v8, 0
	ds_store_b32 v5, v9 offset:5120
	s_wait_dscnt 0x0
	s_barrier_signal -1
	s_barrier_wait -1
	s_and_saveexec_b32 s7, s0
	s_cbranch_execz .LBB62_50
; %bb.46:                               ;   in Loop: Header=BB62_45 Depth=1
	ds_load_b32 v9, v3 offset:5120
	s_wait_dscnt 0x0
	v_add_nc_u32_e32 v8, v9, v8
	s_or_b32 exec_lo, exec_lo, s7
	s_and_saveexec_b32 s7, s1
	s_cbranch_execnz .LBB62_51
.LBB62_47:                              ;   in Loop: Header=BB62_45 Depth=1
	s_or_b32 exec_lo, exec_lo, s7
	s_and_saveexec_b32 s7, s2
	s_cbranch_execz .LBB62_52
.LBB62_48:                              ;   in Loop: Header=BB62_45 Depth=1
	ds_load_b32 v9, v3 offset:5128
	s_wait_dscnt 0x0
	v_add_nc_u32_e32 v8, v9, v8
	s_or_b32 exec_lo, exec_lo, s7
	s_and_saveexec_b32 s7, s3
	s_cbranch_execnz .LBB62_53
.LBB62_49:                              ;   in Loop: Header=BB62_45 Depth=1
	s_or_b32 exec_lo, exec_lo, s7
	s_and_saveexec_b32 s3, vcc_lo
	s_cbranch_execz .LBB62_44
	s_branch .LBB62_54
.LBB62_50:                              ;   in Loop: Header=BB62_45 Depth=1
	s_or_b32 exec_lo, exec_lo, s7
	s_and_saveexec_b32 s7, s1
	s_cbranch_execz .LBB62_47
.LBB62_51:                              ;   in Loop: Header=BB62_45 Depth=1
	ds_load_b32 v9, v3 offset:5124
	s_wait_dscnt 0x0
	v_add_nc_u32_e32 v8, v9, v8
	s_or_b32 exec_lo, exec_lo, s7
	s_and_saveexec_b32 s7, s2
	s_cbranch_execnz .LBB62_48
.LBB62_52:                              ;   in Loop: Header=BB62_45 Depth=1
	s_or_b32 exec_lo, exec_lo, s7
	s_and_saveexec_b32 s7, s3
	s_cbranch_execz .LBB62_49
.LBB62_53:                              ;   in Loop: Header=BB62_45 Depth=1
	scratch_load_b128 v[10:13], off, off
	v_add3_u32 v9, v6, -1, v8
	v_add_nc_u32_e32 v14, v6, v8
	s_delay_alu instid0(VALU_DEP_2) | instskip(NEXT) | instid1(VALU_DEP_2)
	v_lshl_add_u32 v9, v9, 2, 0
	v_lshl_add_u32 v14, v14, 4, 0
	ds_store_b32 v9, v7
	s_wait_loadcnt 0x0
	ds_store_2addr_b64 v14, v[10:11], v[12:13] offset0:126 offset1:127
	s_or_b32 exec_lo, exec_lo, s7
	s_and_saveexec_b32 s3, vcc_lo
	s_cbranch_execz .LBB62_44
.LBB62_54:                              ;   in Loop: Header=BB62_45 Depth=1
	ds_store_b32 v3, v8 offset:5132
	s_branch .LBB62_44
.LBB62_55:
	s_or_b32 exec_lo, exec_lo, s4
	s_wait_kmcnt 0x0
	s_ashr_i32 s21, s20, 31
	s_delay_alu instid0(SALU_CYCLE_1) | instskip(NEXT) | instid1(SALU_CYCLE_1)
	s_lshl_b64 s[0:1], s[20:21], 2
	s_add_nc_u64 s[2:3], s[26:27], s[0:1]
	s_load_b64 s[0:1], s[2:3], 0x0
	s_wait_kmcnt 0x0
	s_sub_co_i32 s4, s1, s0
	s_mov_b32 s1, exec_lo
	v_cmpx_gt_i32_e64 s4, v0
	s_cbranch_execz .LBB62_69
; %bb.56:
	v_sub_co_u32 v1, s1, s4, 2
	s_sub_co_i32 s2, s0, s6
	s_xor_b32 s6, s1, -1
	s_and_b32 s5, s4, -2
	v_readfirstlane_b32 s3, v1
	s_lshr_b32 s0, s3, 1
	s_mov_b32 s3, 0
	s_add_co_i32 s0, s0, 1
	s_mov_b32 s11, s3
	s_and_b32 s1, s0, 7
	s_and_b32 s7, s0, -8
	s_cmp_lg_u32 s1, 0
	v_cmp_lt_u32_e64 s0, 13, v1
	s_cselect_b32 s8, -1, 0
	s_cmp_lg_u32 s4, s5
	s_cselect_b32 s9, -1, 0
	s_lshl_b32 s10, s1, 3
	s_branch .LBB62_58
.LBB62_57:                              ;   in Loop: Header=BB62_58 Depth=1
	v_mad_u32 v1, v0, 12, v1
	v_add_nc_u32_e32 v0, 0x80, v0
	s_delay_alu instid0(VALU_DEP_1)
	v_cmp_le_i32_e32 vcc_lo, s4, v0
	s_or_b32 s11, vcc_lo, s11
	s_wait_dscnt 0x0
	ds_load_2addr_b64 v[4:7], v1 offset0:128 offset1:129
	s_wait_dscnt 0x0
	global_store_b128 v2, v[4:7], s[24:25] scale_offset
	s_wait_xcnt 0x0
	s_and_not1_b32 exec_lo, exec_lo, s11
	s_cbranch_execz .LBB62_69
.LBB62_58:                              ; =>This Loop Header: Depth=1
                                        ;     Child Loop BB62_61 Depth 2
                                        ;     Child Loop BB62_64 Depth 2
	;; [unrolled: 1-line block ×3, first 2 shown]
	v_lshl_add_u32 v1, v0, 2, 0
	v_mov_b32_e32 v2, s2
	s_and_not1_b32 vcc_lo, exec_lo, s6
	s_mov_b32 s1, 0
	s_mov_b32 s12, -1
	ds_load_b32 v4, v1
	s_cbranch_vccnz .LBB62_66
; %bb.59:                               ;   in Loop: Header=BB62_58 Depth=1
	v_mov_b64_e32 v[2:3], s[2:3]
	s_and_not1_b32 vcc_lo, exec_lo, s0
	s_mov_b32 s12, 0
	s_cbranch_vccnz .LBB62_62
; %bb.60:                               ;   in Loop: Header=BB62_58 Depth=1
	v_dual_mov_b32 v2, s2 :: v_dual_mov_b32 v3, 0
	s_mov_b32 s13, 0
	s_mov_b32 s14, s7
.LBB62_61:                              ;   Parent Loop BB62_58 Depth=1
                                        ; =>  This Inner Loop Header: Depth=2
	v_mov_b32_e32 v5, s13
	s_add_co_i32 s14, s14, -8
	s_add_co_i32 s12, s12, 16
	s_add_co_i32 s13, s13, 64
	s_cmp_lg_u32 s14, 0
	ds_load_2addr_b32 v[6:7], v5 offset1:1
	ds_load_2addr_b32 v[8:9], v5 offset0:2 offset1:3
	ds_load_2addr_b32 v[10:11], v5 offset0:4 offset1:5
	;; [unrolled: 1-line block ×7, first 2 shown]
	s_wait_dscnt 0x7
	v_cmp_gt_i32_e32 vcc_lo, v4, v7
	s_wait_dscnt 0x5
	v_cmp_gt_i32_e64 s1, v4, v10
	v_cndmask_b32_e64 v5, 0, 1, vcc_lo
	v_cmp_gt_i32_e32 vcc_lo, v4, v6
	s_delay_alu instid0(VALU_DEP_3) | instskip(SKIP_3) | instid1(VALU_DEP_3)
	v_cndmask_b32_e64 v7, 0, 1, s1
	v_cmp_gt_i32_e64 s1, v4, v11
	v_cndmask_b32_e64 v6, 0, 1, vcc_lo
	v_cmp_gt_i32_e32 vcc_lo, v4, v8
	v_cndmask_b32_e64 v8, 0, 1, s1
	s_wait_dscnt 0x4
	v_cmp_gt_i32_e64 s1, v4, v13
	v_add_co_ci_u32_e64 v2, null, v2, v6, vcc_lo
	s_delay_alu instid0(VALU_DEP_2) | instskip(SKIP_3) | instid1(VALU_DEP_2)
	v_cndmask_b32_e64 v10, 0, 1, s1
	v_cmp_gt_i32_e64 s1, v4, v12
	s_wait_dscnt 0x2
	v_cmp_gt_i32_e32 vcc_lo, v4, v16
	v_cndmask_b32_e64 v11, 0, 1, s1
	v_cmp_gt_i32_e64 s1, v4, v14
	v_add_co_ci_u32_e64 v2, null, v2, v7, vcc_lo
	s_wait_dscnt 0x1
	v_cmp_gt_i32_e32 vcc_lo, v4, v18
	s_delay_alu instid0(VALU_DEP_3) | instskip(SKIP_4) | instid1(VALU_DEP_3)
	v_cndmask_b32_e64 v12, 0, 1, s1
	v_cmp_gt_i32_e64 s1, v4, v15
	v_add_co_ci_u32_e64 v2, null, v2, v11, vcc_lo
	s_wait_dscnt 0x0
	v_cmp_gt_i32_e32 vcc_lo, v4, v20
	v_cndmask_b32_e64 v13, 0, 1, s1
	v_cmp_gt_i32_e64 s1, v4, v9
	v_add_co_ci_u32_e64 v2, null, v2, v12, vcc_lo
	s_delay_alu instid0(VALU_DEP_2) | instskip(SKIP_1) | instid1(VALU_DEP_1)
	v_add_co_ci_u32_e64 v3, null, v3, v5, s1
	v_cmp_gt_i32_e64 s1, v4, v17
	v_add_co_ci_u32_e64 v3, null, v3, v8, s1
	v_cmp_gt_i32_e64 s1, v4, v19
	s_delay_alu instid0(VALU_DEP_1) | instskip(SKIP_1) | instid1(VALU_DEP_1)
	v_add_co_ci_u32_e64 v3, null, v3, v10, s1
	v_cmp_gt_i32_e64 s1, v4, v21
	v_add_co_ci_u32_e64 v3, null, v3, v13, s1
	s_cbranch_scc1 .LBB62_61
.LBB62_62:                              ;   in Loop: Header=BB62_58 Depth=1
	s_and_not1_b32 vcc_lo, exec_lo, s8
	s_cbranch_vccnz .LBB62_65
; %bb.63:                               ;   in Loop: Header=BB62_58 Depth=1
	s_lshl_b32 s1, s12, 2
	s_mov_b32 s12, s10
	s_add_co_i32 s1, s1, 0
.LBB62_64:                              ;   Parent Loop BB62_58 Depth=1
                                        ; =>  This Inner Loop Header: Depth=2
	s_delay_alu instid0(SALU_CYCLE_1)
	v_mov_b32_e32 v5, s1
	s_add_co_i32 s12, s12, -8
	s_add_co_i32 s1, s1, 8
	s_cmp_lg_u32 s12, 0
	ds_load_2addr_b32 v[6:7], v5 offset1:1
	s_wait_dscnt 0x0
	v_cmp_gt_i32_e32 vcc_lo, v4, v7
	v_add_co_ci_u32_e64 v3, null, 0, v3, vcc_lo
	v_cmp_gt_i32_e32 vcc_lo, v4, v6
	v_add_co_ci_u32_e64 v2, null, 0, v2, vcc_lo
	s_cbranch_scc1 .LBB62_64
.LBB62_65:                              ;   in Loop: Header=BB62_58 Depth=1
	s_delay_alu instid0(VALU_DEP_1)
	v_add_nc_u32_e32 v2, v2, v3
	s_mov_b32 s1, s5
	s_mov_b32 s12, s9
.LBB62_66:                              ;   in Loop: Header=BB62_58 Depth=1
	s_delay_alu instid0(SALU_CYCLE_1)
	s_and_b32 vcc_lo, exec_lo, s12
	s_cbranch_vccz .LBB62_57
; %bb.67:                               ;   in Loop: Header=BB62_58 Depth=1
	s_lshl_b32 s12, s1, 2
	s_delay_alu instid0(SALU_CYCLE_1)
	s_add_co_i32 s12, s12, 0
.LBB62_68:                              ;   Parent Loop BB62_58 Depth=1
                                        ; =>  This Inner Loop Header: Depth=2
	s_delay_alu instid0(SALU_CYCLE_1)
	v_mov_b32_e32 v3, s12
	s_add_co_i32 s1, s1, 1
	s_add_co_i32 s12, s12, 4
	s_cmp_ge_i32 s1, s4
	ds_load_b32 v3, v3
	s_wait_dscnt 0x0
	v_cmp_gt_i32_e32 vcc_lo, v4, v3
	v_add_co_ci_u32_e64 v2, null, 0, v2, vcc_lo
	s_cbranch_scc0 .LBB62_68
	s_branch .LBB62_57
.LBB62_69:
	s_endpgm
	.section	.rodata,"a",@progbits
	.p2align	6, 0x0
	.amdhsa_kernel _ZN9rocsparseL41csrgemm_numeric_fill_block_per_row_kernelILj128ELj16ELj256ELj137ELj32Eii21rocsparse_complex_numIdEEEvT5_PKS3_S5_NS_24const_host_device_scalarIT6_EEPKT4_S5_PKS7_SB_S5_SD_S8_SB_S5_SD_SB_S5_PS7_21rocsparse_index_base_SF_SF_SF_bbb
		.amdhsa_group_segment_fixed_size 0
		.amdhsa_private_segment_fixed_size 40
		.amdhsa_kernarg_size 172
		.amdhsa_user_sgpr_count 2
		.amdhsa_user_sgpr_dispatch_ptr 0
		.amdhsa_user_sgpr_queue_ptr 0
		.amdhsa_user_sgpr_kernarg_segment_ptr 1
		.amdhsa_user_sgpr_dispatch_id 0
		.amdhsa_user_sgpr_kernarg_preload_length 0
		.amdhsa_user_sgpr_kernarg_preload_offset 0
		.amdhsa_user_sgpr_private_segment_size 0
		.amdhsa_wavefront_size32 1
		.amdhsa_uses_dynamic_stack 0
		.amdhsa_enable_private_segment 1
		.amdhsa_system_sgpr_workgroup_id_x 1
		.amdhsa_system_sgpr_workgroup_id_y 0
		.amdhsa_system_sgpr_workgroup_id_z 0
		.amdhsa_system_sgpr_workgroup_info 0
		.amdhsa_system_vgpr_workitem_id 0
		.amdhsa_next_free_vgpr 29
		.amdhsa_next_free_sgpr 39
		.amdhsa_named_barrier_count 0
		.amdhsa_reserve_vcc 1
		.amdhsa_float_round_mode_32 0
		.amdhsa_float_round_mode_16_64 0
		.amdhsa_float_denorm_mode_32 3
		.amdhsa_float_denorm_mode_16_64 3
		.amdhsa_fp16_overflow 0
		.amdhsa_memory_ordered 1
		.amdhsa_forward_progress 1
		.amdhsa_inst_pref_size 25
		.amdhsa_round_robin_scheduling 0
		.amdhsa_exception_fp_ieee_invalid_op 0
		.amdhsa_exception_fp_denorm_src 0
		.amdhsa_exception_fp_ieee_div_zero 0
		.amdhsa_exception_fp_ieee_overflow 0
		.amdhsa_exception_fp_ieee_underflow 0
		.amdhsa_exception_fp_ieee_inexact 0
		.amdhsa_exception_int_div_zero 0
	.end_amdhsa_kernel
	.section	.text._ZN9rocsparseL41csrgemm_numeric_fill_block_per_row_kernelILj128ELj16ELj256ELj137ELj32Eii21rocsparse_complex_numIdEEEvT5_PKS3_S5_NS_24const_host_device_scalarIT6_EEPKT4_S5_PKS7_SB_S5_SD_S8_SB_S5_SD_SB_S5_PS7_21rocsparse_index_base_SF_SF_SF_bbb,"axG",@progbits,_ZN9rocsparseL41csrgemm_numeric_fill_block_per_row_kernelILj128ELj16ELj256ELj137ELj32Eii21rocsparse_complex_numIdEEEvT5_PKS3_S5_NS_24const_host_device_scalarIT6_EEPKT4_S5_PKS7_SB_S5_SD_S8_SB_S5_SD_SB_S5_PS7_21rocsparse_index_base_SF_SF_SF_bbb,comdat
.Lfunc_end62:
	.size	_ZN9rocsparseL41csrgemm_numeric_fill_block_per_row_kernelILj128ELj16ELj256ELj137ELj32Eii21rocsparse_complex_numIdEEEvT5_PKS3_S5_NS_24const_host_device_scalarIT6_EEPKT4_S5_PKS7_SB_S5_SD_S8_SB_S5_SD_SB_S5_PS7_21rocsparse_index_base_SF_SF_SF_bbb, .Lfunc_end62-_ZN9rocsparseL41csrgemm_numeric_fill_block_per_row_kernelILj128ELj16ELj256ELj137ELj32Eii21rocsparse_complex_numIdEEEvT5_PKS3_S5_NS_24const_host_device_scalarIT6_EEPKT4_S5_PKS7_SB_S5_SD_S8_SB_S5_SD_SB_S5_PS7_21rocsparse_index_base_SF_SF_SF_bbb
                                        ; -- End function
	.set _ZN9rocsparseL41csrgemm_numeric_fill_block_per_row_kernelILj128ELj16ELj256ELj137ELj32Eii21rocsparse_complex_numIdEEEvT5_PKS3_S5_NS_24const_host_device_scalarIT6_EEPKT4_S5_PKS7_SB_S5_SD_S8_SB_S5_SD_SB_S5_PS7_21rocsparse_index_base_SF_SF_SF_bbb.num_vgpr, 29
	.set _ZN9rocsparseL41csrgemm_numeric_fill_block_per_row_kernelILj128ELj16ELj256ELj137ELj32Eii21rocsparse_complex_numIdEEEvT5_PKS3_S5_NS_24const_host_device_scalarIT6_EEPKT4_S5_PKS7_SB_S5_SD_S8_SB_S5_SD_SB_S5_PS7_21rocsparse_index_base_SF_SF_SF_bbb.num_agpr, 0
	.set _ZN9rocsparseL41csrgemm_numeric_fill_block_per_row_kernelILj128ELj16ELj256ELj137ELj32Eii21rocsparse_complex_numIdEEEvT5_PKS3_S5_NS_24const_host_device_scalarIT6_EEPKT4_S5_PKS7_SB_S5_SD_S8_SB_S5_SD_SB_S5_PS7_21rocsparse_index_base_SF_SF_SF_bbb.numbered_sgpr, 39
	.set _ZN9rocsparseL41csrgemm_numeric_fill_block_per_row_kernelILj128ELj16ELj256ELj137ELj32Eii21rocsparse_complex_numIdEEEvT5_PKS3_S5_NS_24const_host_device_scalarIT6_EEPKT4_S5_PKS7_SB_S5_SD_S8_SB_S5_SD_SB_S5_PS7_21rocsparse_index_base_SF_SF_SF_bbb.num_named_barrier, 0
	.set _ZN9rocsparseL41csrgemm_numeric_fill_block_per_row_kernelILj128ELj16ELj256ELj137ELj32Eii21rocsparse_complex_numIdEEEvT5_PKS3_S5_NS_24const_host_device_scalarIT6_EEPKT4_S5_PKS7_SB_S5_SD_S8_SB_S5_SD_SB_S5_PS7_21rocsparse_index_base_SF_SF_SF_bbb.private_seg_size, 40
	.set _ZN9rocsparseL41csrgemm_numeric_fill_block_per_row_kernelILj128ELj16ELj256ELj137ELj32Eii21rocsparse_complex_numIdEEEvT5_PKS3_S5_NS_24const_host_device_scalarIT6_EEPKT4_S5_PKS7_SB_S5_SD_S8_SB_S5_SD_SB_S5_PS7_21rocsparse_index_base_SF_SF_SF_bbb.uses_vcc, 1
	.set _ZN9rocsparseL41csrgemm_numeric_fill_block_per_row_kernelILj128ELj16ELj256ELj137ELj32Eii21rocsparse_complex_numIdEEEvT5_PKS3_S5_NS_24const_host_device_scalarIT6_EEPKT4_S5_PKS7_SB_S5_SD_S8_SB_S5_SD_SB_S5_PS7_21rocsparse_index_base_SF_SF_SF_bbb.uses_flat_scratch, 1
	.set _ZN9rocsparseL41csrgemm_numeric_fill_block_per_row_kernelILj128ELj16ELj256ELj137ELj32Eii21rocsparse_complex_numIdEEEvT5_PKS3_S5_NS_24const_host_device_scalarIT6_EEPKT4_S5_PKS7_SB_S5_SD_S8_SB_S5_SD_SB_S5_PS7_21rocsparse_index_base_SF_SF_SF_bbb.has_dyn_sized_stack, 0
	.set _ZN9rocsparseL41csrgemm_numeric_fill_block_per_row_kernelILj128ELj16ELj256ELj137ELj32Eii21rocsparse_complex_numIdEEEvT5_PKS3_S5_NS_24const_host_device_scalarIT6_EEPKT4_S5_PKS7_SB_S5_SD_S8_SB_S5_SD_SB_S5_PS7_21rocsparse_index_base_SF_SF_SF_bbb.has_recursion, 0
	.set _ZN9rocsparseL41csrgemm_numeric_fill_block_per_row_kernelILj128ELj16ELj256ELj137ELj32Eii21rocsparse_complex_numIdEEEvT5_PKS3_S5_NS_24const_host_device_scalarIT6_EEPKT4_S5_PKS7_SB_S5_SD_S8_SB_S5_SD_SB_S5_PS7_21rocsparse_index_base_SF_SF_SF_bbb.has_indirect_call, 0
	.section	.AMDGPU.csdata,"",@progbits
; Kernel info:
; codeLenInByte = 3156
; TotalNumSgprs: 41
; NumVgprs: 29
; ScratchSize: 40
; MemoryBound: 0
; FloatMode: 240
; IeeeMode: 1
; LDSByteSize: 0 bytes/workgroup (compile time only)
; SGPRBlocks: 0
; VGPRBlocks: 1
; NumSGPRsForWavesPerEU: 41
; NumVGPRsForWavesPerEU: 29
; NamedBarCnt: 0
; Occupancy: 16
; WaveLimiterHint : 1
; COMPUTE_PGM_RSRC2:SCRATCH_EN: 1
; COMPUTE_PGM_RSRC2:USER_SGPR: 2
; COMPUTE_PGM_RSRC2:TRAP_HANDLER: 0
; COMPUTE_PGM_RSRC2:TGID_X_EN: 1
; COMPUTE_PGM_RSRC2:TGID_Y_EN: 0
; COMPUTE_PGM_RSRC2:TGID_Z_EN: 0
; COMPUTE_PGM_RSRC2:TIDIG_COMP_CNT: 0
	.section	.text._ZN9rocsparseL41csrgemm_numeric_fill_block_per_row_kernelILj128ELj16ELj256ELj137ELj64Eii21rocsparse_complex_numIdEEEvT5_PKS3_S5_NS_24const_host_device_scalarIT6_EEPKT4_S5_PKS7_SB_S5_SD_S8_SB_S5_SD_SB_S5_PS7_21rocsparse_index_base_SF_SF_SF_bbb,"axG",@progbits,_ZN9rocsparseL41csrgemm_numeric_fill_block_per_row_kernelILj128ELj16ELj256ELj137ELj64Eii21rocsparse_complex_numIdEEEvT5_PKS3_S5_NS_24const_host_device_scalarIT6_EEPKT4_S5_PKS7_SB_S5_SD_S8_SB_S5_SD_SB_S5_PS7_21rocsparse_index_base_SF_SF_SF_bbb,comdat
	.globl	_ZN9rocsparseL41csrgemm_numeric_fill_block_per_row_kernelILj128ELj16ELj256ELj137ELj64Eii21rocsparse_complex_numIdEEEvT5_PKS3_S5_NS_24const_host_device_scalarIT6_EEPKT4_S5_PKS7_SB_S5_SD_S8_SB_S5_SD_SB_S5_PS7_21rocsparse_index_base_SF_SF_SF_bbb ; -- Begin function _ZN9rocsparseL41csrgemm_numeric_fill_block_per_row_kernelILj128ELj16ELj256ELj137ELj64Eii21rocsparse_complex_numIdEEEvT5_PKS3_S5_NS_24const_host_device_scalarIT6_EEPKT4_S5_PKS7_SB_S5_SD_S8_SB_S5_SD_SB_S5_PS7_21rocsparse_index_base_SF_SF_SF_bbb
	.p2align	8
	.type	_ZN9rocsparseL41csrgemm_numeric_fill_block_per_row_kernelILj128ELj16ELj256ELj137ELj64Eii21rocsparse_complex_numIdEEEvT5_PKS3_S5_NS_24const_host_device_scalarIT6_EEPKT4_S5_PKS7_SB_S5_SD_S8_SB_S5_SD_SB_S5_PS7_21rocsparse_index_base_SF_SF_SF_bbb,@function
_ZN9rocsparseL41csrgemm_numeric_fill_block_per_row_kernelILj128ELj16ELj256ELj137ELj64Eii21rocsparse_complex_numIdEEEvT5_PKS3_S5_NS_24const_host_device_scalarIT6_EEPKT4_S5_PKS7_SB_S5_SD_S8_SB_S5_SD_SB_S5_PS7_21rocsparse_index_base_SF_SF_SF_bbb: ; @_ZN9rocsparseL41csrgemm_numeric_fill_block_per_row_kernelILj128ELj16ELj256ELj137ELj64Eii21rocsparse_complex_numIdEEEvT5_PKS3_S5_NS_24const_host_device_scalarIT6_EEPKT4_S5_PKS7_SB_S5_SD_S8_SB_S5_SD_SB_S5_PS7_21rocsparse_index_base_SF_SF_SF_bbb
; %bb.0:
	s_clause 0x2
	s_load_b32 s12, s[0:1], 0xa8
	s_load_b128 s[4:7], s[0:1], 0x18
	s_load_b128 s[8:11], s[0:1], 0x58
	v_mov_b64_e32 v[6:7], 0
	v_mov_b64_e32 v[10:11], 0
	;; [unrolled: 1-line block ×3, first 2 shown]
	v_mbcnt_lo_u32_b32 v21, -1, 0
	s_wait_kmcnt 0x0
	s_bitcmp1_b32 s12, 0
	v_mov_b64_e32 v[2:3], s[4:5]
	s_cselect_b32 s36, -1, 0
	s_bitcmp1_b32 s12, 16
	v_mov_b64_e32 v[4:5], s[8:9]
	s_cselect_b32 s2, -1, 0
	s_clause 0x1
	scratch_store_b64 off, v[2:3], off offset:16
	scratch_store_b64 off, v[4:5], off offset:24
	s_xor_b32 s3, s2, -1
	s_bitcmp0_b32 s12, 0
	v_cndmask_b32_e64 v1, 0, 1, s3
	s_delay_alu instid0(VALU_DEP_1)
	v_cmp_ne_u32_e32 vcc_lo, 1, v1
	s_cbranch_scc1 .LBB63_3
; %bb.1:
	s_wait_xcnt 0x1
	v_dual_mov_b32 v2, 16 :: v_dual_lshlrev_b32 v3, 20, v21
	v_mov_b64_e32 v[12:13], s[6:7]
	s_and_b32 vcc_lo, exec_lo, vcc_lo
	s_delay_alu instid0(VALU_DEP_2) | instskip(NEXT) | instid1(VALU_DEP_1)
	v_add_nc_u64_e32 v[2:3], src_flat_scratch_base_lo, v[2:3]
	v_cndmask_b32_e64 v3, s5, v3, s2
	s_delay_alu instid0(VALU_DEP_2)
	v_cndmask_b32_e64 v2, s4, v2, s2
	flat_load_b64 v[10:11], v[2:3]
	s_cbranch_vccnz .LBB63_3
; %bb.2:
	v_mov_b32_e32 v1, 0
	flat_load_b64 v[12:13], v1, s[4:5] offset:8
.LBB63_3:
	s_wait_xcnt 0x0
	s_load_b128 s[4:7], s[0:1], 0x98
	v_mov_b64_e32 v[8:9], 0
	s_bitcmp1_b32 s12, 8
	s_cselect_b32 s33, -1, 0
	s_bfe_u32 s12, s12, 0x10008
	s_delay_alu instid0(SALU_CYCLE_1)
	s_cmp_eq_u32 s12, 0
	s_cbranch_scc1 .LBB63_6
; %bb.4:
	v_dual_mov_b32 v2, 24 :: v_dual_lshlrev_b32 v3, 20, v21
	v_mov_b64_e32 v[6:7], s[10:11]
	s_and_not1_b32 vcc_lo, exec_lo, s3
	s_delay_alu instid0(VALU_DEP_2) | instskip(NEXT) | instid1(VALU_DEP_1)
	v_add_nc_u64_e32 v[2:3], src_flat_scratch_base_lo, v[2:3]
	v_cndmask_b32_e64 v3, s9, v3, s2
	s_delay_alu instid0(VALU_DEP_2)
	v_cndmask_b32_e64 v2, s8, v2, s2
	flat_load_b64 v[8:9], v[2:3]
	s_cbranch_vccnz .LBB63_6
; %bb.5:
	v_mov_b32_e32 v1, 0
	flat_load_b64 v[6:7], v1, s[8:9] offset:8
.LBB63_6:
	s_clause 0x5
	s_load_b64 s[24:25], s[0:1], 0x90
	s_load_b128 s[8:11], s[0:1], 0x70
	s_load_b128 s[12:15], s[0:1], 0x48
	s_load_b64 s[28:29], s[0:1], 0x30
	s_load_b128 s[20:23], s[0:1], 0x8
	s_load_b32 s3, s[0:1], 0x0
	v_cmp_gt_u32_e64 s2, 0x100, v0
	v_lshlrev_b32_e32 v22, 4, v0
	v_or_b32_e32 v1, 0xffffff80, v0
	v_lshl_add_u32 v20, v0, 2, 0
	s_and_saveexec_b32 s18, s2
	s_cbranch_execz .LBB63_9
; %bb.7:
	s_mov_b32 s16, 0
	v_add3_u32 v14, v22, 0, 0x400
	s_mov_b32 s17, s16
	s_mov_b32 s26, s16
	;; [unrolled: 1-line block ×3, first 2 shown]
	v_mov_b64_e32 v[2:3], s[16:17]
	v_mov_b64_e32 v[4:5], s[26:27]
	v_or_b32_e32 v15, 0xffffff80, v0
	v_lshl_add_u32 v16, v0, 2, 0
	s_wait_kmcnt 0x0
	v_mov_b32_e32 v17, s3
.LBB63_8:                               ; =>This Inner Loop Header: Depth=1
	s_delay_alu instid0(VALU_DEP_3)
	v_add_co_u32 v15, s17, 0x80, v15
	s_xor_b32 s17, s17, -1
	ds_store_b32 v16, v17
	ds_store_2addr_b64 v14, v[2:3], v[4:5] offset1:1
	v_add_nc_u32_e32 v14, 0x800, v14
	v_add_nc_u32_e32 v16, 0x200, v16
	s_and_b32 s17, exec_lo, s17
	s_delay_alu instid0(SALU_CYCLE_1) | instskip(NEXT) | instid1(SALU_CYCLE_1)
	s_or_b32 s16, s17, s16
	s_and_not1_b32 exec_lo, exec_lo, s16
	s_cbranch_execnz .LBB63_8
.LBB63_9:
	s_or_b32 exec_lo, exec_lo, s18
	s_clause 0x3
	s_load_b64 s[26:27], s[0:1], 0x80
	s_load_b64 s[30:31], s[0:1], 0x68
	s_load_b64 s[34:35], s[0:1], 0x28
	s_load_b128 s[16:19], s[0:1], 0x38
	s_wait_storecnt 0x0
	s_wait_loadcnt_dscnt 0x0
	s_barrier_signal -1
	s_barrier_wait -1
	s_wait_kmcnt 0x0
	s_load_b32 s0, s[20:21], 0x0
	s_bfe_u32 s1, ttmp6, 0x4000c
	s_wait_xcnt 0x0
	s_and_b32 s20, ttmp6, 15
	s_add_co_i32 s1, s1, 1
	s_getreg_b32 s21, hwreg(HW_REG_IB_STS2, 6, 4)
	s_mul_i32 s1, ttmp9, s1
	v_lshrrev_b32_e32 v23, 4, v0
	s_add_co_i32 s20, s20, s1
	s_cmp_eq_u32 s21, 0
	s_cselect_b32 s1, ttmp9, s20
	s_and_b32 vcc_lo, exec_lo, s36
	s_wait_kmcnt 0x0
	s_add_co_i32 s0, s0, s1
	s_load_b32 s20, s[22:23], s0 offset:0x0 scale_offset
	s_cbranch_vccz .LBB63_27
; %bb.10:
	s_wait_kmcnt 0x0
	s_ashr_i32 s21, s20, 31
	v_subrev_nc_u32_e32 v2, s4, v23
	s_lshl_b64 s[0:1], s[20:21], 2
	s_delay_alu instid0(SALU_CYCLE_1)
	s_add_nc_u64 s[0:1], s[34:35], s[0:1]
	s_load_b64 s[22:23], s[0:1], 0x0
	s_wait_xcnt 0x0
	s_mov_b32 s1, exec_lo
	s_wait_kmcnt 0x0
	v_add_nc_u32_e32 v14, s22, v2
	s_sub_co_i32 s0, s23, s4
	s_delay_alu instid0(VALU_DEP_1) | instid1(SALU_CYCLE_1)
	v_cmpx_gt_i32_e64 s0, v14
	s_cbranch_execz .LBB63_26
; %bb.11:
	v_and_b32_e32 v2, 15, v0
	s_mov_b32 s21, 0
	s_delay_alu instid0(VALU_DEP_1)
	v_subrev_nc_u32_e32 v24, s5, v2
	s_branch .LBB63_13
.LBB63_12:                              ;   in Loop: Header=BB63_13 Depth=1
	s_or_b32 exec_lo, exec_lo, s22
	v_add_nc_u32_e32 v14, 8, v14
	s_delay_alu instid0(VALU_DEP_1) | instskip(SKIP_1) | instid1(SALU_CYCLE_1)
	v_cmp_le_i32_e32 vcc_lo, s0, v14
	s_or_b32 s21, vcc_lo, s21
	s_and_not1_b32 exec_lo, exec_lo, s21
	s_cbranch_execz .LBB63_26
.LBB63_13:                              ; =>This Loop Header: Depth=1
                                        ;     Child Loop BB63_17 Depth 2
                                        ;       Child Loop BB63_20 Depth 3
	global_load_b32 v2, v14, s[28:29] scale_offset
	s_mov_b32 s22, exec_lo
	s_wait_loadcnt 0x0
	v_subrev_nc_u32_e32 v2, s4, v2
	s_delay_alu instid0(VALU_DEP_1) | instskip(NEXT) | instid1(VALU_DEP_1)
	v_ashrrev_i32_e32 v3, 31, v2
	v_lshl_add_u64 v[2:3], v[2:3], 2, s[18:19]
	global_load_b64 v[2:3], v[2:3], off
	s_wait_loadcnt 0x0
	v_subrev_nc_u32_e32 v25, s5, v3
	v_add_nc_u32_e32 v26, v2, v24
	s_wait_xcnt 0x0
	s_delay_alu instid0(VALU_DEP_1)
	v_cmpx_lt_i32_e64 v26, v25
	s_cbranch_execz .LBB63_12
; %bb.14:                               ;   in Loop: Header=BB63_13 Depth=1
	v_ashrrev_i32_e32 v15, 31, v14
	s_mov_b32 s23, 0
	s_delay_alu instid0(VALU_DEP_1) | instskip(SKIP_4) | instid1(VALU_DEP_2)
	v_lshl_add_u64 v[2:3], v[14:15], 4, s[16:17]
	global_load_b128 v[2:5], v[2:3], off
	s_wait_loadcnt 0x0
	v_mul_f64_e64 v[16:17], v[4:5], -v[12:13]
	v_mul_f64_e32 v[18:19], v[10:11], v[4:5]
	v_fmac_f64_e32 v[16:17], v[10:11], v[2:3]
	s_delay_alu instid0(VALU_DEP_2)
	v_fmac_f64_e32 v[18:19], v[12:13], v[2:3]
	s_branch .LBB63_17
.LBB63_15:                              ;   in Loop: Header=BB63_17 Depth=2
	s_or_b32 exec_lo, exec_lo, s35
.LBB63_16:                              ;   in Loop: Header=BB63_17 Depth=2
	s_delay_alu instid0(SALU_CYCLE_1) | instskip(SKIP_3) | instid1(VALU_DEP_1)
	s_or_b32 exec_lo, exec_lo, s34
	s_wait_loadcnt 0x0
	v_mul_f64_e64 v[28:29], v[4:5], -v[18:19]
	v_dual_mul_f64 v[4:5], v[16:17], v[4:5] :: v_dual_add_nc_u32 v26, 16, v26
	v_cmp_ge_i32_e32 vcc_lo, v26, v25
	s_or_b32 s23, vcc_lo, s23
	s_delay_alu instid0(VALU_DEP_3) | instskip(NEXT) | instid1(VALU_DEP_3)
	v_fmac_f64_e32 v[28:29], v[16:17], v[2:3]
	v_fmac_f64_e32 v[4:5], v[18:19], v[2:3]
	v_lshl_add_u32 v2, v15, 4, 0
	ds_add_f64 v2, v[28:29] offset:1024
	ds_add_f64 v2, v[4:5] offset:1032
	s_and_not1_b32 exec_lo, exec_lo, s23
	s_cbranch_execz .LBB63_12
.LBB63_17:                              ;   Parent Loop BB63_13 Depth=1
                                        ; =>  This Loop Header: Depth=2
                                        ;       Child Loop BB63_20 Depth 3
	s_clause 0x1
	global_load_b32 v15, v26, s[12:13] scale_offset
	global_load_b128 v[2:5], v26, s[14:15] scale_offset
	s_mov_b32 s34, exec_lo
	s_wait_loadcnt 0x1
	v_subrev_nc_u32_e32 v27, s5, v15
	s_delay_alu instid0(VALU_DEP_1) | instskip(NEXT) | instid1(VALU_DEP_1)
	v_mul_lo_u32 v15, 0x89, v27
	v_and_b32_e32 v15, 0xff, v15
	s_delay_alu instid0(VALU_DEP_1)
	v_lshl_add_u32 v28, v15, 2, 0
	ds_load_b32 v29, v28
	s_wait_dscnt 0x0
	s_wait_xcnt 0x0
	v_cmpx_ne_u32_e64 v29, v27
	s_cbranch_execz .LBB63_16
; %bb.18:                               ;   in Loop: Header=BB63_17 Depth=2
	s_mov_b32 s35, 0
	s_branch .LBB63_20
.LBB63_19:                              ;   in Loop: Header=BB63_20 Depth=3
	s_or_b32 exec_lo, exec_lo, s38
	s_delay_alu instid0(SALU_CYCLE_1) | instskip(NEXT) | instid1(SALU_CYCLE_1)
	s_and_b32 s36, exec_lo, s37
	s_or_b32 s35, s36, s35
	s_delay_alu instid0(SALU_CYCLE_1)
	s_and_not1_b32 exec_lo, exec_lo, s35
	s_cbranch_execz .LBB63_15
.LBB63_20:                              ;   Parent Loop BB63_13 Depth=1
                                        ;     Parent Loop BB63_17 Depth=2
                                        ; =>    This Inner Loop Header: Depth=3
	s_mov_b32 s36, 0
	s_mov_b32 s37, exec_lo
	v_cmpx_ne_u32_e64 s3, v29
	s_xor_b32 s37, exec_lo, s37
	s_cbranch_execz .LBB63_22
; %bb.21:                               ;   in Loop: Header=BB63_20 Depth=3
	v_add_nc_u32_e32 v15, 1, v15
	s_mov_b32 s36, exec_lo
                                        ; implicit-def: $vgpr28
	s_delay_alu instid0(VALU_DEP_1)
	v_and_b32_e32 v15, 0xff, v15
	s_and_not1_saveexec_b32 s37, s37
	s_cbranch_execz .LBB63_24
	s_branch .LBB63_23
.LBB63_22:                              ;   in Loop: Header=BB63_20 Depth=3
	s_and_not1_saveexec_b32 s37, s37
	s_cbranch_execz .LBB63_24
.LBB63_23:                              ;   in Loop: Header=BB63_20 Depth=3
	v_mov_b32_e32 v29, s3
	s_and_not1_b32 s36, s36, exec_lo
	ds_cmpstore_rtn_b32 v28, v28, v27, v29
	s_wait_dscnt 0x0
	v_cmp_ne_u32_e32 vcc_lo, s3, v28
	s_and_b32 s38, vcc_lo, exec_lo
	s_delay_alu instid0(SALU_CYCLE_1)
	s_or_b32 s36, s36, s38
.LBB63_24:                              ;   in Loop: Header=BB63_20 Depth=3
	s_or_b32 exec_lo, exec_lo, s37
	s_mov_b32 s37, -1
                                        ; implicit-def: $vgpr28
                                        ; implicit-def: $vgpr29
	s_and_saveexec_b32 s38, s36
	s_cbranch_execz .LBB63_19
; %bb.25:                               ;   in Loop: Header=BB63_20 Depth=3
	v_lshl_add_u32 v28, v15, 2, 0
	ds_load_b32 v29, v28
	s_wait_dscnt 0x0
	v_cmp_eq_u32_e32 vcc_lo, v29, v27
	s_or_not1_b32 s37, vcc_lo, exec_lo
	s_branch .LBB63_19
.LBB63_26:
	s_or_b32 exec_lo, exec_lo, s1
.LBB63_27:
	s_delay_alu instid0(SALU_CYCLE_1)
	s_and_not1_b32 vcc_lo, exec_lo, s33
	s_cbranch_vccnz .LBB63_42
; %bb.28:
	s_wait_kmcnt 0x0
	s_ashr_i32 s21, s20, 31
	v_subrev_nc_u32_e32 v2, s7, v0
	s_lshl_b64 s[0:1], s[20:21], 2
	s_delay_alu instid0(SALU_CYCLE_1)
	s_add_nc_u64 s[0:1], s[30:31], s[0:1]
	s_load_b64 s[4:5], s[0:1], 0x0
	s_wait_xcnt 0x0
	s_mov_b32 s1, exec_lo
	s_wait_kmcnt 0x0
	v_add_nc_u32_e32 v10, s4, v2
	s_sub_co_i32 s0, s5, s7
	s_delay_alu instid0(VALU_DEP_1) | instid1(SALU_CYCLE_1)
	v_cmpx_gt_i32_e64 s0, v10
	s_cbranch_execz .LBB63_41
; %bb.29:
	s_mov_b32 s4, 0
	s_branch .LBB63_32
.LBB63_30:                              ;   in Loop: Header=BB63_32 Depth=1
	s_or_b32 exec_lo, exec_lo, s12
.LBB63_31:                              ;   in Loop: Header=BB63_32 Depth=1
	s_delay_alu instid0(SALU_CYCLE_1) | instskip(SKIP_4) | instid1(VALU_DEP_1)
	s_or_b32 exec_lo, exec_lo, s5
	s_wait_loadcnt 0x0
	v_mul_f64_e64 v[12:13], v[4:5], -v[6:7]
	v_mul_f64_e32 v[4:5], v[8:9], v[4:5]
	v_add_nc_u32_e32 v10, 0x80, v10
	v_cmp_le_i32_e32 vcc_lo, s0, v10
	s_or_b32 s4, vcc_lo, s4
	s_delay_alu instid0(VALU_DEP_4) | instskip(NEXT) | instid1(VALU_DEP_4)
	v_fmac_f64_e32 v[12:13], v[8:9], v[2:3]
	v_fmac_f64_e32 v[4:5], v[6:7], v[2:3]
	v_lshl_add_u32 v2, v11, 4, 0
	ds_add_f64 v2, v[12:13] offset:1024
	ds_add_f64 v2, v[4:5] offset:1032
	s_and_not1_b32 exec_lo, exec_lo, s4
	s_cbranch_execz .LBB63_41
.LBB63_32:                              ; =>This Loop Header: Depth=1
                                        ;     Child Loop BB63_35 Depth 2
	s_clause 0x1
	global_load_b32 v11, v10, s[8:9] scale_offset
	global_load_b128 v[2:5], v10, s[10:11] scale_offset
	s_mov_b32 s5, exec_lo
	s_wait_loadcnt 0x1
	v_subrev_nc_u32_e32 v12, s7, v11
	s_delay_alu instid0(VALU_DEP_1) | instskip(NEXT) | instid1(VALU_DEP_1)
	v_mul_lo_u32 v11, 0x89, v12
	v_and_b32_e32 v11, 0xff, v11
	s_delay_alu instid0(VALU_DEP_1)
	v_lshl_add_u32 v13, v11, 2, 0
	ds_load_b32 v14, v13
	s_wait_dscnt 0x0
	s_wait_xcnt 0x0
	v_cmpx_ne_u32_e64 v14, v12
	s_cbranch_execz .LBB63_31
; %bb.33:                               ;   in Loop: Header=BB63_32 Depth=1
	s_mov_b32 s12, 0
	s_branch .LBB63_35
.LBB63_34:                              ;   in Loop: Header=BB63_35 Depth=2
	s_or_b32 exec_lo, exec_lo, s15
	s_delay_alu instid0(SALU_CYCLE_1) | instskip(NEXT) | instid1(SALU_CYCLE_1)
	s_and_b32 s13, exec_lo, s14
	s_or_b32 s12, s13, s12
	s_delay_alu instid0(SALU_CYCLE_1)
	s_and_not1_b32 exec_lo, exec_lo, s12
	s_cbranch_execz .LBB63_30
.LBB63_35:                              ;   Parent Loop BB63_32 Depth=1
                                        ; =>  This Inner Loop Header: Depth=2
	s_mov_b32 s13, 0
	s_mov_b32 s14, exec_lo
	v_cmpx_ne_u32_e64 s3, v14
	s_xor_b32 s14, exec_lo, s14
	s_cbranch_execz .LBB63_37
; %bb.36:                               ;   in Loop: Header=BB63_35 Depth=2
	v_add_nc_u32_e32 v11, 1, v11
	s_mov_b32 s13, exec_lo
                                        ; implicit-def: $vgpr13
	s_delay_alu instid0(VALU_DEP_1)
	v_and_b32_e32 v11, 0xff, v11
	s_and_not1_saveexec_b32 s14, s14
	s_cbranch_execz .LBB63_39
	s_branch .LBB63_38
.LBB63_37:                              ;   in Loop: Header=BB63_35 Depth=2
	s_and_not1_saveexec_b32 s14, s14
	s_cbranch_execz .LBB63_39
.LBB63_38:                              ;   in Loop: Header=BB63_35 Depth=2
	v_mov_b32_e32 v14, s3
	s_and_not1_b32 s13, s13, exec_lo
	ds_cmpstore_rtn_b32 v13, v13, v12, v14
	s_wait_dscnt 0x0
	v_cmp_ne_u32_e32 vcc_lo, s3, v13
	s_and_b32 s15, vcc_lo, exec_lo
	s_delay_alu instid0(SALU_CYCLE_1)
	s_or_b32 s13, s13, s15
.LBB63_39:                              ;   in Loop: Header=BB63_35 Depth=2
	s_or_b32 exec_lo, exec_lo, s14
	s_mov_b32 s14, -1
                                        ; implicit-def: $vgpr13
                                        ; implicit-def: $vgpr14
	s_and_saveexec_b32 s15, s13
	s_cbranch_execz .LBB63_34
; %bb.40:                               ;   in Loop: Header=BB63_35 Depth=2
	v_lshl_add_u32 v13, v11, 2, 0
	ds_load_b32 v14, v13
	s_wait_dscnt 0x0
	v_cmp_eq_u32_e32 vcc_lo, v14, v12
	s_or_not1_b32 s14, vcc_lo, exec_lo
	s_branch .LBB63_34
.LBB63_41:
	s_or_b32 exec_lo, exec_lo, s1
.LBB63_42:
	s_wait_dscnt 0x0
	s_barrier_signal -1
	s_barrier_wait -1
	s_and_saveexec_b32 s4, s2
	s_cbranch_execz .LBB63_51
; %bb.43:
	v_dual_mov_b32 v3, 0 :: v_dual_bitop2_b32 v2, 31, v21 bitop3:0x14
	v_dual_mov_b32 v6, 0 :: v_dual_bitop2_b32 v4, 4, v23 bitop3:0x40
	s_wait_xcnt 0x0
	v_cmp_eq_u32_e64 s0, 0x7f, v0
	s_delay_alu instid0(VALU_DEP_3)
	v_lshrrev_b32_e64 v2, v2, -1
	v_add3_u32 v5, v22, 0, 0x400
	v_add_nc_u32_e32 v4, 0, v4
	s_mov_b32 s2, 0
	v_cmp_lt_u32_e32 vcc_lo, 63, v0
	s_branch .LBB63_45
.LBB63_44:                              ;   in Loop: Header=BB63_45 Depth=1
	s_or_b32 exec_lo, exec_lo, s1
	s_wait_dscnt 0x0
	s_barrier_signal -1
	s_barrier_wait -1
	ds_load_b32 v7, v3 offset:5124
	v_add_co_u32 v1, s1, 0x80, v1
	s_xor_b32 s1, s1, -1
	v_add_nc_u32_e32 v5, 0x800, v5
	v_add_nc_u32_e32 v20, 0x200, v20
	s_and_b32 s1, exec_lo, s1
	s_delay_alu instid0(SALU_CYCLE_1)
	s_or_b32 s2, s1, s2
	s_wait_dscnt 0x0
	v_add_nc_u32_e32 v6, v7, v6
	s_and_not1_b32 exec_lo, exec_lo, s2
	s_cbranch_execz .LBB63_51
.LBB63_45:                              ; =>This Inner Loop Header: Depth=1
	ds_load_b32 v7, v20
	ds_load_2addr_b64 v[8:11], v5 offset1:1
	s_wait_dscnt 0x1
	v_cmp_gt_i32_e64 s1, s3, v7
	s_wait_dscnt 0x0
	scratch_store_b128 off, v[8:11], off
	s_wait_storecnt 0x0
	s_barrier_signal -1
	s_barrier_wait -1
	s_bcnt1_i32_b32 s5, s1
	s_wait_xcnt 0x0
	v_dual_mov_b32 v9, s5 :: v_dual_bitop2_b32 v8, s1, v2 bitop3:0x40
	s_delay_alu instid0(VALU_DEP_1)
	v_bcnt_u32_b32 v8, v8, 0
	ds_store_b32 v4, v9 offset:5120
	s_wait_dscnt 0x0
	s_barrier_signal -1
	s_barrier_wait -1
	s_and_saveexec_b32 s5, vcc_lo
	s_cbranch_execz .LBB63_48
; %bb.46:                               ;   in Loop: Header=BB63_45 Depth=1
	ds_load_b32 v9, v3 offset:5120
	s_wait_dscnt 0x0
	v_add_nc_u32_e32 v8, v9, v8
	s_or_b32 exec_lo, exec_lo, s5
	s_and_saveexec_b32 s5, s1
	s_cbranch_execnz .LBB63_49
.LBB63_47:                              ;   in Loop: Header=BB63_45 Depth=1
	s_or_b32 exec_lo, exec_lo, s5
	s_and_saveexec_b32 s1, s0
	s_cbranch_execz .LBB63_44
	s_branch .LBB63_50
.LBB63_48:                              ;   in Loop: Header=BB63_45 Depth=1
	s_or_b32 exec_lo, exec_lo, s5
	s_and_saveexec_b32 s5, s1
	s_cbranch_execz .LBB63_47
.LBB63_49:                              ;   in Loop: Header=BB63_45 Depth=1
	scratch_load_b128 v[10:13], off, off
	v_add3_u32 v9, v6, -1, v8
	v_add_nc_u32_e32 v14, v6, v8
	s_delay_alu instid0(VALU_DEP_2) | instskip(NEXT) | instid1(VALU_DEP_2)
	v_lshl_add_u32 v9, v9, 2, 0
	v_lshl_add_u32 v14, v14, 4, 0
	ds_store_b32 v9, v7
	s_wait_loadcnt 0x0
	ds_store_2addr_b64 v14, v[10:11], v[12:13] offset0:126 offset1:127
	s_or_b32 exec_lo, exec_lo, s5
	s_and_saveexec_b32 s1, s0
	s_cbranch_execz .LBB63_44
.LBB63_50:                              ;   in Loop: Header=BB63_45 Depth=1
	ds_store_b32 v3, v8 offset:5124
	s_branch .LBB63_44
.LBB63_51:
	s_or_b32 exec_lo, exec_lo, s4
	s_wait_kmcnt 0x0
	s_ashr_i32 s21, s20, 31
	s_delay_alu instid0(SALU_CYCLE_1) | instskip(NEXT) | instid1(SALU_CYCLE_1)
	s_lshl_b64 s[0:1], s[20:21], 2
	s_add_nc_u64 s[2:3], s[26:27], s[0:1]
	s_load_b64 s[0:1], s[2:3], 0x0
	s_wait_kmcnt 0x0
	s_sub_co_i32 s4, s1, s0
	s_mov_b32 s1, exec_lo
	v_cmpx_gt_i32_e64 s4, v0
	s_cbranch_execz .LBB63_65
; %bb.52:
	v_sub_co_u32 v1, s1, s4, 2
	s_sub_co_i32 s2, s0, s6
	s_xor_b32 s6, s1, -1
	s_and_b32 s5, s4, -2
	v_readfirstlane_b32 s3, v1
	s_lshr_b32 s0, s3, 1
	s_mov_b32 s3, 0
	s_add_co_i32 s0, s0, 1
	s_mov_b32 s11, s3
	s_and_b32 s1, s0, 7
	s_and_b32 s7, s0, -8
	s_cmp_lg_u32 s1, 0
	v_cmp_lt_u32_e64 s0, 13, v1
	s_cselect_b32 s8, -1, 0
	s_cmp_lg_u32 s4, s5
	s_cselect_b32 s9, -1, 0
	s_lshl_b32 s10, s1, 3
	s_branch .LBB63_54
.LBB63_53:                              ;   in Loop: Header=BB63_54 Depth=1
	v_mad_u32 v1, v0, 12, v1
	v_add_nc_u32_e32 v0, 0x80, v0
	s_delay_alu instid0(VALU_DEP_1)
	v_cmp_le_i32_e32 vcc_lo, s4, v0
	s_or_b32 s11, vcc_lo, s11
	s_wait_dscnt 0x0
	ds_load_2addr_b64 v[4:7], v1 offset0:128 offset1:129
	s_wait_dscnt 0x0
	global_store_b128 v2, v[4:7], s[24:25] scale_offset
	s_wait_xcnt 0x0
	s_and_not1_b32 exec_lo, exec_lo, s11
	s_cbranch_execz .LBB63_65
.LBB63_54:                              ; =>This Loop Header: Depth=1
                                        ;     Child Loop BB63_57 Depth 2
                                        ;     Child Loop BB63_60 Depth 2
	;; [unrolled: 1-line block ×3, first 2 shown]
	v_lshl_add_u32 v1, v0, 2, 0
	v_mov_b32_e32 v2, s2
	s_and_not1_b32 vcc_lo, exec_lo, s6
	s_mov_b32 s1, 0
	s_mov_b32 s12, -1
	ds_load_b32 v4, v1
	s_cbranch_vccnz .LBB63_62
; %bb.55:                               ;   in Loop: Header=BB63_54 Depth=1
	v_mov_b64_e32 v[2:3], s[2:3]
	s_and_not1_b32 vcc_lo, exec_lo, s0
	s_mov_b32 s12, 0
	s_cbranch_vccnz .LBB63_58
; %bb.56:                               ;   in Loop: Header=BB63_54 Depth=1
	v_dual_mov_b32 v2, s2 :: v_dual_mov_b32 v3, 0
	s_mov_b32 s13, 0
	s_mov_b32 s14, s7
.LBB63_57:                              ;   Parent Loop BB63_54 Depth=1
                                        ; =>  This Inner Loop Header: Depth=2
	v_mov_b32_e32 v5, s13
	s_add_co_i32 s14, s14, -8
	s_add_co_i32 s12, s12, 16
	s_add_co_i32 s13, s13, 64
	s_cmp_lg_u32 s14, 0
	ds_load_2addr_b32 v[6:7], v5 offset1:1
	ds_load_2addr_b32 v[8:9], v5 offset0:2 offset1:3
	ds_load_2addr_b32 v[10:11], v5 offset0:4 offset1:5
	;; [unrolled: 1-line block ×7, first 2 shown]
	s_wait_dscnt 0x7
	v_cmp_gt_i32_e32 vcc_lo, v4, v7
	s_wait_dscnt 0x5
	v_cmp_gt_i32_e64 s1, v4, v10
	v_cndmask_b32_e64 v5, 0, 1, vcc_lo
	v_cmp_gt_i32_e32 vcc_lo, v4, v6
	s_delay_alu instid0(VALU_DEP_3) | instskip(SKIP_3) | instid1(VALU_DEP_3)
	v_cndmask_b32_e64 v7, 0, 1, s1
	v_cmp_gt_i32_e64 s1, v4, v11
	v_cndmask_b32_e64 v6, 0, 1, vcc_lo
	v_cmp_gt_i32_e32 vcc_lo, v4, v8
	v_cndmask_b32_e64 v8, 0, 1, s1
	s_wait_dscnt 0x4
	v_cmp_gt_i32_e64 s1, v4, v13
	v_add_co_ci_u32_e64 v2, null, v2, v6, vcc_lo
	s_delay_alu instid0(VALU_DEP_2) | instskip(SKIP_3) | instid1(VALU_DEP_2)
	v_cndmask_b32_e64 v10, 0, 1, s1
	v_cmp_gt_i32_e64 s1, v4, v12
	s_wait_dscnt 0x2
	v_cmp_gt_i32_e32 vcc_lo, v4, v16
	v_cndmask_b32_e64 v11, 0, 1, s1
	v_cmp_gt_i32_e64 s1, v4, v14
	v_add_co_ci_u32_e64 v2, null, v2, v7, vcc_lo
	s_wait_dscnt 0x1
	v_cmp_gt_i32_e32 vcc_lo, v4, v18
	s_delay_alu instid0(VALU_DEP_3) | instskip(SKIP_4) | instid1(VALU_DEP_3)
	v_cndmask_b32_e64 v12, 0, 1, s1
	v_cmp_gt_i32_e64 s1, v4, v15
	v_add_co_ci_u32_e64 v2, null, v2, v11, vcc_lo
	s_wait_dscnt 0x0
	v_cmp_gt_i32_e32 vcc_lo, v4, v20
	v_cndmask_b32_e64 v13, 0, 1, s1
	v_cmp_gt_i32_e64 s1, v4, v9
	v_add_co_ci_u32_e64 v2, null, v2, v12, vcc_lo
	s_delay_alu instid0(VALU_DEP_2) | instskip(SKIP_1) | instid1(VALU_DEP_1)
	v_add_co_ci_u32_e64 v3, null, v3, v5, s1
	v_cmp_gt_i32_e64 s1, v4, v17
	v_add_co_ci_u32_e64 v3, null, v3, v8, s1
	v_cmp_gt_i32_e64 s1, v4, v19
	s_delay_alu instid0(VALU_DEP_1) | instskip(SKIP_1) | instid1(VALU_DEP_1)
	v_add_co_ci_u32_e64 v3, null, v3, v10, s1
	v_cmp_gt_i32_e64 s1, v4, v21
	v_add_co_ci_u32_e64 v3, null, v3, v13, s1
	s_cbranch_scc1 .LBB63_57
.LBB63_58:                              ;   in Loop: Header=BB63_54 Depth=1
	s_and_not1_b32 vcc_lo, exec_lo, s8
	s_cbranch_vccnz .LBB63_61
; %bb.59:                               ;   in Loop: Header=BB63_54 Depth=1
	s_lshl_b32 s1, s12, 2
	s_mov_b32 s12, s10
	s_add_co_i32 s1, s1, 0
.LBB63_60:                              ;   Parent Loop BB63_54 Depth=1
                                        ; =>  This Inner Loop Header: Depth=2
	s_delay_alu instid0(SALU_CYCLE_1)
	v_mov_b32_e32 v5, s1
	s_add_co_i32 s12, s12, -8
	s_add_co_i32 s1, s1, 8
	s_cmp_lg_u32 s12, 0
	ds_load_2addr_b32 v[6:7], v5 offset1:1
	s_wait_dscnt 0x0
	v_cmp_gt_i32_e32 vcc_lo, v4, v7
	v_add_co_ci_u32_e64 v3, null, 0, v3, vcc_lo
	v_cmp_gt_i32_e32 vcc_lo, v4, v6
	v_add_co_ci_u32_e64 v2, null, 0, v2, vcc_lo
	s_cbranch_scc1 .LBB63_60
.LBB63_61:                              ;   in Loop: Header=BB63_54 Depth=1
	s_delay_alu instid0(VALU_DEP_1)
	v_add_nc_u32_e32 v2, v2, v3
	s_mov_b32 s1, s5
	s_mov_b32 s12, s9
.LBB63_62:                              ;   in Loop: Header=BB63_54 Depth=1
	s_delay_alu instid0(SALU_CYCLE_1)
	s_and_b32 vcc_lo, exec_lo, s12
	s_cbranch_vccz .LBB63_53
; %bb.63:                               ;   in Loop: Header=BB63_54 Depth=1
	s_lshl_b32 s12, s1, 2
	s_delay_alu instid0(SALU_CYCLE_1)
	s_add_co_i32 s12, s12, 0
.LBB63_64:                              ;   Parent Loop BB63_54 Depth=1
                                        ; =>  This Inner Loop Header: Depth=2
	s_delay_alu instid0(SALU_CYCLE_1)
	v_mov_b32_e32 v3, s12
	s_add_co_i32 s1, s1, 1
	s_add_co_i32 s12, s12, 4
	s_cmp_ge_i32 s1, s4
	ds_load_b32 v3, v3
	s_wait_dscnt 0x0
	v_cmp_gt_i32_e32 vcc_lo, v4, v3
	v_add_co_ci_u32_e64 v2, null, 0, v2, vcc_lo
	s_cbranch_scc0 .LBB63_64
	s_branch .LBB63_53
.LBB63_65:
	s_endpgm
	.section	.rodata,"a",@progbits
	.p2align	6, 0x0
	.amdhsa_kernel _ZN9rocsparseL41csrgemm_numeric_fill_block_per_row_kernelILj128ELj16ELj256ELj137ELj64Eii21rocsparse_complex_numIdEEEvT5_PKS3_S5_NS_24const_host_device_scalarIT6_EEPKT4_S5_PKS7_SB_S5_SD_S8_SB_S5_SD_SB_S5_PS7_21rocsparse_index_base_SF_SF_SF_bbb
		.amdhsa_group_segment_fixed_size 0
		.amdhsa_private_segment_fixed_size 40
		.amdhsa_kernarg_size 172
		.amdhsa_user_sgpr_count 2
		.amdhsa_user_sgpr_dispatch_ptr 0
		.amdhsa_user_sgpr_queue_ptr 0
		.amdhsa_user_sgpr_kernarg_segment_ptr 1
		.amdhsa_user_sgpr_dispatch_id 0
		.amdhsa_user_sgpr_kernarg_preload_length 0
		.amdhsa_user_sgpr_kernarg_preload_offset 0
		.amdhsa_user_sgpr_private_segment_size 0
		.amdhsa_wavefront_size32 1
		.amdhsa_uses_dynamic_stack 0
		.amdhsa_enable_private_segment 1
		.amdhsa_system_sgpr_workgroup_id_x 1
		.amdhsa_system_sgpr_workgroup_id_y 0
		.amdhsa_system_sgpr_workgroup_id_z 0
		.amdhsa_system_sgpr_workgroup_info 0
		.amdhsa_system_vgpr_workitem_id 0
		.amdhsa_next_free_vgpr 30
		.amdhsa_next_free_sgpr 39
		.amdhsa_named_barrier_count 0
		.amdhsa_reserve_vcc 1
		.amdhsa_float_round_mode_32 0
		.amdhsa_float_round_mode_16_64 0
		.amdhsa_float_denorm_mode_32 3
		.amdhsa_float_denorm_mode_16_64 3
		.amdhsa_fp16_overflow 0
		.amdhsa_memory_ordered 1
		.amdhsa_forward_progress 1
		.amdhsa_inst_pref_size 24
		.amdhsa_round_robin_scheduling 0
		.amdhsa_exception_fp_ieee_invalid_op 0
		.amdhsa_exception_fp_denorm_src 0
		.amdhsa_exception_fp_ieee_div_zero 0
		.amdhsa_exception_fp_ieee_overflow 0
		.amdhsa_exception_fp_ieee_underflow 0
		.amdhsa_exception_fp_ieee_inexact 0
		.amdhsa_exception_int_div_zero 0
	.end_amdhsa_kernel
	.section	.text._ZN9rocsparseL41csrgemm_numeric_fill_block_per_row_kernelILj128ELj16ELj256ELj137ELj64Eii21rocsparse_complex_numIdEEEvT5_PKS3_S5_NS_24const_host_device_scalarIT6_EEPKT4_S5_PKS7_SB_S5_SD_S8_SB_S5_SD_SB_S5_PS7_21rocsparse_index_base_SF_SF_SF_bbb,"axG",@progbits,_ZN9rocsparseL41csrgemm_numeric_fill_block_per_row_kernelILj128ELj16ELj256ELj137ELj64Eii21rocsparse_complex_numIdEEEvT5_PKS3_S5_NS_24const_host_device_scalarIT6_EEPKT4_S5_PKS7_SB_S5_SD_S8_SB_S5_SD_SB_S5_PS7_21rocsparse_index_base_SF_SF_SF_bbb,comdat
.Lfunc_end63:
	.size	_ZN9rocsparseL41csrgemm_numeric_fill_block_per_row_kernelILj128ELj16ELj256ELj137ELj64Eii21rocsparse_complex_numIdEEEvT5_PKS3_S5_NS_24const_host_device_scalarIT6_EEPKT4_S5_PKS7_SB_S5_SD_S8_SB_S5_SD_SB_S5_PS7_21rocsparse_index_base_SF_SF_SF_bbb, .Lfunc_end63-_ZN9rocsparseL41csrgemm_numeric_fill_block_per_row_kernelILj128ELj16ELj256ELj137ELj64Eii21rocsparse_complex_numIdEEEvT5_PKS3_S5_NS_24const_host_device_scalarIT6_EEPKT4_S5_PKS7_SB_S5_SD_S8_SB_S5_SD_SB_S5_PS7_21rocsparse_index_base_SF_SF_SF_bbb
                                        ; -- End function
	.set _ZN9rocsparseL41csrgemm_numeric_fill_block_per_row_kernelILj128ELj16ELj256ELj137ELj64Eii21rocsparse_complex_numIdEEEvT5_PKS3_S5_NS_24const_host_device_scalarIT6_EEPKT4_S5_PKS7_SB_S5_SD_S8_SB_S5_SD_SB_S5_PS7_21rocsparse_index_base_SF_SF_SF_bbb.num_vgpr, 30
	.set _ZN9rocsparseL41csrgemm_numeric_fill_block_per_row_kernelILj128ELj16ELj256ELj137ELj64Eii21rocsparse_complex_numIdEEEvT5_PKS3_S5_NS_24const_host_device_scalarIT6_EEPKT4_S5_PKS7_SB_S5_SD_S8_SB_S5_SD_SB_S5_PS7_21rocsparse_index_base_SF_SF_SF_bbb.num_agpr, 0
	.set _ZN9rocsparseL41csrgemm_numeric_fill_block_per_row_kernelILj128ELj16ELj256ELj137ELj64Eii21rocsparse_complex_numIdEEEvT5_PKS3_S5_NS_24const_host_device_scalarIT6_EEPKT4_S5_PKS7_SB_S5_SD_S8_SB_S5_SD_SB_S5_PS7_21rocsparse_index_base_SF_SF_SF_bbb.numbered_sgpr, 39
	.set _ZN9rocsparseL41csrgemm_numeric_fill_block_per_row_kernelILj128ELj16ELj256ELj137ELj64Eii21rocsparse_complex_numIdEEEvT5_PKS3_S5_NS_24const_host_device_scalarIT6_EEPKT4_S5_PKS7_SB_S5_SD_S8_SB_S5_SD_SB_S5_PS7_21rocsparse_index_base_SF_SF_SF_bbb.num_named_barrier, 0
	.set _ZN9rocsparseL41csrgemm_numeric_fill_block_per_row_kernelILj128ELj16ELj256ELj137ELj64Eii21rocsparse_complex_numIdEEEvT5_PKS3_S5_NS_24const_host_device_scalarIT6_EEPKT4_S5_PKS7_SB_S5_SD_S8_SB_S5_SD_SB_S5_PS7_21rocsparse_index_base_SF_SF_SF_bbb.private_seg_size, 40
	.set _ZN9rocsparseL41csrgemm_numeric_fill_block_per_row_kernelILj128ELj16ELj256ELj137ELj64Eii21rocsparse_complex_numIdEEEvT5_PKS3_S5_NS_24const_host_device_scalarIT6_EEPKT4_S5_PKS7_SB_S5_SD_S8_SB_S5_SD_SB_S5_PS7_21rocsparse_index_base_SF_SF_SF_bbb.uses_vcc, 1
	.set _ZN9rocsparseL41csrgemm_numeric_fill_block_per_row_kernelILj128ELj16ELj256ELj137ELj64Eii21rocsparse_complex_numIdEEEvT5_PKS3_S5_NS_24const_host_device_scalarIT6_EEPKT4_S5_PKS7_SB_S5_SD_S8_SB_S5_SD_SB_S5_PS7_21rocsparse_index_base_SF_SF_SF_bbb.uses_flat_scratch, 1
	.set _ZN9rocsparseL41csrgemm_numeric_fill_block_per_row_kernelILj128ELj16ELj256ELj137ELj64Eii21rocsparse_complex_numIdEEEvT5_PKS3_S5_NS_24const_host_device_scalarIT6_EEPKT4_S5_PKS7_SB_S5_SD_S8_SB_S5_SD_SB_S5_PS7_21rocsparse_index_base_SF_SF_SF_bbb.has_dyn_sized_stack, 0
	.set _ZN9rocsparseL41csrgemm_numeric_fill_block_per_row_kernelILj128ELj16ELj256ELj137ELj64Eii21rocsparse_complex_numIdEEEvT5_PKS3_S5_NS_24const_host_device_scalarIT6_EEPKT4_S5_PKS7_SB_S5_SD_S8_SB_S5_SD_SB_S5_PS7_21rocsparse_index_base_SF_SF_SF_bbb.has_recursion, 0
	.set _ZN9rocsparseL41csrgemm_numeric_fill_block_per_row_kernelILj128ELj16ELj256ELj137ELj64Eii21rocsparse_complex_numIdEEEvT5_PKS3_S5_NS_24const_host_device_scalarIT6_EEPKT4_S5_PKS7_SB_S5_SD_S8_SB_S5_SD_SB_S5_PS7_21rocsparse_index_base_SF_SF_SF_bbb.has_indirect_call, 0
	.section	.AMDGPU.csdata,"",@progbits
; Kernel info:
; codeLenInByte = 3060
; TotalNumSgprs: 41
; NumVgprs: 30
; ScratchSize: 40
; MemoryBound: 0
; FloatMode: 240
; IeeeMode: 1
; LDSByteSize: 0 bytes/workgroup (compile time only)
; SGPRBlocks: 0
; VGPRBlocks: 1
; NumSGPRsForWavesPerEU: 41
; NumVGPRsForWavesPerEU: 30
; NamedBarCnt: 0
; Occupancy: 16
; WaveLimiterHint : 1
; COMPUTE_PGM_RSRC2:SCRATCH_EN: 1
; COMPUTE_PGM_RSRC2:USER_SGPR: 2
; COMPUTE_PGM_RSRC2:TRAP_HANDLER: 0
; COMPUTE_PGM_RSRC2:TGID_X_EN: 1
; COMPUTE_PGM_RSRC2:TGID_Y_EN: 0
; COMPUTE_PGM_RSRC2:TGID_Z_EN: 0
; COMPUTE_PGM_RSRC2:TIDIG_COMP_CNT: 0
	.section	.text._ZN9rocsparseL41csrgemm_numeric_fill_block_per_row_kernelILj256ELj32ELj512ELj137ELj32Eii21rocsparse_complex_numIdEEEvT5_PKS3_S5_NS_24const_host_device_scalarIT6_EEPKT4_S5_PKS7_SB_S5_SD_S8_SB_S5_SD_SB_S5_PS7_21rocsparse_index_base_SF_SF_SF_bbb,"axG",@progbits,_ZN9rocsparseL41csrgemm_numeric_fill_block_per_row_kernelILj256ELj32ELj512ELj137ELj32Eii21rocsparse_complex_numIdEEEvT5_PKS3_S5_NS_24const_host_device_scalarIT6_EEPKT4_S5_PKS7_SB_S5_SD_S8_SB_S5_SD_SB_S5_PS7_21rocsparse_index_base_SF_SF_SF_bbb,comdat
	.globl	_ZN9rocsparseL41csrgemm_numeric_fill_block_per_row_kernelILj256ELj32ELj512ELj137ELj32Eii21rocsparse_complex_numIdEEEvT5_PKS3_S5_NS_24const_host_device_scalarIT6_EEPKT4_S5_PKS7_SB_S5_SD_S8_SB_S5_SD_SB_S5_PS7_21rocsparse_index_base_SF_SF_SF_bbb ; -- Begin function _ZN9rocsparseL41csrgemm_numeric_fill_block_per_row_kernelILj256ELj32ELj512ELj137ELj32Eii21rocsparse_complex_numIdEEEvT5_PKS3_S5_NS_24const_host_device_scalarIT6_EEPKT4_S5_PKS7_SB_S5_SD_S8_SB_S5_SD_SB_S5_PS7_21rocsparse_index_base_SF_SF_SF_bbb
	.p2align	8
	.type	_ZN9rocsparseL41csrgemm_numeric_fill_block_per_row_kernelILj256ELj32ELj512ELj137ELj32Eii21rocsparse_complex_numIdEEEvT5_PKS3_S5_NS_24const_host_device_scalarIT6_EEPKT4_S5_PKS7_SB_S5_SD_S8_SB_S5_SD_SB_S5_PS7_21rocsparse_index_base_SF_SF_SF_bbb,@function
_ZN9rocsparseL41csrgemm_numeric_fill_block_per_row_kernelILj256ELj32ELj512ELj137ELj32Eii21rocsparse_complex_numIdEEEvT5_PKS3_S5_NS_24const_host_device_scalarIT6_EEPKT4_S5_PKS7_SB_S5_SD_S8_SB_S5_SD_SB_S5_PS7_21rocsparse_index_base_SF_SF_SF_bbb: ; @_ZN9rocsparseL41csrgemm_numeric_fill_block_per_row_kernelILj256ELj32ELj512ELj137ELj32Eii21rocsparse_complex_numIdEEEvT5_PKS3_S5_NS_24const_host_device_scalarIT6_EEPKT4_S5_PKS7_SB_S5_SD_S8_SB_S5_SD_SB_S5_PS7_21rocsparse_index_base_SF_SF_SF_bbb
; %bb.0:
	s_clause 0x2
	s_load_b32 s13, s[0:1], 0xa8
	s_load_b128 s[8:11], s[0:1], 0x18
	s_load_b128 s[4:7], s[0:1], 0x58
	v_mov_b64_e32 v[6:7], 0
	v_mov_b64_e32 v[10:11], 0
	;; [unrolled: 1-line block ×3, first 2 shown]
	v_mbcnt_lo_u32_b32 v21, -1, 0
	s_wait_kmcnt 0x0
	s_bitcmp1_b32 s13, 0
	v_mov_b64_e32 v[2:3], s[8:9]
	s_cselect_b32 s36, -1, 0
	s_bitcmp1_b32 s13, 16
	v_mov_b64_e32 v[4:5], s[4:5]
	s_cselect_b32 s2, -1, 0
	s_clause 0x1
	scratch_store_b64 off, v[2:3], off offset:16
	scratch_store_b64 off, v[4:5], off offset:24
	s_xor_b32 s12, s2, -1
	s_bitcmp0_b32 s13, 0
	v_cndmask_b32_e64 v1, 0, 1, s12
	s_delay_alu instid0(VALU_DEP_1)
	v_cmp_ne_u32_e32 vcc_lo, 1, v1
	s_cbranch_scc1 .LBB64_3
; %bb.1:
	s_wait_xcnt 0x1
	v_dual_mov_b32 v2, 16 :: v_dual_lshlrev_b32 v3, 20, v21
	v_mov_b64_e32 v[12:13], s[10:11]
	s_and_b32 vcc_lo, exec_lo, vcc_lo
	s_delay_alu instid0(VALU_DEP_2) | instskip(NEXT) | instid1(VALU_DEP_1)
	v_add_nc_u64_e32 v[2:3], src_flat_scratch_base_lo, v[2:3]
	v_cndmask_b32_e64 v3, s9, v3, s2
	s_delay_alu instid0(VALU_DEP_2)
	v_cndmask_b32_e64 v2, s8, v2, s2
	flat_load_b64 v[10:11], v[2:3]
	s_cbranch_vccnz .LBB64_3
; %bb.2:
	v_mov_b32_e32 v1, 0
	flat_load_b64 v[12:13], v1, s[8:9] offset:8
.LBB64_3:
	s_wait_xcnt 0x0
	s_load_b128 s[8:11], s[0:1], 0x98
	v_mov_b64_e32 v[8:9], 0
	s_bitcmp1_b32 s13, 8
	s_cselect_b32 s3, -1, 0
	s_bfe_u32 s13, s13, 0x10008
	s_delay_alu instid0(SALU_CYCLE_1)
	s_cmp_eq_u32 s13, 0
	s_cbranch_scc1 .LBB64_6
; %bb.4:
	v_dual_mov_b32 v2, 24 :: v_dual_lshlrev_b32 v3, 20, v21
	v_mov_b64_e32 v[6:7], s[6:7]
	s_and_not1_b32 vcc_lo, exec_lo, s12
	s_delay_alu instid0(VALU_DEP_2) | instskip(NEXT) | instid1(VALU_DEP_1)
	v_add_nc_u64_e32 v[2:3], src_flat_scratch_base_lo, v[2:3]
	v_cndmask_b32_e64 v3, s5, v3, s2
	s_delay_alu instid0(VALU_DEP_2)
	v_cndmask_b32_e64 v2, s4, v2, s2
	flat_load_b64 v[8:9], v[2:3]
	s_cbranch_vccnz .LBB64_6
; %bb.5:
	v_mov_b32_e32 v1, 0
	flat_load_b64 v[6:7], v1, s[4:5] offset:8
.LBB64_6:
	s_clause 0x5
	s_load_b64 s[24:25], s[0:1], 0x90
	s_load_b128 s[4:7], s[0:1], 0x70
	s_load_b128 s[12:15], s[0:1], 0x48
	s_load_b64 s[28:29], s[0:1], 0x30
	s_load_b128 s[20:23], s[0:1], 0x8
	s_load_b32 s33, s[0:1], 0x0
	v_cmp_gt_u32_e64 s2, 0x200, v0
	v_lshlrev_b32_e32 v22, 4, v0
	v_or_b32_e32 v1, 0xffffff00, v0
	v_lshl_add_u32 v20, v0, 2, 0
	s_and_saveexec_b32 s18, s2
	s_cbranch_execz .LBB64_9
; %bb.7:
	s_mov_b32 s16, 0
	v_add3_u32 v14, v22, 0, 0x800
	s_mov_b32 s17, s16
	s_mov_b32 s26, s16
	;; [unrolled: 1-line block ×3, first 2 shown]
	v_mov_b64_e32 v[2:3], s[16:17]
	v_mov_b64_e32 v[4:5], s[26:27]
	v_or_b32_e32 v15, 0xffffff00, v0
	v_lshl_add_u32 v16, v0, 2, 0
	s_wait_kmcnt 0x0
	v_mov_b32_e32 v17, s33
.LBB64_8:                               ; =>This Inner Loop Header: Depth=1
	s_delay_alu instid0(VALU_DEP_3)
	v_add_co_u32 v15, s17, 0x100, v15
	s_xor_b32 s17, s17, -1
	ds_store_b32 v16, v17
	ds_store_2addr_b64 v14, v[2:3], v[4:5] offset1:1
	v_add_nc_u32_e32 v14, 0x1000, v14
	v_add_nc_u32_e32 v16, 0x400, v16
	s_and_b32 s17, exec_lo, s17
	s_delay_alu instid0(SALU_CYCLE_1) | instskip(NEXT) | instid1(SALU_CYCLE_1)
	s_or_b32 s16, s17, s16
	s_and_not1_b32 exec_lo, exec_lo, s16
	s_cbranch_execnz .LBB64_8
.LBB64_9:
	s_or_b32 exec_lo, exec_lo, s18
	s_clause 0x3
	s_load_b64 s[26:27], s[0:1], 0x80
	s_load_b64 s[30:31], s[0:1], 0x68
	;; [unrolled: 1-line block ×3, first 2 shown]
	s_load_b128 s[16:19], s[0:1], 0x38
	s_wait_storecnt 0x0
	s_wait_loadcnt_dscnt 0x0
	s_barrier_signal -1
	s_barrier_wait -1
	s_wait_kmcnt 0x0
	s_load_b32 s0, s[20:21], 0x0
	s_bfe_u32 s1, ttmp6, 0x4000c
	s_wait_xcnt 0x0
	s_and_b32 s20, ttmp6, 15
	s_add_co_i32 s1, s1, 1
	s_getreg_b32 s21, hwreg(HW_REG_IB_STS2, 6, 4)
	s_mul_i32 s1, ttmp9, s1
	v_lshrrev_b32_e32 v23, 5, v0
	s_add_co_i32 s20, s20, s1
	s_cmp_eq_u32 s21, 0
	s_cselect_b32 s1, ttmp9, s20
	s_and_b32 vcc_lo, exec_lo, s36
	s_wait_kmcnt 0x0
	s_add_co_i32 s0, s0, s1
	s_load_b32 s20, s[22:23], s0 offset:0x0 scale_offset
	s_cbranch_vccz .LBB64_27
; %bb.10:
	s_wait_kmcnt 0x0
	s_ashr_i32 s21, s20, 31
	v_subrev_nc_u32_e32 v2, s8, v23
	s_lshl_b64 s[0:1], s[20:21], 2
	s_delay_alu instid0(SALU_CYCLE_1)
	s_add_nc_u64 s[0:1], s[34:35], s[0:1]
	s_load_b64 s[22:23], s[0:1], 0x0
	s_wait_xcnt 0x0
	s_mov_b32 s1, exec_lo
	s_wait_kmcnt 0x0
	v_add_nc_u32_e32 v14, s22, v2
	s_sub_co_i32 s0, s23, s8
	s_delay_alu instid0(VALU_DEP_1) | instid1(SALU_CYCLE_1)
	v_cmpx_gt_i32_e64 s0, v14
	s_cbranch_execz .LBB64_26
; %bb.11:
	v_and_b32_e32 v2, 31, v0
	s_mov_b32 s21, 0
	s_delay_alu instid0(VALU_DEP_1)
	v_subrev_nc_u32_e32 v24, s9, v2
	s_branch .LBB64_13
.LBB64_12:                              ;   in Loop: Header=BB64_13 Depth=1
	s_or_b32 exec_lo, exec_lo, s22
	v_add_nc_u32_e32 v14, 8, v14
	s_delay_alu instid0(VALU_DEP_1) | instskip(SKIP_1) | instid1(SALU_CYCLE_1)
	v_cmp_le_i32_e32 vcc_lo, s0, v14
	s_or_b32 s21, vcc_lo, s21
	s_and_not1_b32 exec_lo, exec_lo, s21
	s_cbranch_execz .LBB64_26
.LBB64_13:                              ; =>This Loop Header: Depth=1
                                        ;     Child Loop BB64_17 Depth 2
                                        ;       Child Loop BB64_20 Depth 3
	global_load_b32 v2, v14, s[28:29] scale_offset
	s_mov_b32 s22, exec_lo
	s_wait_loadcnt 0x0
	v_subrev_nc_u32_e32 v2, s8, v2
	s_delay_alu instid0(VALU_DEP_1) | instskip(NEXT) | instid1(VALU_DEP_1)
	v_ashrrev_i32_e32 v3, 31, v2
	v_lshl_add_u64 v[2:3], v[2:3], 2, s[18:19]
	global_load_b64 v[2:3], v[2:3], off
	s_wait_loadcnt 0x0
	v_subrev_nc_u32_e32 v25, s9, v3
	v_add_nc_u32_e32 v26, v2, v24
	s_wait_xcnt 0x0
	s_delay_alu instid0(VALU_DEP_1)
	v_cmpx_lt_i32_e64 v26, v25
	s_cbranch_execz .LBB64_12
; %bb.14:                               ;   in Loop: Header=BB64_13 Depth=1
	v_ashrrev_i32_e32 v15, 31, v14
	s_mov_b32 s23, 0
	s_delay_alu instid0(VALU_DEP_1) | instskip(SKIP_4) | instid1(VALU_DEP_2)
	v_lshl_add_u64 v[2:3], v[14:15], 4, s[16:17]
	global_load_b128 v[2:5], v[2:3], off
	s_wait_loadcnt 0x0
	v_mul_f64_e64 v[16:17], v[4:5], -v[12:13]
	v_mul_f64_e32 v[18:19], v[10:11], v[4:5]
	v_fmac_f64_e32 v[16:17], v[10:11], v[2:3]
	s_delay_alu instid0(VALU_DEP_2)
	v_fmac_f64_e32 v[18:19], v[12:13], v[2:3]
	s_branch .LBB64_17
.LBB64_15:                              ;   in Loop: Header=BB64_17 Depth=2
	s_or_b32 exec_lo, exec_lo, s35
.LBB64_16:                              ;   in Loop: Header=BB64_17 Depth=2
	s_delay_alu instid0(SALU_CYCLE_1) | instskip(SKIP_3) | instid1(VALU_DEP_1)
	s_or_b32 exec_lo, exec_lo, s34
	s_wait_loadcnt 0x0
	v_mul_f64_e64 v[28:29], v[4:5], -v[18:19]
	v_dual_mul_f64 v[4:5], v[16:17], v[4:5] :: v_dual_add_nc_u32 v26, 32, v26
	v_cmp_ge_i32_e32 vcc_lo, v26, v25
	s_or_b32 s23, vcc_lo, s23
	s_delay_alu instid0(VALU_DEP_3) | instskip(NEXT) | instid1(VALU_DEP_3)
	v_fmac_f64_e32 v[28:29], v[16:17], v[2:3]
	v_fmac_f64_e32 v[4:5], v[18:19], v[2:3]
	v_lshl_add_u32 v2, v15, 4, 0
	ds_add_f64 v2, v[28:29] offset:2048
	ds_add_f64 v2, v[4:5] offset:2056
	s_and_not1_b32 exec_lo, exec_lo, s23
	s_cbranch_execz .LBB64_12
.LBB64_17:                              ;   Parent Loop BB64_13 Depth=1
                                        ; =>  This Loop Header: Depth=2
                                        ;       Child Loop BB64_20 Depth 3
	s_clause 0x1
	global_load_b32 v15, v26, s[12:13] scale_offset
	global_load_b128 v[2:5], v26, s[14:15] scale_offset
	s_mov_b32 s34, exec_lo
	s_wait_loadcnt 0x1
	v_subrev_nc_u32_e32 v27, s9, v15
	s_delay_alu instid0(VALU_DEP_1) | instskip(NEXT) | instid1(VALU_DEP_1)
	v_mul_lo_u32 v15, 0x89, v27
	v_and_b32_e32 v15, 0x1ff, v15
	s_delay_alu instid0(VALU_DEP_1)
	v_lshl_add_u32 v28, v15, 2, 0
	ds_load_b32 v29, v28
	s_wait_dscnt 0x0
	s_wait_xcnt 0x0
	v_cmpx_ne_u32_e64 v29, v27
	s_cbranch_execz .LBB64_16
; %bb.18:                               ;   in Loop: Header=BB64_17 Depth=2
	s_mov_b32 s35, 0
	s_branch .LBB64_20
.LBB64_19:                              ;   in Loop: Header=BB64_20 Depth=3
	s_or_b32 exec_lo, exec_lo, s38
	s_delay_alu instid0(SALU_CYCLE_1) | instskip(NEXT) | instid1(SALU_CYCLE_1)
	s_and_b32 s36, exec_lo, s37
	s_or_b32 s35, s36, s35
	s_delay_alu instid0(SALU_CYCLE_1)
	s_and_not1_b32 exec_lo, exec_lo, s35
	s_cbranch_execz .LBB64_15
.LBB64_20:                              ;   Parent Loop BB64_13 Depth=1
                                        ;     Parent Loop BB64_17 Depth=2
                                        ; =>    This Inner Loop Header: Depth=3
	s_mov_b32 s36, 0
	s_mov_b32 s37, exec_lo
	v_cmpx_ne_u32_e64 s33, v29
	s_xor_b32 s37, exec_lo, s37
	s_cbranch_execz .LBB64_22
; %bb.21:                               ;   in Loop: Header=BB64_20 Depth=3
	v_add_nc_u32_e32 v15, 1, v15
	s_mov_b32 s36, exec_lo
                                        ; implicit-def: $vgpr28
	s_delay_alu instid0(VALU_DEP_1)
	v_and_b32_e32 v15, 0x1ff, v15
	s_and_not1_saveexec_b32 s37, s37
	s_cbranch_execz .LBB64_24
	s_branch .LBB64_23
.LBB64_22:                              ;   in Loop: Header=BB64_20 Depth=3
	s_and_not1_saveexec_b32 s37, s37
	s_cbranch_execz .LBB64_24
.LBB64_23:                              ;   in Loop: Header=BB64_20 Depth=3
	v_mov_b32_e32 v29, s33
	s_and_not1_b32 s36, s36, exec_lo
	ds_cmpstore_rtn_b32 v28, v28, v27, v29
	s_wait_dscnt 0x0
	v_cmp_ne_u32_e32 vcc_lo, s33, v28
	s_and_b32 s38, vcc_lo, exec_lo
	s_delay_alu instid0(SALU_CYCLE_1)
	s_or_b32 s36, s36, s38
.LBB64_24:                              ;   in Loop: Header=BB64_20 Depth=3
	s_or_b32 exec_lo, exec_lo, s37
	s_mov_b32 s37, -1
                                        ; implicit-def: $vgpr28
                                        ; implicit-def: $vgpr29
	s_and_saveexec_b32 s38, s36
	s_cbranch_execz .LBB64_19
; %bb.25:                               ;   in Loop: Header=BB64_20 Depth=3
	v_lshl_add_u32 v28, v15, 2, 0
	ds_load_b32 v29, v28
	s_wait_dscnt 0x0
	v_cmp_eq_u32_e32 vcc_lo, v29, v27
	s_or_not1_b32 s37, vcc_lo, exec_lo
	s_branch .LBB64_19
.LBB64_26:
	s_or_b32 exec_lo, exec_lo, s1
.LBB64_27:
	s_delay_alu instid0(SALU_CYCLE_1)
	s_and_not1_b32 vcc_lo, exec_lo, s3
	s_cbranch_vccnz .LBB64_42
; %bb.28:
	s_wait_kmcnt 0x0
	s_ashr_i32 s21, s20, 31
	v_subrev_nc_u32_e32 v2, s11, v0
	s_lshl_b64 s[0:1], s[20:21], 2
	s_delay_alu instid0(SALU_CYCLE_1)
	s_add_nc_u64 s[0:1], s[30:31], s[0:1]
	s_load_b64 s[8:9], s[0:1], 0x0
	s_wait_xcnt 0x0
	s_mov_b32 s1, exec_lo
	s_wait_kmcnt 0x0
	v_add_nc_u32_e32 v10, s8, v2
	s_sub_co_i32 s0, s9, s11
	s_delay_alu instid0(VALU_DEP_1) | instid1(SALU_CYCLE_1)
	v_cmpx_gt_i32_e64 s0, v10
	s_cbranch_execz .LBB64_41
; %bb.29:
	s_mov_b32 s3, 0
	s_branch .LBB64_32
.LBB64_30:                              ;   in Loop: Header=BB64_32 Depth=1
	s_or_b32 exec_lo, exec_lo, s9
.LBB64_31:                              ;   in Loop: Header=BB64_32 Depth=1
	s_delay_alu instid0(SALU_CYCLE_1) | instskip(SKIP_4) | instid1(VALU_DEP_1)
	s_or_b32 exec_lo, exec_lo, s8
	s_wait_loadcnt 0x0
	v_mul_f64_e64 v[12:13], v[4:5], -v[6:7]
	v_mul_f64_e32 v[4:5], v[8:9], v[4:5]
	v_add_nc_u32_e32 v10, 0x100, v10
	v_cmp_le_i32_e32 vcc_lo, s0, v10
	s_or_b32 s3, vcc_lo, s3
	s_delay_alu instid0(VALU_DEP_4) | instskip(NEXT) | instid1(VALU_DEP_4)
	v_fmac_f64_e32 v[12:13], v[8:9], v[2:3]
	v_fmac_f64_e32 v[4:5], v[6:7], v[2:3]
	v_lshl_add_u32 v2, v11, 4, 0
	ds_add_f64 v2, v[12:13] offset:2048
	ds_add_f64 v2, v[4:5] offset:2056
	s_and_not1_b32 exec_lo, exec_lo, s3
	s_cbranch_execz .LBB64_41
.LBB64_32:                              ; =>This Loop Header: Depth=1
                                        ;     Child Loop BB64_35 Depth 2
	s_clause 0x1
	global_load_b32 v11, v10, s[4:5] scale_offset
	global_load_b128 v[2:5], v10, s[6:7] scale_offset
	s_mov_b32 s8, exec_lo
	s_wait_loadcnt 0x1
	v_subrev_nc_u32_e32 v12, s11, v11
	s_delay_alu instid0(VALU_DEP_1) | instskip(NEXT) | instid1(VALU_DEP_1)
	v_mul_lo_u32 v11, 0x89, v12
	v_and_b32_e32 v11, 0x1ff, v11
	s_delay_alu instid0(VALU_DEP_1)
	v_lshl_add_u32 v13, v11, 2, 0
	ds_load_b32 v14, v13
	s_wait_dscnt 0x0
	s_wait_xcnt 0x0
	v_cmpx_ne_u32_e64 v14, v12
	s_cbranch_execz .LBB64_31
; %bb.33:                               ;   in Loop: Header=BB64_32 Depth=1
	s_mov_b32 s9, 0
	s_branch .LBB64_35
.LBB64_34:                              ;   in Loop: Header=BB64_35 Depth=2
	s_or_b32 exec_lo, exec_lo, s14
	s_delay_alu instid0(SALU_CYCLE_1) | instskip(NEXT) | instid1(SALU_CYCLE_1)
	s_and_b32 s12, exec_lo, s13
	s_or_b32 s9, s12, s9
	s_delay_alu instid0(SALU_CYCLE_1)
	s_and_not1_b32 exec_lo, exec_lo, s9
	s_cbranch_execz .LBB64_30
.LBB64_35:                              ;   Parent Loop BB64_32 Depth=1
                                        ; =>  This Inner Loop Header: Depth=2
	s_mov_b32 s12, 0
	s_mov_b32 s13, exec_lo
	v_cmpx_ne_u32_e64 s33, v14
	s_xor_b32 s13, exec_lo, s13
	s_cbranch_execz .LBB64_37
; %bb.36:                               ;   in Loop: Header=BB64_35 Depth=2
	v_add_nc_u32_e32 v11, 1, v11
	s_mov_b32 s12, exec_lo
                                        ; implicit-def: $vgpr13
	s_delay_alu instid0(VALU_DEP_1)
	v_and_b32_e32 v11, 0x1ff, v11
	s_and_not1_saveexec_b32 s13, s13
	s_cbranch_execz .LBB64_39
	s_branch .LBB64_38
.LBB64_37:                              ;   in Loop: Header=BB64_35 Depth=2
	s_and_not1_saveexec_b32 s13, s13
	s_cbranch_execz .LBB64_39
.LBB64_38:                              ;   in Loop: Header=BB64_35 Depth=2
	v_mov_b32_e32 v14, s33
	s_and_not1_b32 s12, s12, exec_lo
	ds_cmpstore_rtn_b32 v13, v13, v12, v14
	s_wait_dscnt 0x0
	v_cmp_ne_u32_e32 vcc_lo, s33, v13
	s_and_b32 s14, vcc_lo, exec_lo
	s_delay_alu instid0(SALU_CYCLE_1)
	s_or_b32 s12, s12, s14
.LBB64_39:                              ;   in Loop: Header=BB64_35 Depth=2
	s_or_b32 exec_lo, exec_lo, s13
	s_mov_b32 s13, -1
                                        ; implicit-def: $vgpr13
                                        ; implicit-def: $vgpr14
	s_and_saveexec_b32 s14, s12
	s_cbranch_execz .LBB64_34
; %bb.40:                               ;   in Loop: Header=BB64_35 Depth=2
	v_lshl_add_u32 v13, v11, 2, 0
	ds_load_b32 v14, v13
	s_wait_dscnt 0x0
	v_cmp_eq_u32_e32 vcc_lo, v14, v12
	s_or_not1_b32 s13, vcc_lo, exec_lo
	s_branch .LBB64_34
.LBB64_41:
	s_or_b32 exec_lo, exec_lo, s1
.LBB64_42:
	s_wait_dscnt 0x0
	s_barrier_signal -1
	s_barrier_wait -1
	s_and_saveexec_b32 s8, s2
	s_cbranch_execz .LBB64_63
; %bb.43:
	v_dual_mov_b32 v3, 0 :: v_dual_bitop2_b32 v2, 31, v21 bitop3:0x14
	v_lshl_add_u32 v4, v23, 2, 0
	s_wait_xcnt 0x0
	v_cmp_lt_u32_e64 s0, 31, v0
	v_cmp_lt_u32_e64 s1, 63, v0
	v_lshrrev_b32_e64 v2, v2, -1
	v_cmp_lt_u32_e64 s2, 0x5f, v0
	v_cmp_lt_u32_e64 s3, 0x7f, v0
	v_cmp_lt_u32_e64 s4, 0x9f, v0
	v_cmp_lt_u32_e64 s5, 0xbf, v0
	v_cmp_lt_u32_e64 s6, 0xdf, v0
	v_add3_u32 v5, v22, 0, 0x800
	v_mov_b32_e32 v6, 0
	s_mov_b32 s9, 0
	v_cmp_eq_u32_e32 vcc_lo, 0xff, v0
	s_branch .LBB64_45
.LBB64_44:                              ;   in Loop: Header=BB64_45 Depth=1
	s_or_b32 exec_lo, exec_lo, s7
	s_wait_dscnt 0x0
	s_barrier_signal -1
	s_barrier_wait -1
	ds_load_b32 v7, v3 offset:10268
	v_add_co_u32 v1, s7, 0x100, v1
	s_xor_b32 s7, s7, -1
	v_add_nc_u32_e32 v5, 0x1000, v5
	v_add_nc_u32_e32 v20, 0x400, v20
	s_and_b32 s7, exec_lo, s7
	s_delay_alu instid0(SALU_CYCLE_1)
	s_or_b32 s9, s7, s9
	s_wait_dscnt 0x0
	v_add_nc_u32_e32 v6, v7, v6
	s_and_not1_b32 exec_lo, exec_lo, s9
	s_cbranch_execz .LBB64_63
.LBB64_45:                              ; =>This Inner Loop Header: Depth=1
	ds_load_b32 v7, v20
	ds_load_2addr_b64 v[8:11], v5 offset1:1
	s_wait_dscnt 0x1
	v_cmp_gt_i32_e64 s7, s33, v7
	s_wait_dscnt 0x0
	scratch_store_b128 off, v[8:11], off
	s_wait_storecnt 0x0
	s_barrier_signal -1
	s_barrier_wait -1
	s_bcnt1_i32_b32 s11, s7
	s_wait_xcnt 0x0
	v_dual_mov_b32 v9, s11 :: v_dual_bitop2_b32 v8, s7, v2 bitop3:0x40
	s_delay_alu instid0(VALU_DEP_1)
	v_bcnt_u32_b32 v8, v8, 0
	ds_store_b32 v4, v9 offset:10240
	s_wait_dscnt 0x0
	s_barrier_signal -1
	s_barrier_wait -1
	s_and_saveexec_b32 s11, s0
	s_cbranch_execz .LBB64_54
; %bb.46:                               ;   in Loop: Header=BB64_45 Depth=1
	ds_load_b32 v9, v3 offset:10240
	s_wait_dscnt 0x0
	v_add_nc_u32_e32 v8, v9, v8
	s_or_b32 exec_lo, exec_lo, s11
	s_and_saveexec_b32 s11, s1
	s_cbranch_execnz .LBB64_55
.LBB64_47:                              ;   in Loop: Header=BB64_45 Depth=1
	s_or_b32 exec_lo, exec_lo, s11
	s_and_saveexec_b32 s11, s2
	s_cbranch_execz .LBB64_56
.LBB64_48:                              ;   in Loop: Header=BB64_45 Depth=1
	ds_load_b32 v9, v3 offset:10248
	s_wait_dscnt 0x0
	v_add_nc_u32_e32 v8, v9, v8
	s_or_b32 exec_lo, exec_lo, s11
	s_and_saveexec_b32 s11, s3
	s_cbranch_execnz .LBB64_57
.LBB64_49:                              ;   in Loop: Header=BB64_45 Depth=1
	s_or_b32 exec_lo, exec_lo, s11
	s_and_saveexec_b32 s11, s4
	s_cbranch_execz .LBB64_58
.LBB64_50:                              ;   in Loop: Header=BB64_45 Depth=1
	ds_load_b32 v9, v3 offset:10256
	s_wait_dscnt 0x0
	v_add_nc_u32_e32 v8, v9, v8
	s_or_b32 exec_lo, exec_lo, s11
	s_and_saveexec_b32 s11, s5
	s_cbranch_execnz .LBB64_59
.LBB64_51:                              ;   in Loop: Header=BB64_45 Depth=1
	s_or_b32 exec_lo, exec_lo, s11
	s_and_saveexec_b32 s11, s6
	s_cbranch_execz .LBB64_60
.LBB64_52:                              ;   in Loop: Header=BB64_45 Depth=1
	ds_load_b32 v9, v3 offset:10264
	s_wait_dscnt 0x0
	v_add_nc_u32_e32 v8, v9, v8
	s_or_b32 exec_lo, exec_lo, s11
	s_and_saveexec_b32 s11, s7
	s_cbranch_execnz .LBB64_61
.LBB64_53:                              ;   in Loop: Header=BB64_45 Depth=1
	s_or_b32 exec_lo, exec_lo, s11
	s_and_saveexec_b32 s7, vcc_lo
	s_cbranch_execz .LBB64_44
	s_branch .LBB64_62
.LBB64_54:                              ;   in Loop: Header=BB64_45 Depth=1
	s_or_b32 exec_lo, exec_lo, s11
	s_and_saveexec_b32 s11, s1
	s_cbranch_execz .LBB64_47
.LBB64_55:                              ;   in Loop: Header=BB64_45 Depth=1
	ds_load_b32 v9, v3 offset:10244
	s_wait_dscnt 0x0
	v_add_nc_u32_e32 v8, v9, v8
	s_or_b32 exec_lo, exec_lo, s11
	s_and_saveexec_b32 s11, s2
	s_cbranch_execnz .LBB64_48
.LBB64_56:                              ;   in Loop: Header=BB64_45 Depth=1
	s_or_b32 exec_lo, exec_lo, s11
	s_and_saveexec_b32 s11, s3
	s_cbranch_execz .LBB64_49
.LBB64_57:                              ;   in Loop: Header=BB64_45 Depth=1
	ds_load_b32 v9, v3 offset:10252
	s_wait_dscnt 0x0
	v_add_nc_u32_e32 v8, v9, v8
	s_or_b32 exec_lo, exec_lo, s11
	s_and_saveexec_b32 s11, s4
	s_cbranch_execnz .LBB64_50
.LBB64_58:                              ;   in Loop: Header=BB64_45 Depth=1
	s_or_b32 exec_lo, exec_lo, s11
	s_and_saveexec_b32 s11, s5
	s_cbranch_execz .LBB64_51
.LBB64_59:                              ;   in Loop: Header=BB64_45 Depth=1
	ds_load_b32 v9, v3 offset:10260
	s_wait_dscnt 0x0
	v_add_nc_u32_e32 v8, v9, v8
	s_or_b32 exec_lo, exec_lo, s11
	s_and_saveexec_b32 s11, s6
	s_cbranch_execnz .LBB64_52
.LBB64_60:                              ;   in Loop: Header=BB64_45 Depth=1
	s_or_b32 exec_lo, exec_lo, s11
	s_and_saveexec_b32 s11, s7
	s_cbranch_execz .LBB64_53
.LBB64_61:                              ;   in Loop: Header=BB64_45 Depth=1
	scratch_load_b128 v[10:13], off, off
	v_add3_u32 v9, v6, -1, v8
	v_add_nc_u32_e32 v14, v6, v8
	s_delay_alu instid0(VALU_DEP_2) | instskip(NEXT) | instid1(VALU_DEP_2)
	v_lshl_add_u32 v9, v9, 2, 0
	v_lshl_add_u32 v14, v14, 4, 0
	ds_store_b32 v9, v7
	s_wait_loadcnt 0x0
	ds_store_2addr_b64 v14, v[10:11], v[12:13] offset0:254 offset1:255
	s_or_b32 exec_lo, exec_lo, s11
	s_and_saveexec_b32 s7, vcc_lo
	s_cbranch_execz .LBB64_44
.LBB64_62:                              ;   in Loop: Header=BB64_45 Depth=1
	ds_store_b32 v3, v8 offset:10268
	s_branch .LBB64_44
.LBB64_63:
	s_or_b32 exec_lo, exec_lo, s8
	s_wait_kmcnt 0x0
	s_ashr_i32 s21, s20, 31
	s_delay_alu instid0(SALU_CYCLE_1) | instskip(NEXT) | instid1(SALU_CYCLE_1)
	s_lshl_b64 s[0:1], s[20:21], 2
	s_add_nc_u64 s[2:3], s[26:27], s[0:1]
	s_load_b64 s[0:1], s[2:3], 0x0
	s_wait_kmcnt 0x0
	s_sub_co_i32 s4, s1, s0
	s_mov_b32 s1, exec_lo
	v_cmpx_gt_i32_e64 s4, v0
	s_cbranch_execz .LBB64_77
; %bb.64:
	v_sub_co_u32 v1, s1, s4, 2
	s_sub_co_i32 s2, s0, s10
	s_xor_b32 s6, s1, -1
	s_and_b32 s5, s4, -2
	v_readfirstlane_b32 s3, v1
	s_lshr_b32 s0, s3, 1
	s_mov_b32 s3, 0
	s_add_co_i32 s0, s0, 1
	s_mov_b32 s11, s3
	s_and_b32 s1, s0, 7
	s_and_b32 s7, s0, -8
	s_cmp_lg_u32 s1, 0
	v_cmp_lt_u32_e64 s0, 13, v1
	s_cselect_b32 s8, -1, 0
	s_cmp_lg_u32 s4, s5
	s_cselect_b32 s9, -1, 0
	s_lshl_b32 s10, s1, 3
	s_branch .LBB64_66
.LBB64_65:                              ;   in Loop: Header=BB64_66 Depth=1
	v_mul_lo_u32 v3, v0, 12
	v_add_nc_u32_e32 v0, 0x100, v0
	s_delay_alu instid0(VALU_DEP_1) | instskip(SKIP_1) | instid1(VALU_DEP_3)
	v_cmp_le_i32_e32 vcc_lo, s4, v0
	s_or_b32 s11, vcc_lo, s11
	v_add3_u32 v1, v1, v3, 0x800
	s_wait_dscnt 0x0
	ds_load_2addr_b64 v[4:7], v1 offset1:1
	s_wait_dscnt 0x0
	global_store_b128 v2, v[4:7], s[24:25] scale_offset
	s_wait_xcnt 0x0
	s_and_not1_b32 exec_lo, exec_lo, s11
	s_cbranch_execz .LBB64_77
.LBB64_66:                              ; =>This Loop Header: Depth=1
                                        ;     Child Loop BB64_69 Depth 2
                                        ;     Child Loop BB64_72 Depth 2
	;; [unrolled: 1-line block ×3, first 2 shown]
	v_lshl_add_u32 v1, v0, 2, 0
	v_mov_b32_e32 v2, s2
	s_and_not1_b32 vcc_lo, exec_lo, s6
	s_mov_b32 s1, 0
	s_mov_b32 s12, -1
	ds_load_b32 v4, v1
	s_cbranch_vccnz .LBB64_74
; %bb.67:                               ;   in Loop: Header=BB64_66 Depth=1
	v_mov_b64_e32 v[2:3], s[2:3]
	s_and_not1_b32 vcc_lo, exec_lo, s0
	s_mov_b32 s12, 0
	s_cbranch_vccnz .LBB64_70
; %bb.68:                               ;   in Loop: Header=BB64_66 Depth=1
	v_dual_mov_b32 v2, s2 :: v_dual_mov_b32 v3, 0
	s_mov_b32 s13, 0
	s_mov_b32 s14, s7
.LBB64_69:                              ;   Parent Loop BB64_66 Depth=1
                                        ; =>  This Inner Loop Header: Depth=2
	v_mov_b32_e32 v5, s13
	s_add_co_i32 s14, s14, -8
	s_add_co_i32 s12, s12, 16
	s_add_co_i32 s13, s13, 64
	s_cmp_lg_u32 s14, 0
	ds_load_2addr_b32 v[6:7], v5 offset1:1
	ds_load_2addr_b32 v[8:9], v5 offset0:2 offset1:3
	ds_load_2addr_b32 v[10:11], v5 offset0:4 offset1:5
	;; [unrolled: 1-line block ×7, first 2 shown]
	s_wait_dscnt 0x7
	v_cmp_gt_i32_e32 vcc_lo, v4, v7
	s_wait_dscnt 0x5
	v_cmp_gt_i32_e64 s1, v4, v10
	v_cndmask_b32_e64 v5, 0, 1, vcc_lo
	v_cmp_gt_i32_e32 vcc_lo, v4, v6
	s_delay_alu instid0(VALU_DEP_3) | instskip(SKIP_3) | instid1(VALU_DEP_3)
	v_cndmask_b32_e64 v7, 0, 1, s1
	v_cmp_gt_i32_e64 s1, v4, v11
	v_cndmask_b32_e64 v6, 0, 1, vcc_lo
	v_cmp_gt_i32_e32 vcc_lo, v4, v8
	v_cndmask_b32_e64 v8, 0, 1, s1
	s_wait_dscnt 0x4
	v_cmp_gt_i32_e64 s1, v4, v13
	v_add_co_ci_u32_e64 v2, null, v2, v6, vcc_lo
	s_delay_alu instid0(VALU_DEP_2) | instskip(SKIP_3) | instid1(VALU_DEP_2)
	v_cndmask_b32_e64 v10, 0, 1, s1
	v_cmp_gt_i32_e64 s1, v4, v12
	s_wait_dscnt 0x2
	v_cmp_gt_i32_e32 vcc_lo, v4, v16
	v_cndmask_b32_e64 v11, 0, 1, s1
	v_cmp_gt_i32_e64 s1, v4, v14
	v_add_co_ci_u32_e64 v2, null, v2, v7, vcc_lo
	s_wait_dscnt 0x1
	v_cmp_gt_i32_e32 vcc_lo, v4, v18
	s_delay_alu instid0(VALU_DEP_3) | instskip(SKIP_4) | instid1(VALU_DEP_3)
	v_cndmask_b32_e64 v12, 0, 1, s1
	v_cmp_gt_i32_e64 s1, v4, v15
	v_add_co_ci_u32_e64 v2, null, v2, v11, vcc_lo
	s_wait_dscnt 0x0
	v_cmp_gt_i32_e32 vcc_lo, v4, v20
	v_cndmask_b32_e64 v13, 0, 1, s1
	v_cmp_gt_i32_e64 s1, v4, v9
	v_add_co_ci_u32_e64 v2, null, v2, v12, vcc_lo
	s_delay_alu instid0(VALU_DEP_2) | instskip(SKIP_1) | instid1(VALU_DEP_1)
	v_add_co_ci_u32_e64 v3, null, v3, v5, s1
	v_cmp_gt_i32_e64 s1, v4, v17
	v_add_co_ci_u32_e64 v3, null, v3, v8, s1
	v_cmp_gt_i32_e64 s1, v4, v19
	s_delay_alu instid0(VALU_DEP_1) | instskip(SKIP_1) | instid1(VALU_DEP_1)
	v_add_co_ci_u32_e64 v3, null, v3, v10, s1
	v_cmp_gt_i32_e64 s1, v4, v21
	v_add_co_ci_u32_e64 v3, null, v3, v13, s1
	s_cbranch_scc1 .LBB64_69
.LBB64_70:                              ;   in Loop: Header=BB64_66 Depth=1
	s_and_not1_b32 vcc_lo, exec_lo, s8
	s_cbranch_vccnz .LBB64_73
; %bb.71:                               ;   in Loop: Header=BB64_66 Depth=1
	s_lshl_b32 s1, s12, 2
	s_mov_b32 s12, s10
	s_add_co_i32 s1, s1, 0
.LBB64_72:                              ;   Parent Loop BB64_66 Depth=1
                                        ; =>  This Inner Loop Header: Depth=2
	s_delay_alu instid0(SALU_CYCLE_1)
	v_mov_b32_e32 v5, s1
	s_add_co_i32 s12, s12, -8
	s_add_co_i32 s1, s1, 8
	s_cmp_lg_u32 s12, 0
	ds_load_2addr_b32 v[6:7], v5 offset1:1
	s_wait_dscnt 0x0
	v_cmp_gt_i32_e32 vcc_lo, v4, v7
	v_add_co_ci_u32_e64 v3, null, 0, v3, vcc_lo
	v_cmp_gt_i32_e32 vcc_lo, v4, v6
	v_add_co_ci_u32_e64 v2, null, 0, v2, vcc_lo
	s_cbranch_scc1 .LBB64_72
.LBB64_73:                              ;   in Loop: Header=BB64_66 Depth=1
	s_delay_alu instid0(VALU_DEP_1)
	v_add_nc_u32_e32 v2, v2, v3
	s_mov_b32 s1, s5
	s_mov_b32 s12, s9
.LBB64_74:                              ;   in Loop: Header=BB64_66 Depth=1
	s_delay_alu instid0(SALU_CYCLE_1)
	s_and_b32 vcc_lo, exec_lo, s12
	s_cbranch_vccz .LBB64_65
; %bb.75:                               ;   in Loop: Header=BB64_66 Depth=1
	s_lshl_b32 s12, s1, 2
	s_delay_alu instid0(SALU_CYCLE_1)
	s_add_co_i32 s12, s12, 0
.LBB64_76:                              ;   Parent Loop BB64_66 Depth=1
                                        ; =>  This Inner Loop Header: Depth=2
	s_delay_alu instid0(SALU_CYCLE_1)
	v_mov_b32_e32 v3, s12
	s_add_co_i32 s1, s1, 1
	s_add_co_i32 s12, s12, 4
	s_cmp_ge_i32 s1, s4
	ds_load_b32 v3, v3
	s_wait_dscnt 0x0
	v_cmp_gt_i32_e32 vcc_lo, v4, v3
	v_add_co_ci_u32_e64 v2, null, 0, v2, vcc_lo
	s_cbranch_scc0 .LBB64_76
	s_branch .LBB64_65
.LBB64_77:
	s_endpgm
	.section	.rodata,"a",@progbits
	.p2align	6, 0x0
	.amdhsa_kernel _ZN9rocsparseL41csrgemm_numeric_fill_block_per_row_kernelILj256ELj32ELj512ELj137ELj32Eii21rocsparse_complex_numIdEEEvT5_PKS3_S5_NS_24const_host_device_scalarIT6_EEPKT4_S5_PKS7_SB_S5_SD_S8_SB_S5_SD_SB_S5_PS7_21rocsparse_index_base_SF_SF_SF_bbb
		.amdhsa_group_segment_fixed_size 0
		.amdhsa_private_segment_fixed_size 40
		.amdhsa_kernarg_size 172
		.amdhsa_user_sgpr_count 2
		.amdhsa_user_sgpr_dispatch_ptr 0
		.amdhsa_user_sgpr_queue_ptr 0
		.amdhsa_user_sgpr_kernarg_segment_ptr 1
		.amdhsa_user_sgpr_dispatch_id 0
		.amdhsa_user_sgpr_kernarg_preload_length 0
		.amdhsa_user_sgpr_kernarg_preload_offset 0
		.amdhsa_user_sgpr_private_segment_size 0
		.amdhsa_wavefront_size32 1
		.amdhsa_uses_dynamic_stack 0
		.amdhsa_enable_private_segment 1
		.amdhsa_system_sgpr_workgroup_id_x 1
		.amdhsa_system_sgpr_workgroup_id_y 0
		.amdhsa_system_sgpr_workgroup_id_z 0
		.amdhsa_system_sgpr_workgroup_info 0
		.amdhsa_system_vgpr_workitem_id 0
		.amdhsa_next_free_vgpr 30
		.amdhsa_next_free_sgpr 39
		.amdhsa_named_barrier_count 0
		.amdhsa_reserve_vcc 1
		.amdhsa_float_round_mode_32 0
		.amdhsa_float_round_mode_16_64 0
		.amdhsa_float_denorm_mode_32 3
		.amdhsa_float_denorm_mode_16_64 3
		.amdhsa_fp16_overflow 0
		.amdhsa_memory_ordered 1
		.amdhsa_forward_progress 1
		.amdhsa_inst_pref_size 27
		.amdhsa_round_robin_scheduling 0
		.amdhsa_exception_fp_ieee_invalid_op 0
		.amdhsa_exception_fp_denorm_src 0
		.amdhsa_exception_fp_ieee_div_zero 0
		.amdhsa_exception_fp_ieee_overflow 0
		.amdhsa_exception_fp_ieee_underflow 0
		.amdhsa_exception_fp_ieee_inexact 0
		.amdhsa_exception_int_div_zero 0
	.end_amdhsa_kernel
	.section	.text._ZN9rocsparseL41csrgemm_numeric_fill_block_per_row_kernelILj256ELj32ELj512ELj137ELj32Eii21rocsparse_complex_numIdEEEvT5_PKS3_S5_NS_24const_host_device_scalarIT6_EEPKT4_S5_PKS7_SB_S5_SD_S8_SB_S5_SD_SB_S5_PS7_21rocsparse_index_base_SF_SF_SF_bbb,"axG",@progbits,_ZN9rocsparseL41csrgemm_numeric_fill_block_per_row_kernelILj256ELj32ELj512ELj137ELj32Eii21rocsparse_complex_numIdEEEvT5_PKS3_S5_NS_24const_host_device_scalarIT6_EEPKT4_S5_PKS7_SB_S5_SD_S8_SB_S5_SD_SB_S5_PS7_21rocsparse_index_base_SF_SF_SF_bbb,comdat
.Lfunc_end64:
	.size	_ZN9rocsparseL41csrgemm_numeric_fill_block_per_row_kernelILj256ELj32ELj512ELj137ELj32Eii21rocsparse_complex_numIdEEEvT5_PKS3_S5_NS_24const_host_device_scalarIT6_EEPKT4_S5_PKS7_SB_S5_SD_S8_SB_S5_SD_SB_S5_PS7_21rocsparse_index_base_SF_SF_SF_bbb, .Lfunc_end64-_ZN9rocsparseL41csrgemm_numeric_fill_block_per_row_kernelILj256ELj32ELj512ELj137ELj32Eii21rocsparse_complex_numIdEEEvT5_PKS3_S5_NS_24const_host_device_scalarIT6_EEPKT4_S5_PKS7_SB_S5_SD_S8_SB_S5_SD_SB_S5_PS7_21rocsparse_index_base_SF_SF_SF_bbb
                                        ; -- End function
	.set _ZN9rocsparseL41csrgemm_numeric_fill_block_per_row_kernelILj256ELj32ELj512ELj137ELj32Eii21rocsparse_complex_numIdEEEvT5_PKS3_S5_NS_24const_host_device_scalarIT6_EEPKT4_S5_PKS7_SB_S5_SD_S8_SB_S5_SD_SB_S5_PS7_21rocsparse_index_base_SF_SF_SF_bbb.num_vgpr, 30
	.set _ZN9rocsparseL41csrgemm_numeric_fill_block_per_row_kernelILj256ELj32ELj512ELj137ELj32Eii21rocsparse_complex_numIdEEEvT5_PKS3_S5_NS_24const_host_device_scalarIT6_EEPKT4_S5_PKS7_SB_S5_SD_S8_SB_S5_SD_SB_S5_PS7_21rocsparse_index_base_SF_SF_SF_bbb.num_agpr, 0
	.set _ZN9rocsparseL41csrgemm_numeric_fill_block_per_row_kernelILj256ELj32ELj512ELj137ELj32Eii21rocsparse_complex_numIdEEEvT5_PKS3_S5_NS_24const_host_device_scalarIT6_EEPKT4_S5_PKS7_SB_S5_SD_S8_SB_S5_SD_SB_S5_PS7_21rocsparse_index_base_SF_SF_SF_bbb.numbered_sgpr, 39
	.set _ZN9rocsparseL41csrgemm_numeric_fill_block_per_row_kernelILj256ELj32ELj512ELj137ELj32Eii21rocsparse_complex_numIdEEEvT5_PKS3_S5_NS_24const_host_device_scalarIT6_EEPKT4_S5_PKS7_SB_S5_SD_S8_SB_S5_SD_SB_S5_PS7_21rocsparse_index_base_SF_SF_SF_bbb.num_named_barrier, 0
	.set _ZN9rocsparseL41csrgemm_numeric_fill_block_per_row_kernelILj256ELj32ELj512ELj137ELj32Eii21rocsparse_complex_numIdEEEvT5_PKS3_S5_NS_24const_host_device_scalarIT6_EEPKT4_S5_PKS7_SB_S5_SD_S8_SB_S5_SD_SB_S5_PS7_21rocsparse_index_base_SF_SF_SF_bbb.private_seg_size, 40
	.set _ZN9rocsparseL41csrgemm_numeric_fill_block_per_row_kernelILj256ELj32ELj512ELj137ELj32Eii21rocsparse_complex_numIdEEEvT5_PKS3_S5_NS_24const_host_device_scalarIT6_EEPKT4_S5_PKS7_SB_S5_SD_S8_SB_S5_SD_SB_S5_PS7_21rocsparse_index_base_SF_SF_SF_bbb.uses_vcc, 1
	.set _ZN9rocsparseL41csrgemm_numeric_fill_block_per_row_kernelILj256ELj32ELj512ELj137ELj32Eii21rocsparse_complex_numIdEEEvT5_PKS3_S5_NS_24const_host_device_scalarIT6_EEPKT4_S5_PKS7_SB_S5_SD_S8_SB_S5_SD_SB_S5_PS7_21rocsparse_index_base_SF_SF_SF_bbb.uses_flat_scratch, 1
	.set _ZN9rocsparseL41csrgemm_numeric_fill_block_per_row_kernelILj256ELj32ELj512ELj137ELj32Eii21rocsparse_complex_numIdEEEvT5_PKS3_S5_NS_24const_host_device_scalarIT6_EEPKT4_S5_PKS7_SB_S5_SD_S8_SB_S5_SD_SB_S5_PS7_21rocsparse_index_base_SF_SF_SF_bbb.has_dyn_sized_stack, 0
	.set _ZN9rocsparseL41csrgemm_numeric_fill_block_per_row_kernelILj256ELj32ELj512ELj137ELj32Eii21rocsparse_complex_numIdEEEvT5_PKS3_S5_NS_24const_host_device_scalarIT6_EEPKT4_S5_PKS7_SB_S5_SD_S8_SB_S5_SD_SB_S5_PS7_21rocsparse_index_base_SF_SF_SF_bbb.has_recursion, 0
	.set _ZN9rocsparseL41csrgemm_numeric_fill_block_per_row_kernelILj256ELj32ELj512ELj137ELj32Eii21rocsparse_complex_numIdEEEvT5_PKS3_S5_NS_24const_host_device_scalarIT6_EEPKT4_S5_PKS7_SB_S5_SD_S8_SB_S5_SD_SB_S5_PS7_21rocsparse_index_base_SF_SF_SF_bbb.has_indirect_call, 0
	.section	.AMDGPU.csdata,"",@progbits
; Kernel info:
; codeLenInByte = 3372
; TotalNumSgprs: 41
; NumVgprs: 30
; ScratchSize: 40
; MemoryBound: 0
; FloatMode: 240
; IeeeMode: 1
; LDSByteSize: 0 bytes/workgroup (compile time only)
; SGPRBlocks: 0
; VGPRBlocks: 1
; NumSGPRsForWavesPerEU: 41
; NumVGPRsForWavesPerEU: 30
; NamedBarCnt: 0
; Occupancy: 16
; WaveLimiterHint : 1
; COMPUTE_PGM_RSRC2:SCRATCH_EN: 1
; COMPUTE_PGM_RSRC2:USER_SGPR: 2
; COMPUTE_PGM_RSRC2:TRAP_HANDLER: 0
; COMPUTE_PGM_RSRC2:TGID_X_EN: 1
; COMPUTE_PGM_RSRC2:TGID_Y_EN: 0
; COMPUTE_PGM_RSRC2:TGID_Z_EN: 0
; COMPUTE_PGM_RSRC2:TIDIG_COMP_CNT: 0
	.section	.text._ZN9rocsparseL41csrgemm_numeric_fill_block_per_row_kernelILj256ELj32ELj512ELj137ELj64Eii21rocsparse_complex_numIdEEEvT5_PKS3_S5_NS_24const_host_device_scalarIT6_EEPKT4_S5_PKS7_SB_S5_SD_S8_SB_S5_SD_SB_S5_PS7_21rocsparse_index_base_SF_SF_SF_bbb,"axG",@progbits,_ZN9rocsparseL41csrgemm_numeric_fill_block_per_row_kernelILj256ELj32ELj512ELj137ELj64Eii21rocsparse_complex_numIdEEEvT5_PKS3_S5_NS_24const_host_device_scalarIT6_EEPKT4_S5_PKS7_SB_S5_SD_S8_SB_S5_SD_SB_S5_PS7_21rocsparse_index_base_SF_SF_SF_bbb,comdat
	.globl	_ZN9rocsparseL41csrgemm_numeric_fill_block_per_row_kernelILj256ELj32ELj512ELj137ELj64Eii21rocsparse_complex_numIdEEEvT5_PKS3_S5_NS_24const_host_device_scalarIT6_EEPKT4_S5_PKS7_SB_S5_SD_S8_SB_S5_SD_SB_S5_PS7_21rocsparse_index_base_SF_SF_SF_bbb ; -- Begin function _ZN9rocsparseL41csrgemm_numeric_fill_block_per_row_kernelILj256ELj32ELj512ELj137ELj64Eii21rocsparse_complex_numIdEEEvT5_PKS3_S5_NS_24const_host_device_scalarIT6_EEPKT4_S5_PKS7_SB_S5_SD_S8_SB_S5_SD_SB_S5_PS7_21rocsparse_index_base_SF_SF_SF_bbb
	.p2align	8
	.type	_ZN9rocsparseL41csrgemm_numeric_fill_block_per_row_kernelILj256ELj32ELj512ELj137ELj64Eii21rocsparse_complex_numIdEEEvT5_PKS3_S5_NS_24const_host_device_scalarIT6_EEPKT4_S5_PKS7_SB_S5_SD_S8_SB_S5_SD_SB_S5_PS7_21rocsparse_index_base_SF_SF_SF_bbb,@function
_ZN9rocsparseL41csrgemm_numeric_fill_block_per_row_kernelILj256ELj32ELj512ELj137ELj64Eii21rocsparse_complex_numIdEEEvT5_PKS3_S5_NS_24const_host_device_scalarIT6_EEPKT4_S5_PKS7_SB_S5_SD_S8_SB_S5_SD_SB_S5_PS7_21rocsparse_index_base_SF_SF_SF_bbb: ; @_ZN9rocsparseL41csrgemm_numeric_fill_block_per_row_kernelILj256ELj32ELj512ELj137ELj64Eii21rocsparse_complex_numIdEEEvT5_PKS3_S5_NS_24const_host_device_scalarIT6_EEPKT4_S5_PKS7_SB_S5_SD_S8_SB_S5_SD_SB_S5_PS7_21rocsparse_index_base_SF_SF_SF_bbb
; %bb.0:
	s_clause 0x2
	s_load_b32 s13, s[0:1], 0xa8
	s_load_b128 s[4:7], s[0:1], 0x18
	s_load_b128 s[8:11], s[0:1], 0x58
	v_mov_b64_e32 v[6:7], 0
	v_mov_b64_e32 v[10:11], 0
	;; [unrolled: 1-line block ×3, first 2 shown]
	v_mbcnt_lo_u32_b32 v21, -1, 0
	s_wait_kmcnt 0x0
	s_bitcmp1_b32 s13, 0
	v_mov_b64_e32 v[2:3], s[4:5]
	s_cselect_b32 s36, -1, 0
	s_bitcmp1_b32 s13, 16
	v_mov_b64_e32 v[4:5], s[8:9]
	s_cselect_b32 s2, -1, 0
	s_clause 0x1
	scratch_store_b64 off, v[2:3], off offset:16
	scratch_store_b64 off, v[4:5], off offset:24
	s_xor_b32 s12, s2, -1
	s_bitcmp0_b32 s13, 0
	v_cndmask_b32_e64 v1, 0, 1, s12
	s_delay_alu instid0(VALU_DEP_1)
	v_cmp_ne_u32_e32 vcc_lo, 1, v1
	s_cbranch_scc1 .LBB65_3
; %bb.1:
	s_wait_xcnt 0x1
	v_dual_mov_b32 v2, 16 :: v_dual_lshlrev_b32 v3, 20, v21
	v_mov_b64_e32 v[12:13], s[6:7]
	s_and_b32 vcc_lo, exec_lo, vcc_lo
	s_delay_alu instid0(VALU_DEP_2) | instskip(NEXT) | instid1(VALU_DEP_1)
	v_add_nc_u64_e32 v[2:3], src_flat_scratch_base_lo, v[2:3]
	v_cndmask_b32_e64 v3, s5, v3, s2
	s_delay_alu instid0(VALU_DEP_2)
	v_cndmask_b32_e64 v2, s4, v2, s2
	flat_load_b64 v[10:11], v[2:3]
	s_cbranch_vccnz .LBB65_3
; %bb.2:
	v_mov_b32_e32 v1, 0
	flat_load_b64 v[12:13], v1, s[4:5] offset:8
.LBB65_3:
	s_wait_xcnt 0x0
	s_load_b128 s[4:7], s[0:1], 0x98
	v_mov_b64_e32 v[8:9], 0
	s_bitcmp1_b32 s13, 8
	s_cselect_b32 s3, -1, 0
	s_bfe_u32 s13, s13, 0x10008
	s_delay_alu instid0(SALU_CYCLE_1)
	s_cmp_eq_u32 s13, 0
	s_cbranch_scc1 .LBB65_6
; %bb.4:
	v_dual_mov_b32 v2, 24 :: v_dual_lshlrev_b32 v3, 20, v21
	v_mov_b64_e32 v[6:7], s[10:11]
	s_and_not1_b32 vcc_lo, exec_lo, s12
	s_delay_alu instid0(VALU_DEP_2) | instskip(NEXT) | instid1(VALU_DEP_1)
	v_add_nc_u64_e32 v[2:3], src_flat_scratch_base_lo, v[2:3]
	v_cndmask_b32_e64 v3, s9, v3, s2
	s_delay_alu instid0(VALU_DEP_2)
	v_cndmask_b32_e64 v2, s8, v2, s2
	flat_load_b64 v[8:9], v[2:3]
	s_cbranch_vccnz .LBB65_6
; %bb.5:
	v_mov_b32_e32 v1, 0
	flat_load_b64 v[6:7], v1, s[8:9] offset:8
.LBB65_6:
	s_clause 0x5
	s_load_b64 s[24:25], s[0:1], 0x90
	s_load_b128 s[8:11], s[0:1], 0x70
	s_load_b128 s[12:15], s[0:1], 0x48
	s_load_b64 s[28:29], s[0:1], 0x30
	s_load_b128 s[20:23], s[0:1], 0x8
	s_load_b32 s33, s[0:1], 0x0
	v_cmp_gt_u32_e64 s2, 0x200, v0
	v_lshlrev_b32_e32 v22, 4, v0
	v_or_b32_e32 v1, 0xffffff00, v0
	v_lshl_add_u32 v20, v0, 2, 0
	s_and_saveexec_b32 s18, s2
	s_cbranch_execz .LBB65_9
; %bb.7:
	s_mov_b32 s16, 0
	v_add3_u32 v14, v22, 0, 0x800
	s_mov_b32 s17, s16
	s_mov_b32 s26, s16
	;; [unrolled: 1-line block ×3, first 2 shown]
	v_mov_b64_e32 v[2:3], s[16:17]
	v_mov_b64_e32 v[4:5], s[26:27]
	v_or_b32_e32 v15, 0xffffff00, v0
	v_lshl_add_u32 v16, v0, 2, 0
	s_wait_kmcnt 0x0
	v_mov_b32_e32 v17, s33
.LBB65_8:                               ; =>This Inner Loop Header: Depth=1
	s_delay_alu instid0(VALU_DEP_3)
	v_add_co_u32 v15, s17, 0x100, v15
	s_xor_b32 s17, s17, -1
	ds_store_b32 v16, v17
	ds_store_2addr_b64 v14, v[2:3], v[4:5] offset1:1
	v_add_nc_u32_e32 v14, 0x1000, v14
	v_add_nc_u32_e32 v16, 0x400, v16
	s_and_b32 s17, exec_lo, s17
	s_delay_alu instid0(SALU_CYCLE_1) | instskip(NEXT) | instid1(SALU_CYCLE_1)
	s_or_b32 s16, s17, s16
	s_and_not1_b32 exec_lo, exec_lo, s16
	s_cbranch_execnz .LBB65_8
.LBB65_9:
	s_or_b32 exec_lo, exec_lo, s18
	s_clause 0x3
	s_load_b64 s[26:27], s[0:1], 0x80
	s_load_b64 s[30:31], s[0:1], 0x68
	;; [unrolled: 1-line block ×3, first 2 shown]
	s_load_b128 s[16:19], s[0:1], 0x38
	s_wait_storecnt 0x0
	s_wait_loadcnt_dscnt 0x0
	s_barrier_signal -1
	s_barrier_wait -1
	s_wait_kmcnt 0x0
	s_load_b32 s0, s[20:21], 0x0
	s_bfe_u32 s1, ttmp6, 0x4000c
	s_wait_xcnt 0x0
	s_and_b32 s20, ttmp6, 15
	s_add_co_i32 s1, s1, 1
	s_getreg_b32 s21, hwreg(HW_REG_IB_STS2, 6, 4)
	s_mul_i32 s1, ttmp9, s1
	s_delay_alu instid0(SALU_CYCLE_1)
	s_add_co_i32 s20, s20, s1
	s_cmp_eq_u32 s21, 0
	s_cselect_b32 s1, ttmp9, s20
	s_and_b32 vcc_lo, exec_lo, s36
	s_wait_kmcnt 0x0
	s_add_co_i32 s0, s0, s1
	s_load_b32 s20, s[22:23], s0 offset:0x0 scale_offset
	s_cbranch_vccz .LBB65_27
; %bb.10:
	s_wait_kmcnt 0x0
	s_ashr_i32 s21, s20, 31
	v_lshrrev_b32_e32 v2, 5, v0
	s_lshl_b64 s[0:1], s[20:21], 2
	s_delay_alu instid0(SALU_CYCLE_1) | instskip(NEXT) | instid1(VALU_DEP_1)
	s_add_nc_u64 s[0:1], s[34:35], s[0:1]
	v_subrev_nc_u32_e32 v2, s4, v2
	s_load_b64 s[22:23], s[0:1], 0x0
	s_wait_xcnt 0x0
	s_mov_b32 s1, exec_lo
	s_wait_kmcnt 0x0
	v_add_nc_u32_e32 v14, s22, v2
	s_sub_co_i32 s0, s23, s4
	s_delay_alu instid0(VALU_DEP_1) | instid1(SALU_CYCLE_1)
	v_cmpx_gt_i32_e64 s0, v14
	s_cbranch_execz .LBB65_26
; %bb.11:
	v_and_b32_e32 v2, 31, v0
	s_mov_b32 s21, 0
	s_delay_alu instid0(VALU_DEP_1)
	v_subrev_nc_u32_e32 v23, s5, v2
	s_branch .LBB65_13
.LBB65_12:                              ;   in Loop: Header=BB65_13 Depth=1
	s_or_b32 exec_lo, exec_lo, s22
	v_add_nc_u32_e32 v14, 8, v14
	s_delay_alu instid0(VALU_DEP_1) | instskip(SKIP_1) | instid1(SALU_CYCLE_1)
	v_cmp_le_i32_e32 vcc_lo, s0, v14
	s_or_b32 s21, vcc_lo, s21
	s_and_not1_b32 exec_lo, exec_lo, s21
	s_cbranch_execz .LBB65_26
.LBB65_13:                              ; =>This Loop Header: Depth=1
                                        ;     Child Loop BB65_17 Depth 2
                                        ;       Child Loop BB65_20 Depth 3
	global_load_b32 v2, v14, s[28:29] scale_offset
	s_mov_b32 s22, exec_lo
	s_wait_loadcnt 0x0
	v_subrev_nc_u32_e32 v2, s4, v2
	s_delay_alu instid0(VALU_DEP_1) | instskip(NEXT) | instid1(VALU_DEP_1)
	v_ashrrev_i32_e32 v3, 31, v2
	v_lshl_add_u64 v[2:3], v[2:3], 2, s[18:19]
	global_load_b64 v[2:3], v[2:3], off
	s_wait_loadcnt 0x0
	v_subrev_nc_u32_e32 v24, s5, v3
	v_add_nc_u32_e32 v25, v2, v23
	s_wait_xcnt 0x0
	s_delay_alu instid0(VALU_DEP_1)
	v_cmpx_lt_i32_e64 v25, v24
	s_cbranch_execz .LBB65_12
; %bb.14:                               ;   in Loop: Header=BB65_13 Depth=1
	v_ashrrev_i32_e32 v15, 31, v14
	s_mov_b32 s23, 0
	s_delay_alu instid0(VALU_DEP_1) | instskip(SKIP_4) | instid1(VALU_DEP_2)
	v_lshl_add_u64 v[2:3], v[14:15], 4, s[16:17]
	global_load_b128 v[2:5], v[2:3], off
	s_wait_loadcnt 0x0
	v_mul_f64_e64 v[16:17], v[4:5], -v[12:13]
	v_mul_f64_e32 v[18:19], v[10:11], v[4:5]
	v_fmac_f64_e32 v[16:17], v[10:11], v[2:3]
	s_delay_alu instid0(VALU_DEP_2)
	v_fmac_f64_e32 v[18:19], v[12:13], v[2:3]
	s_branch .LBB65_17
.LBB65_15:                              ;   in Loop: Header=BB65_17 Depth=2
	s_or_b32 exec_lo, exec_lo, s35
.LBB65_16:                              ;   in Loop: Header=BB65_17 Depth=2
	s_delay_alu instid0(SALU_CYCLE_1) | instskip(SKIP_3) | instid1(VALU_DEP_2)
	s_or_b32 exec_lo, exec_lo, s34
	s_wait_loadcnt 0x0
	v_dual_mul_f64 v[26:27], v[4:5], -v[18:19] :: v_dual_add_nc_u32 v25, 32, v25
	v_mul_f64_e32 v[4:5], v[16:17], v[4:5]
	v_cmp_ge_i32_e32 vcc_lo, v25, v24
	s_or_b32 s23, vcc_lo, s23
	s_delay_alu instid0(VALU_DEP_3) | instskip(NEXT) | instid1(VALU_DEP_3)
	v_fmac_f64_e32 v[26:27], v[16:17], v[2:3]
	v_fmac_f64_e32 v[4:5], v[18:19], v[2:3]
	v_lshl_add_u32 v2, v15, 4, 0
	ds_add_f64 v2, v[26:27] offset:2048
	ds_add_f64 v2, v[4:5] offset:2056
	s_and_not1_b32 exec_lo, exec_lo, s23
	s_cbranch_execz .LBB65_12
.LBB65_17:                              ;   Parent Loop BB65_13 Depth=1
                                        ; =>  This Loop Header: Depth=2
                                        ;       Child Loop BB65_20 Depth 3
	s_clause 0x1
	global_load_b32 v15, v25, s[12:13] scale_offset
	global_load_b128 v[2:5], v25, s[14:15] scale_offset
	s_mov_b32 s34, exec_lo
	s_wait_loadcnt 0x1
	v_subrev_nc_u32_e32 v26, s5, v15
	s_delay_alu instid0(VALU_DEP_1) | instskip(NEXT) | instid1(VALU_DEP_1)
	v_mul_lo_u32 v15, 0x89, v26
	v_and_b32_e32 v15, 0x1ff, v15
	s_delay_alu instid0(VALU_DEP_1)
	v_lshl_add_u32 v27, v15, 2, 0
	ds_load_b32 v28, v27
	s_wait_dscnt 0x0
	s_wait_xcnt 0x0
	v_cmpx_ne_u32_e64 v28, v26
	s_cbranch_execz .LBB65_16
; %bb.18:                               ;   in Loop: Header=BB65_17 Depth=2
	s_mov_b32 s35, 0
	s_branch .LBB65_20
.LBB65_19:                              ;   in Loop: Header=BB65_20 Depth=3
	s_or_b32 exec_lo, exec_lo, s38
	s_delay_alu instid0(SALU_CYCLE_1) | instskip(NEXT) | instid1(SALU_CYCLE_1)
	s_and_b32 s36, exec_lo, s37
	s_or_b32 s35, s36, s35
	s_delay_alu instid0(SALU_CYCLE_1)
	s_and_not1_b32 exec_lo, exec_lo, s35
	s_cbranch_execz .LBB65_15
.LBB65_20:                              ;   Parent Loop BB65_13 Depth=1
                                        ;     Parent Loop BB65_17 Depth=2
                                        ; =>    This Inner Loop Header: Depth=3
	s_mov_b32 s36, 0
	s_mov_b32 s37, exec_lo
	v_cmpx_ne_u32_e64 s33, v28
	s_xor_b32 s37, exec_lo, s37
	s_cbranch_execz .LBB65_22
; %bb.21:                               ;   in Loop: Header=BB65_20 Depth=3
	v_add_nc_u32_e32 v15, 1, v15
	s_mov_b32 s36, exec_lo
                                        ; implicit-def: $vgpr27
	s_delay_alu instid0(VALU_DEP_1)
	v_and_b32_e32 v15, 0x1ff, v15
	s_and_not1_saveexec_b32 s37, s37
	s_cbranch_execz .LBB65_24
	s_branch .LBB65_23
.LBB65_22:                              ;   in Loop: Header=BB65_20 Depth=3
	s_and_not1_saveexec_b32 s37, s37
	s_cbranch_execz .LBB65_24
.LBB65_23:                              ;   in Loop: Header=BB65_20 Depth=3
	v_mov_b32_e32 v28, s33
	s_and_not1_b32 s36, s36, exec_lo
	ds_cmpstore_rtn_b32 v27, v27, v26, v28
	s_wait_dscnt 0x0
	v_cmp_ne_u32_e32 vcc_lo, s33, v27
	s_and_b32 s38, vcc_lo, exec_lo
	s_delay_alu instid0(SALU_CYCLE_1)
	s_or_b32 s36, s36, s38
.LBB65_24:                              ;   in Loop: Header=BB65_20 Depth=3
	s_or_b32 exec_lo, exec_lo, s37
	s_mov_b32 s37, -1
                                        ; implicit-def: $vgpr27
                                        ; implicit-def: $vgpr28
	s_and_saveexec_b32 s38, s36
	s_cbranch_execz .LBB65_19
; %bb.25:                               ;   in Loop: Header=BB65_20 Depth=3
	v_lshl_add_u32 v27, v15, 2, 0
	ds_load_b32 v28, v27
	s_wait_dscnt 0x0
	v_cmp_eq_u32_e32 vcc_lo, v28, v26
	s_or_not1_b32 s37, vcc_lo, exec_lo
	s_branch .LBB65_19
.LBB65_26:
	s_or_b32 exec_lo, exec_lo, s1
.LBB65_27:
	s_delay_alu instid0(SALU_CYCLE_1)
	s_and_not1_b32 vcc_lo, exec_lo, s3
	s_cbranch_vccnz .LBB65_42
; %bb.28:
	s_wait_kmcnt 0x0
	s_ashr_i32 s21, s20, 31
	v_subrev_nc_u32_e32 v2, s7, v0
	s_lshl_b64 s[0:1], s[20:21], 2
	s_delay_alu instid0(SALU_CYCLE_1)
	s_add_nc_u64 s[0:1], s[30:31], s[0:1]
	s_load_b64 s[4:5], s[0:1], 0x0
	s_wait_xcnt 0x0
	s_mov_b32 s1, exec_lo
	s_wait_kmcnt 0x0
	v_add_nc_u32_e32 v10, s4, v2
	s_sub_co_i32 s0, s5, s7
	s_delay_alu instid0(VALU_DEP_1) | instid1(SALU_CYCLE_1)
	v_cmpx_gt_i32_e64 s0, v10
	s_cbranch_execz .LBB65_41
; %bb.29:
	s_mov_b32 s3, 0
	s_branch .LBB65_32
.LBB65_30:                              ;   in Loop: Header=BB65_32 Depth=1
	s_or_b32 exec_lo, exec_lo, s5
.LBB65_31:                              ;   in Loop: Header=BB65_32 Depth=1
	s_delay_alu instid0(SALU_CYCLE_1) | instskip(SKIP_4) | instid1(VALU_DEP_1)
	s_or_b32 exec_lo, exec_lo, s4
	s_wait_loadcnt 0x0
	v_mul_f64_e64 v[12:13], v[4:5], -v[6:7]
	v_mul_f64_e32 v[4:5], v[8:9], v[4:5]
	v_add_nc_u32_e32 v10, 0x100, v10
	v_cmp_le_i32_e32 vcc_lo, s0, v10
	s_or_b32 s3, vcc_lo, s3
	s_delay_alu instid0(VALU_DEP_4) | instskip(NEXT) | instid1(VALU_DEP_4)
	v_fmac_f64_e32 v[12:13], v[8:9], v[2:3]
	v_fmac_f64_e32 v[4:5], v[6:7], v[2:3]
	v_lshl_add_u32 v2, v11, 4, 0
	ds_add_f64 v2, v[12:13] offset:2048
	ds_add_f64 v2, v[4:5] offset:2056
	s_and_not1_b32 exec_lo, exec_lo, s3
	s_cbranch_execz .LBB65_41
.LBB65_32:                              ; =>This Loop Header: Depth=1
                                        ;     Child Loop BB65_35 Depth 2
	s_clause 0x1
	global_load_b32 v11, v10, s[8:9] scale_offset
	global_load_b128 v[2:5], v10, s[10:11] scale_offset
	s_mov_b32 s4, exec_lo
	s_wait_loadcnt 0x1
	v_subrev_nc_u32_e32 v12, s7, v11
	s_delay_alu instid0(VALU_DEP_1) | instskip(NEXT) | instid1(VALU_DEP_1)
	v_mul_lo_u32 v11, 0x89, v12
	v_and_b32_e32 v11, 0x1ff, v11
	s_delay_alu instid0(VALU_DEP_1)
	v_lshl_add_u32 v13, v11, 2, 0
	ds_load_b32 v14, v13
	s_wait_dscnt 0x0
	s_wait_xcnt 0x0
	v_cmpx_ne_u32_e64 v14, v12
	s_cbranch_execz .LBB65_31
; %bb.33:                               ;   in Loop: Header=BB65_32 Depth=1
	s_mov_b32 s5, 0
	s_branch .LBB65_35
.LBB65_34:                              ;   in Loop: Header=BB65_35 Depth=2
	s_or_b32 exec_lo, exec_lo, s14
	s_delay_alu instid0(SALU_CYCLE_1) | instskip(NEXT) | instid1(SALU_CYCLE_1)
	s_and_b32 s12, exec_lo, s13
	s_or_b32 s5, s12, s5
	s_delay_alu instid0(SALU_CYCLE_1)
	s_and_not1_b32 exec_lo, exec_lo, s5
	s_cbranch_execz .LBB65_30
.LBB65_35:                              ;   Parent Loop BB65_32 Depth=1
                                        ; =>  This Inner Loop Header: Depth=2
	s_mov_b32 s12, 0
	s_mov_b32 s13, exec_lo
	v_cmpx_ne_u32_e64 s33, v14
	s_xor_b32 s13, exec_lo, s13
	s_cbranch_execz .LBB65_37
; %bb.36:                               ;   in Loop: Header=BB65_35 Depth=2
	v_add_nc_u32_e32 v11, 1, v11
	s_mov_b32 s12, exec_lo
                                        ; implicit-def: $vgpr13
	s_delay_alu instid0(VALU_DEP_1)
	v_and_b32_e32 v11, 0x1ff, v11
	s_and_not1_saveexec_b32 s13, s13
	s_cbranch_execz .LBB65_39
	s_branch .LBB65_38
.LBB65_37:                              ;   in Loop: Header=BB65_35 Depth=2
	s_and_not1_saveexec_b32 s13, s13
	s_cbranch_execz .LBB65_39
.LBB65_38:                              ;   in Loop: Header=BB65_35 Depth=2
	v_mov_b32_e32 v14, s33
	s_and_not1_b32 s12, s12, exec_lo
	ds_cmpstore_rtn_b32 v13, v13, v12, v14
	s_wait_dscnt 0x0
	v_cmp_ne_u32_e32 vcc_lo, s33, v13
	s_and_b32 s14, vcc_lo, exec_lo
	s_delay_alu instid0(SALU_CYCLE_1)
	s_or_b32 s12, s12, s14
.LBB65_39:                              ;   in Loop: Header=BB65_35 Depth=2
	s_or_b32 exec_lo, exec_lo, s13
	s_mov_b32 s13, -1
                                        ; implicit-def: $vgpr13
                                        ; implicit-def: $vgpr14
	s_and_saveexec_b32 s14, s12
	s_cbranch_execz .LBB65_34
; %bb.40:                               ;   in Loop: Header=BB65_35 Depth=2
	v_lshl_add_u32 v13, v11, 2, 0
	ds_load_b32 v14, v13
	s_wait_dscnt 0x0
	v_cmp_eq_u32_e32 vcc_lo, v14, v12
	s_or_not1_b32 s13, vcc_lo, exec_lo
	s_branch .LBB65_34
.LBB65_41:
	s_or_b32 exec_lo, exec_lo, s1
.LBB65_42:
	s_wait_dscnt 0x0
	s_barrier_signal -1
	s_barrier_wait -1
	s_and_saveexec_b32 s4, s2
	s_cbranch_execz .LBB65_55
; %bb.43:
	v_dual_lshrrev_b32 v2, 4, v0 :: v_dual_bitop2_b32 v5, 31, v21 bitop3:0x14
	v_mov_b32_e32 v3, 0
	s_wait_xcnt 0x0
	v_cmp_lt_u32_e64 s0, 63, v0
	v_cmp_lt_u32_e64 s1, 0x7f, v0
	v_and_b32_e32 v6, 12, v2
	v_cmp_lt_u32_e64 s2, 0xbf, v0
	v_add3_u32 v4, v22, 0, 0x800
	v_lshrrev_b32_e64 v2, v5, -1
	s_mov_b32 s5, 0
	v_dual_mov_b32 v6, 0 :: v_dual_add_nc_u32 v5, 0, v6
	v_cmp_eq_u32_e32 vcc_lo, 0xff, v0
	s_branch .LBB65_45
.LBB65_44:                              ;   in Loop: Header=BB65_45 Depth=1
	s_or_b32 exec_lo, exec_lo, s3
	s_wait_dscnt 0x0
	s_barrier_signal -1
	s_barrier_wait -1
	ds_load_b32 v7, v3 offset:10252
	v_add_co_u32 v1, s3, 0x100, v1
	s_xor_b32 s3, s3, -1
	v_add_nc_u32_e32 v4, 0x1000, v4
	v_add_nc_u32_e32 v20, 0x400, v20
	s_and_b32 s3, exec_lo, s3
	s_delay_alu instid0(SALU_CYCLE_1)
	s_or_b32 s5, s3, s5
	s_wait_dscnt 0x0
	v_add_nc_u32_e32 v6, v7, v6
	s_and_not1_b32 exec_lo, exec_lo, s5
	s_cbranch_execz .LBB65_55
.LBB65_45:                              ; =>This Inner Loop Header: Depth=1
	ds_load_b32 v7, v20
	ds_load_2addr_b64 v[8:11], v4 offset1:1
	s_wait_dscnt 0x1
	v_cmp_gt_i32_e64 s3, s33, v7
	s_wait_dscnt 0x0
	scratch_store_b128 off, v[8:11], off
	s_wait_storecnt 0x0
	s_barrier_signal -1
	s_barrier_wait -1
	s_bcnt1_i32_b32 s7, s3
	s_wait_xcnt 0x0
	v_dual_mov_b32 v9, s7 :: v_dual_bitop2_b32 v8, s3, v2 bitop3:0x40
	s_delay_alu instid0(VALU_DEP_1)
	v_bcnt_u32_b32 v8, v8, 0
	ds_store_b32 v5, v9 offset:10240
	s_wait_dscnt 0x0
	s_barrier_signal -1
	s_barrier_wait -1
	s_and_saveexec_b32 s7, s0
	s_cbranch_execz .LBB65_50
; %bb.46:                               ;   in Loop: Header=BB65_45 Depth=1
	ds_load_b32 v9, v3 offset:10240
	s_wait_dscnt 0x0
	v_add_nc_u32_e32 v8, v9, v8
	s_or_b32 exec_lo, exec_lo, s7
	s_and_saveexec_b32 s7, s1
	s_cbranch_execnz .LBB65_51
.LBB65_47:                              ;   in Loop: Header=BB65_45 Depth=1
	s_or_b32 exec_lo, exec_lo, s7
	s_and_saveexec_b32 s7, s2
	s_cbranch_execz .LBB65_52
.LBB65_48:                              ;   in Loop: Header=BB65_45 Depth=1
	ds_load_b32 v9, v3 offset:10248
	s_wait_dscnt 0x0
	v_add_nc_u32_e32 v8, v9, v8
	s_or_b32 exec_lo, exec_lo, s7
	s_and_saveexec_b32 s7, s3
	s_cbranch_execnz .LBB65_53
.LBB65_49:                              ;   in Loop: Header=BB65_45 Depth=1
	s_or_b32 exec_lo, exec_lo, s7
	s_and_saveexec_b32 s3, vcc_lo
	s_cbranch_execz .LBB65_44
	s_branch .LBB65_54
.LBB65_50:                              ;   in Loop: Header=BB65_45 Depth=1
	s_or_b32 exec_lo, exec_lo, s7
	s_and_saveexec_b32 s7, s1
	s_cbranch_execz .LBB65_47
.LBB65_51:                              ;   in Loop: Header=BB65_45 Depth=1
	ds_load_b32 v9, v3 offset:10244
	s_wait_dscnt 0x0
	v_add_nc_u32_e32 v8, v9, v8
	s_or_b32 exec_lo, exec_lo, s7
	s_and_saveexec_b32 s7, s2
	s_cbranch_execnz .LBB65_48
.LBB65_52:                              ;   in Loop: Header=BB65_45 Depth=1
	s_or_b32 exec_lo, exec_lo, s7
	s_and_saveexec_b32 s7, s3
	s_cbranch_execz .LBB65_49
.LBB65_53:                              ;   in Loop: Header=BB65_45 Depth=1
	scratch_load_b128 v[10:13], off, off
	v_add3_u32 v9, v6, -1, v8
	v_add_nc_u32_e32 v14, v6, v8
	s_delay_alu instid0(VALU_DEP_2) | instskip(NEXT) | instid1(VALU_DEP_2)
	v_lshl_add_u32 v9, v9, 2, 0
	v_lshl_add_u32 v14, v14, 4, 0
	ds_store_b32 v9, v7
	s_wait_loadcnt 0x0
	ds_store_2addr_b64 v14, v[10:11], v[12:13] offset0:254 offset1:255
	s_or_b32 exec_lo, exec_lo, s7
	s_and_saveexec_b32 s3, vcc_lo
	s_cbranch_execz .LBB65_44
.LBB65_54:                              ;   in Loop: Header=BB65_45 Depth=1
	ds_store_b32 v3, v8 offset:10252
	s_branch .LBB65_44
.LBB65_55:
	s_or_b32 exec_lo, exec_lo, s4
	s_wait_kmcnt 0x0
	s_ashr_i32 s21, s20, 31
	s_delay_alu instid0(SALU_CYCLE_1) | instskip(NEXT) | instid1(SALU_CYCLE_1)
	s_lshl_b64 s[0:1], s[20:21], 2
	s_add_nc_u64 s[2:3], s[26:27], s[0:1]
	s_load_b64 s[0:1], s[2:3], 0x0
	s_wait_kmcnt 0x0
	s_sub_co_i32 s4, s1, s0
	s_mov_b32 s1, exec_lo
	v_cmpx_gt_i32_e64 s4, v0
	s_cbranch_execz .LBB65_69
; %bb.56:
	v_sub_co_u32 v1, s1, s4, 2
	s_sub_co_i32 s2, s0, s6
	s_xor_b32 s6, s1, -1
	s_and_b32 s5, s4, -2
	v_readfirstlane_b32 s3, v1
	s_lshr_b32 s0, s3, 1
	s_mov_b32 s3, 0
	s_add_co_i32 s0, s0, 1
	s_mov_b32 s11, s3
	s_and_b32 s1, s0, 7
	s_and_b32 s7, s0, -8
	s_cmp_lg_u32 s1, 0
	v_cmp_lt_u32_e64 s0, 13, v1
	s_cselect_b32 s8, -1, 0
	s_cmp_lg_u32 s4, s5
	s_cselect_b32 s9, -1, 0
	s_lshl_b32 s10, s1, 3
	s_branch .LBB65_58
.LBB65_57:                              ;   in Loop: Header=BB65_58 Depth=1
	v_mul_lo_u32 v3, v0, 12
	v_add_nc_u32_e32 v0, 0x100, v0
	s_delay_alu instid0(VALU_DEP_1) | instskip(SKIP_1) | instid1(VALU_DEP_3)
	v_cmp_le_i32_e32 vcc_lo, s4, v0
	s_or_b32 s11, vcc_lo, s11
	v_add3_u32 v1, v1, v3, 0x800
	s_wait_dscnt 0x0
	ds_load_2addr_b64 v[4:7], v1 offset1:1
	s_wait_dscnt 0x0
	global_store_b128 v2, v[4:7], s[24:25] scale_offset
	s_wait_xcnt 0x0
	s_and_not1_b32 exec_lo, exec_lo, s11
	s_cbranch_execz .LBB65_69
.LBB65_58:                              ; =>This Loop Header: Depth=1
                                        ;     Child Loop BB65_61 Depth 2
                                        ;     Child Loop BB65_64 Depth 2
	;; [unrolled: 1-line block ×3, first 2 shown]
	v_lshl_add_u32 v1, v0, 2, 0
	v_mov_b32_e32 v2, s2
	s_and_not1_b32 vcc_lo, exec_lo, s6
	s_mov_b32 s1, 0
	s_mov_b32 s12, -1
	ds_load_b32 v4, v1
	s_cbranch_vccnz .LBB65_66
; %bb.59:                               ;   in Loop: Header=BB65_58 Depth=1
	v_mov_b64_e32 v[2:3], s[2:3]
	s_and_not1_b32 vcc_lo, exec_lo, s0
	s_mov_b32 s12, 0
	s_cbranch_vccnz .LBB65_62
; %bb.60:                               ;   in Loop: Header=BB65_58 Depth=1
	v_dual_mov_b32 v2, s2 :: v_dual_mov_b32 v3, 0
	s_mov_b32 s13, 0
	s_mov_b32 s14, s7
.LBB65_61:                              ;   Parent Loop BB65_58 Depth=1
                                        ; =>  This Inner Loop Header: Depth=2
	v_mov_b32_e32 v5, s13
	s_add_co_i32 s14, s14, -8
	s_add_co_i32 s12, s12, 16
	s_add_co_i32 s13, s13, 64
	s_cmp_lg_u32 s14, 0
	ds_load_2addr_b32 v[6:7], v5 offset1:1
	ds_load_2addr_b32 v[8:9], v5 offset0:2 offset1:3
	ds_load_2addr_b32 v[10:11], v5 offset0:4 offset1:5
	;; [unrolled: 1-line block ×7, first 2 shown]
	s_wait_dscnt 0x7
	v_cmp_gt_i32_e32 vcc_lo, v4, v7
	s_wait_dscnt 0x5
	v_cmp_gt_i32_e64 s1, v4, v10
	v_cndmask_b32_e64 v5, 0, 1, vcc_lo
	v_cmp_gt_i32_e32 vcc_lo, v4, v6
	s_delay_alu instid0(VALU_DEP_3) | instskip(SKIP_3) | instid1(VALU_DEP_3)
	v_cndmask_b32_e64 v7, 0, 1, s1
	v_cmp_gt_i32_e64 s1, v4, v11
	v_cndmask_b32_e64 v6, 0, 1, vcc_lo
	v_cmp_gt_i32_e32 vcc_lo, v4, v8
	v_cndmask_b32_e64 v8, 0, 1, s1
	s_wait_dscnt 0x4
	v_cmp_gt_i32_e64 s1, v4, v13
	v_add_co_ci_u32_e64 v2, null, v2, v6, vcc_lo
	s_delay_alu instid0(VALU_DEP_2) | instskip(SKIP_3) | instid1(VALU_DEP_2)
	v_cndmask_b32_e64 v10, 0, 1, s1
	v_cmp_gt_i32_e64 s1, v4, v12
	s_wait_dscnt 0x2
	v_cmp_gt_i32_e32 vcc_lo, v4, v16
	v_cndmask_b32_e64 v11, 0, 1, s1
	v_cmp_gt_i32_e64 s1, v4, v14
	v_add_co_ci_u32_e64 v2, null, v2, v7, vcc_lo
	s_wait_dscnt 0x1
	v_cmp_gt_i32_e32 vcc_lo, v4, v18
	s_delay_alu instid0(VALU_DEP_3) | instskip(SKIP_4) | instid1(VALU_DEP_3)
	v_cndmask_b32_e64 v12, 0, 1, s1
	v_cmp_gt_i32_e64 s1, v4, v15
	v_add_co_ci_u32_e64 v2, null, v2, v11, vcc_lo
	s_wait_dscnt 0x0
	v_cmp_gt_i32_e32 vcc_lo, v4, v20
	v_cndmask_b32_e64 v13, 0, 1, s1
	v_cmp_gt_i32_e64 s1, v4, v9
	v_add_co_ci_u32_e64 v2, null, v2, v12, vcc_lo
	s_delay_alu instid0(VALU_DEP_2) | instskip(SKIP_1) | instid1(VALU_DEP_1)
	v_add_co_ci_u32_e64 v3, null, v3, v5, s1
	v_cmp_gt_i32_e64 s1, v4, v17
	v_add_co_ci_u32_e64 v3, null, v3, v8, s1
	v_cmp_gt_i32_e64 s1, v4, v19
	s_delay_alu instid0(VALU_DEP_1) | instskip(SKIP_1) | instid1(VALU_DEP_1)
	v_add_co_ci_u32_e64 v3, null, v3, v10, s1
	v_cmp_gt_i32_e64 s1, v4, v21
	v_add_co_ci_u32_e64 v3, null, v3, v13, s1
	s_cbranch_scc1 .LBB65_61
.LBB65_62:                              ;   in Loop: Header=BB65_58 Depth=1
	s_and_not1_b32 vcc_lo, exec_lo, s8
	s_cbranch_vccnz .LBB65_65
; %bb.63:                               ;   in Loop: Header=BB65_58 Depth=1
	s_lshl_b32 s1, s12, 2
	s_mov_b32 s12, s10
	s_add_co_i32 s1, s1, 0
.LBB65_64:                              ;   Parent Loop BB65_58 Depth=1
                                        ; =>  This Inner Loop Header: Depth=2
	s_delay_alu instid0(SALU_CYCLE_1)
	v_mov_b32_e32 v5, s1
	s_add_co_i32 s12, s12, -8
	s_add_co_i32 s1, s1, 8
	s_cmp_lg_u32 s12, 0
	ds_load_2addr_b32 v[6:7], v5 offset1:1
	s_wait_dscnt 0x0
	v_cmp_gt_i32_e32 vcc_lo, v4, v7
	v_add_co_ci_u32_e64 v3, null, 0, v3, vcc_lo
	v_cmp_gt_i32_e32 vcc_lo, v4, v6
	v_add_co_ci_u32_e64 v2, null, 0, v2, vcc_lo
	s_cbranch_scc1 .LBB65_64
.LBB65_65:                              ;   in Loop: Header=BB65_58 Depth=1
	s_delay_alu instid0(VALU_DEP_1)
	v_add_nc_u32_e32 v2, v2, v3
	s_mov_b32 s1, s5
	s_mov_b32 s12, s9
.LBB65_66:                              ;   in Loop: Header=BB65_58 Depth=1
	s_delay_alu instid0(SALU_CYCLE_1)
	s_and_b32 vcc_lo, exec_lo, s12
	s_cbranch_vccz .LBB65_57
; %bb.67:                               ;   in Loop: Header=BB65_58 Depth=1
	s_lshl_b32 s12, s1, 2
	s_delay_alu instid0(SALU_CYCLE_1)
	s_add_co_i32 s12, s12, 0
.LBB65_68:                              ;   Parent Loop BB65_58 Depth=1
                                        ; =>  This Inner Loop Header: Depth=2
	s_delay_alu instid0(SALU_CYCLE_1)
	v_mov_b32_e32 v3, s12
	s_add_co_i32 s1, s1, 1
	s_add_co_i32 s12, s12, 4
	s_cmp_ge_i32 s1, s4
	ds_load_b32 v3, v3
	s_wait_dscnt 0x0
	v_cmp_gt_i32_e32 vcc_lo, v4, v3
	v_add_co_ci_u32_e64 v2, null, 0, v2, vcc_lo
	s_cbranch_scc0 .LBB65_68
	s_branch .LBB65_57
.LBB65_69:
	s_endpgm
	.section	.rodata,"a",@progbits
	.p2align	6, 0x0
	.amdhsa_kernel _ZN9rocsparseL41csrgemm_numeric_fill_block_per_row_kernelILj256ELj32ELj512ELj137ELj64Eii21rocsparse_complex_numIdEEEvT5_PKS3_S5_NS_24const_host_device_scalarIT6_EEPKT4_S5_PKS7_SB_S5_SD_S8_SB_S5_SD_SB_S5_PS7_21rocsparse_index_base_SF_SF_SF_bbb
		.amdhsa_group_segment_fixed_size 0
		.amdhsa_private_segment_fixed_size 40
		.amdhsa_kernarg_size 172
		.amdhsa_user_sgpr_count 2
		.amdhsa_user_sgpr_dispatch_ptr 0
		.amdhsa_user_sgpr_queue_ptr 0
		.amdhsa_user_sgpr_kernarg_segment_ptr 1
		.amdhsa_user_sgpr_dispatch_id 0
		.amdhsa_user_sgpr_kernarg_preload_length 0
		.amdhsa_user_sgpr_kernarg_preload_offset 0
		.amdhsa_user_sgpr_private_segment_size 0
		.amdhsa_wavefront_size32 1
		.amdhsa_uses_dynamic_stack 0
		.amdhsa_enable_private_segment 1
		.amdhsa_system_sgpr_workgroup_id_x 1
		.amdhsa_system_sgpr_workgroup_id_y 0
		.amdhsa_system_sgpr_workgroup_id_z 0
		.amdhsa_system_sgpr_workgroup_info 0
		.amdhsa_system_vgpr_workitem_id 0
		.amdhsa_next_free_vgpr 29
		.amdhsa_next_free_sgpr 39
		.amdhsa_named_barrier_count 0
		.amdhsa_reserve_vcc 1
		.amdhsa_float_round_mode_32 0
		.amdhsa_float_round_mode_16_64 0
		.amdhsa_float_denorm_mode_32 3
		.amdhsa_float_denorm_mode_16_64 3
		.amdhsa_fp16_overflow 0
		.amdhsa_memory_ordered 1
		.amdhsa_forward_progress 1
		.amdhsa_inst_pref_size 25
		.amdhsa_round_robin_scheduling 0
		.amdhsa_exception_fp_ieee_invalid_op 0
		.amdhsa_exception_fp_denorm_src 0
		.amdhsa_exception_fp_ieee_div_zero 0
		.amdhsa_exception_fp_ieee_overflow 0
		.amdhsa_exception_fp_ieee_underflow 0
		.amdhsa_exception_fp_ieee_inexact 0
		.amdhsa_exception_int_div_zero 0
	.end_amdhsa_kernel
	.section	.text._ZN9rocsparseL41csrgemm_numeric_fill_block_per_row_kernelILj256ELj32ELj512ELj137ELj64Eii21rocsparse_complex_numIdEEEvT5_PKS3_S5_NS_24const_host_device_scalarIT6_EEPKT4_S5_PKS7_SB_S5_SD_S8_SB_S5_SD_SB_S5_PS7_21rocsparse_index_base_SF_SF_SF_bbb,"axG",@progbits,_ZN9rocsparseL41csrgemm_numeric_fill_block_per_row_kernelILj256ELj32ELj512ELj137ELj64Eii21rocsparse_complex_numIdEEEvT5_PKS3_S5_NS_24const_host_device_scalarIT6_EEPKT4_S5_PKS7_SB_S5_SD_S8_SB_S5_SD_SB_S5_PS7_21rocsparse_index_base_SF_SF_SF_bbb,comdat
.Lfunc_end65:
	.size	_ZN9rocsparseL41csrgemm_numeric_fill_block_per_row_kernelILj256ELj32ELj512ELj137ELj64Eii21rocsparse_complex_numIdEEEvT5_PKS3_S5_NS_24const_host_device_scalarIT6_EEPKT4_S5_PKS7_SB_S5_SD_S8_SB_S5_SD_SB_S5_PS7_21rocsparse_index_base_SF_SF_SF_bbb, .Lfunc_end65-_ZN9rocsparseL41csrgemm_numeric_fill_block_per_row_kernelILj256ELj32ELj512ELj137ELj64Eii21rocsparse_complex_numIdEEEvT5_PKS3_S5_NS_24const_host_device_scalarIT6_EEPKT4_S5_PKS7_SB_S5_SD_S8_SB_S5_SD_SB_S5_PS7_21rocsparse_index_base_SF_SF_SF_bbb
                                        ; -- End function
	.set _ZN9rocsparseL41csrgemm_numeric_fill_block_per_row_kernelILj256ELj32ELj512ELj137ELj64Eii21rocsparse_complex_numIdEEEvT5_PKS3_S5_NS_24const_host_device_scalarIT6_EEPKT4_S5_PKS7_SB_S5_SD_S8_SB_S5_SD_SB_S5_PS7_21rocsparse_index_base_SF_SF_SF_bbb.num_vgpr, 29
	.set _ZN9rocsparseL41csrgemm_numeric_fill_block_per_row_kernelILj256ELj32ELj512ELj137ELj64Eii21rocsparse_complex_numIdEEEvT5_PKS3_S5_NS_24const_host_device_scalarIT6_EEPKT4_S5_PKS7_SB_S5_SD_S8_SB_S5_SD_SB_S5_PS7_21rocsparse_index_base_SF_SF_SF_bbb.num_agpr, 0
	.set _ZN9rocsparseL41csrgemm_numeric_fill_block_per_row_kernelILj256ELj32ELj512ELj137ELj64Eii21rocsparse_complex_numIdEEEvT5_PKS3_S5_NS_24const_host_device_scalarIT6_EEPKT4_S5_PKS7_SB_S5_SD_S8_SB_S5_SD_SB_S5_PS7_21rocsparse_index_base_SF_SF_SF_bbb.numbered_sgpr, 39
	.set _ZN9rocsparseL41csrgemm_numeric_fill_block_per_row_kernelILj256ELj32ELj512ELj137ELj64Eii21rocsparse_complex_numIdEEEvT5_PKS3_S5_NS_24const_host_device_scalarIT6_EEPKT4_S5_PKS7_SB_S5_SD_S8_SB_S5_SD_SB_S5_PS7_21rocsparse_index_base_SF_SF_SF_bbb.num_named_barrier, 0
	.set _ZN9rocsparseL41csrgemm_numeric_fill_block_per_row_kernelILj256ELj32ELj512ELj137ELj64Eii21rocsparse_complex_numIdEEEvT5_PKS3_S5_NS_24const_host_device_scalarIT6_EEPKT4_S5_PKS7_SB_S5_SD_S8_SB_S5_SD_SB_S5_PS7_21rocsparse_index_base_SF_SF_SF_bbb.private_seg_size, 40
	.set _ZN9rocsparseL41csrgemm_numeric_fill_block_per_row_kernelILj256ELj32ELj512ELj137ELj64Eii21rocsparse_complex_numIdEEEvT5_PKS3_S5_NS_24const_host_device_scalarIT6_EEPKT4_S5_PKS7_SB_S5_SD_S8_SB_S5_SD_SB_S5_PS7_21rocsparse_index_base_SF_SF_SF_bbb.uses_vcc, 1
	.set _ZN9rocsparseL41csrgemm_numeric_fill_block_per_row_kernelILj256ELj32ELj512ELj137ELj64Eii21rocsparse_complex_numIdEEEvT5_PKS3_S5_NS_24const_host_device_scalarIT6_EEPKT4_S5_PKS7_SB_S5_SD_S8_SB_S5_SD_SB_S5_PS7_21rocsparse_index_base_SF_SF_SF_bbb.uses_flat_scratch, 1
	.set _ZN9rocsparseL41csrgemm_numeric_fill_block_per_row_kernelILj256ELj32ELj512ELj137ELj64Eii21rocsparse_complex_numIdEEEvT5_PKS3_S5_NS_24const_host_device_scalarIT6_EEPKT4_S5_PKS7_SB_S5_SD_S8_SB_S5_SD_SB_S5_PS7_21rocsparse_index_base_SF_SF_SF_bbb.has_dyn_sized_stack, 0
	.set _ZN9rocsparseL41csrgemm_numeric_fill_block_per_row_kernelILj256ELj32ELj512ELj137ELj64Eii21rocsparse_complex_numIdEEEvT5_PKS3_S5_NS_24const_host_device_scalarIT6_EEPKT4_S5_PKS7_SB_S5_SD_S8_SB_S5_SD_SB_S5_PS7_21rocsparse_index_base_SF_SF_SF_bbb.has_recursion, 0
	.set _ZN9rocsparseL41csrgemm_numeric_fill_block_per_row_kernelILj256ELj32ELj512ELj137ELj64Eii21rocsparse_complex_numIdEEEvT5_PKS3_S5_NS_24const_host_device_scalarIT6_EEPKT4_S5_PKS7_SB_S5_SD_S8_SB_S5_SD_SB_S5_PS7_21rocsparse_index_base_SF_SF_SF_bbb.has_indirect_call, 0
	.section	.AMDGPU.csdata,"",@progbits
; Kernel info:
; codeLenInByte = 3172
; TotalNumSgprs: 41
; NumVgprs: 29
; ScratchSize: 40
; MemoryBound: 0
; FloatMode: 240
; IeeeMode: 1
; LDSByteSize: 0 bytes/workgroup (compile time only)
; SGPRBlocks: 0
; VGPRBlocks: 1
; NumSGPRsForWavesPerEU: 41
; NumVGPRsForWavesPerEU: 29
; NamedBarCnt: 0
; Occupancy: 16
; WaveLimiterHint : 1
; COMPUTE_PGM_RSRC2:SCRATCH_EN: 1
; COMPUTE_PGM_RSRC2:USER_SGPR: 2
; COMPUTE_PGM_RSRC2:TRAP_HANDLER: 0
; COMPUTE_PGM_RSRC2:TGID_X_EN: 1
; COMPUTE_PGM_RSRC2:TGID_Y_EN: 0
; COMPUTE_PGM_RSRC2:TGID_Z_EN: 0
; COMPUTE_PGM_RSRC2:TIDIG_COMP_CNT: 0
	.section	.text._ZN9rocsparseL41csrgemm_numeric_fill_block_per_row_kernelILj512ELj32ELj1024ELj137ELj32Eii21rocsparse_complex_numIdEEEvT5_PKS3_S5_NS_24const_host_device_scalarIT6_EEPKT4_S5_PKS7_SB_S5_SD_S8_SB_S5_SD_SB_S5_PS7_21rocsparse_index_base_SF_SF_SF_bbb,"axG",@progbits,_ZN9rocsparseL41csrgemm_numeric_fill_block_per_row_kernelILj512ELj32ELj1024ELj137ELj32Eii21rocsparse_complex_numIdEEEvT5_PKS3_S5_NS_24const_host_device_scalarIT6_EEPKT4_S5_PKS7_SB_S5_SD_S8_SB_S5_SD_SB_S5_PS7_21rocsparse_index_base_SF_SF_SF_bbb,comdat
	.globl	_ZN9rocsparseL41csrgemm_numeric_fill_block_per_row_kernelILj512ELj32ELj1024ELj137ELj32Eii21rocsparse_complex_numIdEEEvT5_PKS3_S5_NS_24const_host_device_scalarIT6_EEPKT4_S5_PKS7_SB_S5_SD_S8_SB_S5_SD_SB_S5_PS7_21rocsparse_index_base_SF_SF_SF_bbb ; -- Begin function _ZN9rocsparseL41csrgemm_numeric_fill_block_per_row_kernelILj512ELj32ELj1024ELj137ELj32Eii21rocsparse_complex_numIdEEEvT5_PKS3_S5_NS_24const_host_device_scalarIT6_EEPKT4_S5_PKS7_SB_S5_SD_S8_SB_S5_SD_SB_S5_PS7_21rocsparse_index_base_SF_SF_SF_bbb
	.p2align	8
	.type	_ZN9rocsparseL41csrgemm_numeric_fill_block_per_row_kernelILj512ELj32ELj1024ELj137ELj32Eii21rocsparse_complex_numIdEEEvT5_PKS3_S5_NS_24const_host_device_scalarIT6_EEPKT4_S5_PKS7_SB_S5_SD_S8_SB_S5_SD_SB_S5_PS7_21rocsparse_index_base_SF_SF_SF_bbb,@function
_ZN9rocsparseL41csrgemm_numeric_fill_block_per_row_kernelILj512ELj32ELj1024ELj137ELj32Eii21rocsparse_complex_numIdEEEvT5_PKS3_S5_NS_24const_host_device_scalarIT6_EEPKT4_S5_PKS7_SB_S5_SD_S8_SB_S5_SD_SB_S5_PS7_21rocsparse_index_base_SF_SF_SF_bbb: ; @_ZN9rocsparseL41csrgemm_numeric_fill_block_per_row_kernelILj512ELj32ELj1024ELj137ELj32Eii21rocsparse_complex_numIdEEEvT5_PKS3_S5_NS_24const_host_device_scalarIT6_EEPKT4_S5_PKS7_SB_S5_SD_S8_SB_S5_SD_SB_S5_PS7_21rocsparse_index_base_SF_SF_SF_bbb
; %bb.0:
	s_clause 0x3
	s_load_b32 s3, s[0:1], 0xa8
	s_load_b128 s[4:7], s[0:1], 0x18
	s_load_b128 s[12:15], s[0:1], 0x58
	;; [unrolled: 1-line block ×3, first 2 shown]
	v_mov_b64_e32 v[6:7], 0
	v_mov_b64_e32 v[10:11], 0
	;; [unrolled: 1-line block ×3, first 2 shown]
	v_mbcnt_lo_u32_b32 v22, -1, 0
	s_wait_kmcnt 0x0
	s_bitcmp1_b32 s3, 0
	v_mov_b64_e32 v[2:3], s[4:5]
	s_cselect_b32 s35, -1, 0
	s_bitcmp1_b32 s3, 16
	v_mov_b64_e32 v[4:5], s[12:13]
	s_cselect_b32 s2, -1, 0
	s_clause 0x1
	scratch_store_b64 off, v[2:3], off offset:16
	scratch_store_b64 off, v[4:5], off offset:24
	s_xor_b32 s26, s2, -1
	s_bitcmp0_b32 s3, 0
	v_cndmask_b32_e64 v1, 0, 1, s26
	s_delay_alu instid0(VALU_DEP_1)
	v_cmp_ne_u32_e32 vcc_lo, 1, v1
	s_cbranch_scc1 .LBB66_3
; %bb.1:
	s_wait_xcnt 0x1
	v_dual_mov_b32 v2, 16 :: v_dual_lshlrev_b32 v3, 20, v22
	v_mov_b64_e32 v[12:13], s[6:7]
	s_and_b32 vcc_lo, exec_lo, vcc_lo
	s_delay_alu instid0(VALU_DEP_2) | instskip(NEXT) | instid1(VALU_DEP_1)
	v_add_nc_u64_e32 v[2:3], src_flat_scratch_base_lo, v[2:3]
	v_cndmask_b32_e64 v3, s5, v3, s2
	s_delay_alu instid0(VALU_DEP_2)
	v_cndmask_b32_e64 v2, s4, v2, s2
	flat_load_b64 v[10:11], v[2:3]
	s_cbranch_vccnz .LBB66_3
; %bb.2:
	v_mov_b32_e32 v1, 0
	flat_load_b64 v[12:13], v1, s[4:5] offset:8
.LBB66_3:
	s_clause 0x4
	s_load_b64 s[24:25], s[0:1], 0x90
	s_load_b128 s[4:7], s[0:1], 0x70
	s_load_b128 s[8:11], s[0:1], 0x48
	;; [unrolled: 1-line block ×3, first 2 shown]
	s_load_b64 s[28:29], s[0:1], 0x30
	v_mov_b64_e32 v[8:9], 0
	s_bitcmp1_b32 s3, 8
	s_cselect_b32 s34, -1, 0
	s_bfe_u32 s3, s3, 0x10008
	s_delay_alu instid0(SALU_CYCLE_1)
	s_cmp_eq_u32 s3, 0
	s_cbranch_scc1 .LBB66_6
; %bb.4:
	v_dual_mov_b32 v2, 24 :: v_dual_lshlrev_b32 v3, 20, v22
	v_mov_b64_e32 v[6:7], s[14:15]
	s_and_not1_b32 vcc_lo, exec_lo, s26
	s_delay_alu instid0(VALU_DEP_2) | instskip(NEXT) | instid1(VALU_DEP_1)
	v_add_nc_u64_e32 v[2:3], src_flat_scratch_base_lo, v[2:3]
	v_cndmask_b32_e64 v3, s13, v3, s2
	s_delay_alu instid0(VALU_DEP_2)
	v_cndmask_b32_e64 v2, s12, v2, s2
	flat_load_b64 v[8:9], v[2:3]
	s_cbranch_vccnz .LBB66_6
; %bb.5:
	v_mov_b32_e32 v1, 0
	flat_load_b64 v[6:7], v1, s[12:13] offset:8
.LBB66_6:
	s_clause 0x4
	s_load_b32 s33, s[0:1], 0x0
	s_load_b64 s[30:31], s[0:1], 0x28
	s_load_b64 s[26:27], s[0:1], 0x80
	;; [unrolled: 1-line block ×3, first 2 shown]
	s_load_b128 s[12:15], s[0:1], 0x38
	v_lshl_add_u32 v20, v0, 2, 0
	v_lshlrev_b32_e32 v4, 4, v0
	s_wait_xcnt 0x0
	s_mov_b32 s0, 0
	v_or_b32_e32 v1, 0xfffffe00, v0
	s_mov_b32 s1, s0
	v_mov_b32_e32 v14, v20
	v_add3_u32 v21, v4, 0, 0x1000
	s_mov_b32 s36, s0
	s_mov_b32 s37, s0
	v_mov_b64_e32 v[2:3], s[0:1]
	v_mov_b64_e32 v[4:5], s[36:37]
	v_dual_mov_b32 v15, v1 :: v_dual_mov_b32 v17, v21
	s_wait_kmcnt 0x0
	v_mov_b32_e32 v16, s33
.LBB66_7:                               ; =>This Inner Loop Header: Depth=1
	s_delay_alu instid0(VALU_DEP_2)
	v_add_co_u32 v15, s1, 0x200, v15
	s_xor_b32 s1, s1, -1
	ds_store_b32 v14, v16
	ds_store_2addr_b64 v17, v[2:3], v[4:5] offset1:1
	v_add_nc_u32_e32 v17, 0x2000, v17
	v_add_nc_u32_e32 v14, 0x800, v14
	s_and_b32 s1, exec_lo, s1
	s_delay_alu instid0(SALU_CYCLE_1) | instskip(NEXT) | instid1(SALU_CYCLE_1)
	s_or_b32 s0, s1, s0
	s_and_not1_b32 exec_lo, exec_lo, s0
	s_cbranch_execnz .LBB66_7
; %bb.8:
	s_or_b32 exec_lo, exec_lo, s0
	s_wait_storecnt 0x0
	s_wait_loadcnt_dscnt 0x0
	s_barrier_signal -1
	s_barrier_wait -1
	s_load_b32 s0, s[20:21], 0x0
	s_bfe_u32 s1, ttmp6, 0x4000c
	s_wait_xcnt 0x0
	s_and_b32 s20, ttmp6, 15
	s_add_co_i32 s1, s1, 1
	s_getreg_b32 s21, hwreg(HW_REG_IB_STS2, 6, 4)
	s_mul_i32 s1, ttmp9, s1
	v_lshrrev_b32_e32 v23, 5, v0
	s_add_co_i32 s20, s20, s1
	s_cmp_eq_u32 s21, 0
	s_cselect_b32 s1, ttmp9, s20
	s_and_b32 vcc_lo, exec_lo, s35
	s_wait_kmcnt 0x0
	s_add_co_i32 s0, s0, s1
	s_load_b32 s20, s[22:23], s0 offset:0x0 scale_offset
	s_cbranch_vccz .LBB66_26
; %bb.9:
	s_wait_kmcnt 0x0
	s_ashr_i32 s21, s20, 31
	v_subrev_nc_u32_e32 v2, s16, v23
	s_lshl_b64 s[0:1], s[20:21], 2
	s_delay_alu instid0(SALU_CYCLE_1)
	s_add_nc_u64 s[0:1], s[30:31], s[0:1]
	s_load_b64 s[22:23], s[0:1], 0x0
	s_wait_xcnt 0x0
	s_mov_b32 s1, exec_lo
	s_wait_kmcnt 0x0
	v_add_nc_u32_e32 v14, s22, v2
	s_sub_co_i32 s0, s23, s16
	s_delay_alu instid0(VALU_DEP_1) | instid1(SALU_CYCLE_1)
	v_cmpx_gt_i32_e64 s0, v14
	s_cbranch_execz .LBB66_25
; %bb.10:
	v_and_b32_e32 v2, 31, v0
	s_mov_b32 s21, 0
	s_delay_alu instid0(VALU_DEP_1)
	v_subrev_nc_u32_e32 v24, s17, v2
	s_branch .LBB66_12
.LBB66_11:                              ;   in Loop: Header=BB66_12 Depth=1
	s_or_b32 exec_lo, exec_lo, s22
	v_add_nc_u32_e32 v14, 16, v14
	s_delay_alu instid0(VALU_DEP_1) | instskip(SKIP_1) | instid1(SALU_CYCLE_1)
	v_cmp_le_i32_e32 vcc_lo, s0, v14
	s_or_b32 s21, vcc_lo, s21
	s_and_not1_b32 exec_lo, exec_lo, s21
	s_cbranch_execz .LBB66_25
.LBB66_12:                              ; =>This Loop Header: Depth=1
                                        ;     Child Loop BB66_16 Depth 2
                                        ;       Child Loop BB66_19 Depth 3
	global_load_b32 v2, v14, s[28:29] scale_offset
	s_mov_b32 s22, exec_lo
	s_wait_loadcnt 0x0
	v_subrev_nc_u32_e32 v2, s16, v2
	s_delay_alu instid0(VALU_DEP_1) | instskip(NEXT) | instid1(VALU_DEP_1)
	v_ashrrev_i32_e32 v3, 31, v2
	v_lshl_add_u64 v[2:3], v[2:3], 2, s[14:15]
	global_load_b64 v[2:3], v[2:3], off
	s_wait_loadcnt 0x0
	v_subrev_nc_u32_e32 v25, s17, v3
	v_add_nc_u32_e32 v26, v2, v24
	s_wait_xcnt 0x0
	s_delay_alu instid0(VALU_DEP_1)
	v_cmpx_lt_i32_e64 v26, v25
	s_cbranch_execz .LBB66_11
; %bb.13:                               ;   in Loop: Header=BB66_12 Depth=1
	v_ashrrev_i32_e32 v15, 31, v14
	s_mov_b32 s23, 0
	s_delay_alu instid0(VALU_DEP_1) | instskip(SKIP_4) | instid1(VALU_DEP_2)
	v_lshl_add_u64 v[2:3], v[14:15], 4, s[12:13]
	global_load_b128 v[2:5], v[2:3], off
	s_wait_loadcnt 0x0
	v_mul_f64_e64 v[16:17], v[4:5], -v[12:13]
	v_mul_f64_e32 v[18:19], v[10:11], v[4:5]
	v_fmac_f64_e32 v[16:17], v[10:11], v[2:3]
	s_delay_alu instid0(VALU_DEP_2)
	v_fmac_f64_e32 v[18:19], v[12:13], v[2:3]
	s_branch .LBB66_16
.LBB66_14:                              ;   in Loop: Header=BB66_16 Depth=2
	s_or_b32 exec_lo, exec_lo, s31
.LBB66_15:                              ;   in Loop: Header=BB66_16 Depth=2
	s_delay_alu instid0(SALU_CYCLE_1) | instskip(SKIP_3) | instid1(VALU_DEP_1)
	s_or_b32 exec_lo, exec_lo, s30
	s_wait_loadcnt 0x0
	v_mul_f64_e64 v[28:29], v[4:5], -v[18:19]
	v_dual_mul_f64 v[4:5], v[16:17], v[4:5] :: v_dual_add_nc_u32 v26, 32, v26
	v_cmp_ge_i32_e32 vcc_lo, v26, v25
	s_or_b32 s23, vcc_lo, s23
	s_delay_alu instid0(VALU_DEP_3) | instskip(NEXT) | instid1(VALU_DEP_3)
	v_fmac_f64_e32 v[28:29], v[16:17], v[2:3]
	v_fmac_f64_e32 v[4:5], v[18:19], v[2:3]
	v_lshl_add_u32 v2, v15, 4, 0
	ds_add_f64 v2, v[28:29] offset:4096
	ds_add_f64 v2, v[4:5] offset:4104
	s_and_not1_b32 exec_lo, exec_lo, s23
	s_cbranch_execz .LBB66_11
.LBB66_16:                              ;   Parent Loop BB66_12 Depth=1
                                        ; =>  This Loop Header: Depth=2
                                        ;       Child Loop BB66_19 Depth 3
	s_clause 0x1
	global_load_b32 v15, v26, s[8:9] scale_offset
	global_load_b128 v[2:5], v26, s[10:11] scale_offset
	s_mov_b32 s30, exec_lo
	s_wait_loadcnt 0x1
	v_subrev_nc_u32_e32 v27, s17, v15
	s_delay_alu instid0(VALU_DEP_1) | instskip(NEXT) | instid1(VALU_DEP_1)
	v_mul_lo_u32 v15, 0x89, v27
	v_and_b32_e32 v15, 0x3ff, v15
	s_delay_alu instid0(VALU_DEP_1)
	v_lshl_add_u32 v28, v15, 2, 0
	ds_load_b32 v29, v28
	s_wait_dscnt 0x0
	s_wait_xcnt 0x0
	v_cmpx_ne_u32_e64 v29, v27
	s_cbranch_execz .LBB66_15
; %bb.17:                               ;   in Loop: Header=BB66_16 Depth=2
	s_mov_b32 s31, 0
	s_branch .LBB66_19
.LBB66_18:                              ;   in Loop: Header=BB66_19 Depth=3
	s_or_b32 exec_lo, exec_lo, s37
	s_delay_alu instid0(SALU_CYCLE_1) | instskip(NEXT) | instid1(SALU_CYCLE_1)
	s_and_b32 s35, exec_lo, s36
	s_or_b32 s31, s35, s31
	s_delay_alu instid0(SALU_CYCLE_1)
	s_and_not1_b32 exec_lo, exec_lo, s31
	s_cbranch_execz .LBB66_14
.LBB66_19:                              ;   Parent Loop BB66_12 Depth=1
                                        ;     Parent Loop BB66_16 Depth=2
                                        ; =>    This Inner Loop Header: Depth=3
	s_mov_b32 s35, 0
	s_mov_b32 s36, exec_lo
	v_cmpx_ne_u32_e64 s33, v29
	s_xor_b32 s36, exec_lo, s36
	s_cbranch_execz .LBB66_21
; %bb.20:                               ;   in Loop: Header=BB66_19 Depth=3
	v_add_nc_u32_e32 v15, 1, v15
	s_mov_b32 s35, exec_lo
                                        ; implicit-def: $vgpr28
	s_delay_alu instid0(VALU_DEP_1)
	v_and_b32_e32 v15, 0x3ff, v15
	s_and_not1_saveexec_b32 s36, s36
	s_cbranch_execz .LBB66_23
	s_branch .LBB66_22
.LBB66_21:                              ;   in Loop: Header=BB66_19 Depth=3
	s_and_not1_saveexec_b32 s36, s36
	s_cbranch_execz .LBB66_23
.LBB66_22:                              ;   in Loop: Header=BB66_19 Depth=3
	v_mov_b32_e32 v29, s33
	s_and_not1_b32 s35, s35, exec_lo
	ds_cmpstore_rtn_b32 v28, v28, v27, v29
	s_wait_dscnt 0x0
	v_cmp_ne_u32_e32 vcc_lo, s33, v28
	s_and_b32 s37, vcc_lo, exec_lo
	s_delay_alu instid0(SALU_CYCLE_1)
	s_or_b32 s35, s35, s37
.LBB66_23:                              ;   in Loop: Header=BB66_19 Depth=3
	s_or_b32 exec_lo, exec_lo, s36
	s_mov_b32 s36, -1
                                        ; implicit-def: $vgpr28
                                        ; implicit-def: $vgpr29
	s_and_saveexec_b32 s37, s35
	s_cbranch_execz .LBB66_18
; %bb.24:                               ;   in Loop: Header=BB66_19 Depth=3
	v_lshl_add_u32 v28, v15, 2, 0
	ds_load_b32 v29, v28
	s_wait_dscnt 0x0
	v_cmp_eq_u32_e32 vcc_lo, v29, v27
	s_or_not1_b32 s36, vcc_lo, exec_lo
	s_branch .LBB66_18
.LBB66_25:
	s_or_b32 exec_lo, exec_lo, s1
.LBB66_26:
	s_delay_alu instid0(SALU_CYCLE_1)
	s_and_not1_b32 vcc_lo, exec_lo, s34
	s_cbranch_vccnz .LBB66_41
; %bb.27:
	s_wait_kmcnt 0x0
	s_ashr_i32 s21, s20, 31
	v_subrev_nc_u32_e32 v2, s19, v0
	s_lshl_b64 s[0:1], s[20:21], 2
	s_delay_alu instid0(SALU_CYCLE_1)
	s_add_nc_u64 s[0:1], s[2:3], s[0:1]
	s_load_b64 s[2:3], s[0:1], 0x0
	s_wait_xcnt 0x0
	s_mov_b32 s1, exec_lo
	s_wait_kmcnt 0x0
	v_add_nc_u32_e32 v10, s2, v2
	s_sub_co_i32 s0, s3, s19
	s_delay_alu instid0(VALU_DEP_1) | instid1(SALU_CYCLE_1)
	v_cmpx_gt_i32_e64 s0, v10
	s_cbranch_execz .LBB66_40
; %bb.28:
	s_mov_b32 s2, 0
	s_branch .LBB66_31
.LBB66_29:                              ;   in Loop: Header=BB66_31 Depth=1
	s_or_b32 exec_lo, exec_lo, s8
.LBB66_30:                              ;   in Loop: Header=BB66_31 Depth=1
	s_delay_alu instid0(SALU_CYCLE_1) | instskip(SKIP_4) | instid1(VALU_DEP_1)
	s_or_b32 exec_lo, exec_lo, s3
	s_wait_loadcnt 0x0
	v_mul_f64_e64 v[12:13], v[4:5], -v[6:7]
	v_mul_f64_e32 v[4:5], v[8:9], v[4:5]
	v_add_nc_u32_e32 v10, 0x200, v10
	v_cmp_le_i32_e32 vcc_lo, s0, v10
	s_or_b32 s2, vcc_lo, s2
	s_delay_alu instid0(VALU_DEP_4) | instskip(NEXT) | instid1(VALU_DEP_4)
	v_fmac_f64_e32 v[12:13], v[8:9], v[2:3]
	v_fmac_f64_e32 v[4:5], v[6:7], v[2:3]
	v_lshl_add_u32 v2, v11, 4, 0
	ds_add_f64 v2, v[12:13] offset:4096
	ds_add_f64 v2, v[4:5] offset:4104
	s_and_not1_b32 exec_lo, exec_lo, s2
	s_cbranch_execz .LBB66_40
.LBB66_31:                              ; =>This Loop Header: Depth=1
                                        ;     Child Loop BB66_34 Depth 2
	s_clause 0x1
	global_load_b32 v11, v10, s[4:5] scale_offset
	global_load_b128 v[2:5], v10, s[6:7] scale_offset
	s_mov_b32 s3, exec_lo
	s_wait_loadcnt 0x1
	v_subrev_nc_u32_e32 v12, s19, v11
	s_delay_alu instid0(VALU_DEP_1) | instskip(NEXT) | instid1(VALU_DEP_1)
	v_mul_lo_u32 v11, 0x89, v12
	v_and_b32_e32 v11, 0x3ff, v11
	s_delay_alu instid0(VALU_DEP_1)
	v_lshl_add_u32 v13, v11, 2, 0
	ds_load_b32 v14, v13
	s_wait_dscnt 0x0
	s_wait_xcnt 0x0
	v_cmpx_ne_u32_e64 v14, v12
	s_cbranch_execz .LBB66_30
; %bb.32:                               ;   in Loop: Header=BB66_31 Depth=1
	s_mov_b32 s8, 0
	s_branch .LBB66_34
.LBB66_33:                              ;   in Loop: Header=BB66_34 Depth=2
	s_or_b32 exec_lo, exec_lo, s11
	s_delay_alu instid0(SALU_CYCLE_1) | instskip(NEXT) | instid1(SALU_CYCLE_1)
	s_and_b32 s9, exec_lo, s10
	s_or_b32 s8, s9, s8
	s_delay_alu instid0(SALU_CYCLE_1)
	s_and_not1_b32 exec_lo, exec_lo, s8
	s_cbranch_execz .LBB66_29
.LBB66_34:                              ;   Parent Loop BB66_31 Depth=1
                                        ; =>  This Inner Loop Header: Depth=2
	s_mov_b32 s9, 0
	s_mov_b32 s10, exec_lo
	v_cmpx_ne_u32_e64 s33, v14
	s_xor_b32 s10, exec_lo, s10
	s_cbranch_execz .LBB66_36
; %bb.35:                               ;   in Loop: Header=BB66_34 Depth=2
	v_add_nc_u32_e32 v11, 1, v11
	s_mov_b32 s9, exec_lo
                                        ; implicit-def: $vgpr13
	s_delay_alu instid0(VALU_DEP_1)
	v_and_b32_e32 v11, 0x3ff, v11
	s_and_not1_saveexec_b32 s10, s10
	s_cbranch_execz .LBB66_38
	s_branch .LBB66_37
.LBB66_36:                              ;   in Loop: Header=BB66_34 Depth=2
	s_and_not1_saveexec_b32 s10, s10
	s_cbranch_execz .LBB66_38
.LBB66_37:                              ;   in Loop: Header=BB66_34 Depth=2
	v_mov_b32_e32 v14, s33
	s_and_not1_b32 s9, s9, exec_lo
	ds_cmpstore_rtn_b32 v13, v13, v12, v14
	s_wait_dscnt 0x0
	v_cmp_ne_u32_e32 vcc_lo, s33, v13
	s_and_b32 s11, vcc_lo, exec_lo
	s_delay_alu instid0(SALU_CYCLE_1)
	s_or_b32 s9, s9, s11
.LBB66_38:                              ;   in Loop: Header=BB66_34 Depth=2
	s_or_b32 exec_lo, exec_lo, s10
	s_mov_b32 s10, -1
                                        ; implicit-def: $vgpr13
                                        ; implicit-def: $vgpr14
	s_and_saveexec_b32 s11, s9
	s_cbranch_execz .LBB66_33
; %bb.39:                               ;   in Loop: Header=BB66_34 Depth=2
	v_lshl_add_u32 v13, v11, 2, 0
	ds_load_b32 v14, v13
	s_wait_dscnt 0x0
	v_cmp_eq_u32_e32 vcc_lo, v14, v12
	s_or_not1_b32 s10, vcc_lo, exec_lo
	s_branch .LBB66_33
.LBB66_40:
	s_or_b32 exec_lo, exec_lo, s1
.LBB66_41:
	v_dual_mov_b32 v3, 0 :: v_dual_bitop2_b32 v2, 31, v22 bitop3:0x14
	v_lshl_add_u32 v4, v23, 2, 0
	s_wait_xcnt 0x0
	v_cmp_lt_u32_e64 s0, 31, v0
	v_cmp_lt_u32_e64 s1, 63, v0
	v_lshrrev_b32_e64 v2, v2, -1
	v_cmp_lt_u32_e64 s2, 0x5f, v0
	v_cmp_lt_u32_e64 s3, 0x7f, v0
	;; [unrolled: 1-line block ×13, first 2 shown]
	v_mov_b32_e32 v5, 0
	s_mov_b32 s16, 0
	s_wait_dscnt 0x0
	v_cmp_eq_u32_e32 vcc_lo, 0x1ff, v0
	s_barrier_signal -1
	s_barrier_wait -1
	s_branch .LBB66_43
.LBB66_42:                              ;   in Loop: Header=BB66_43 Depth=1
	s_or_b32 exec_lo, exec_lo, s15
	s_wait_dscnt 0x0
	s_barrier_signal -1
	s_barrier_wait -1
	ds_load_b32 v6, v3 offset:20540
	v_add_co_u32 v1, s15, 0x200, v1
	s_xor_b32 s15, s15, -1
	v_add_nc_u32_e32 v21, 0x2000, v21
	v_add_nc_u32_e32 v20, 0x800, v20
	s_and_b32 s15, exec_lo, s15
	s_delay_alu instid0(SALU_CYCLE_1)
	s_or_b32 s16, s15, s16
	s_wait_dscnt 0x0
	v_add_nc_u32_e32 v5, v6, v5
	s_and_not1_b32 exec_lo, exec_lo, s16
	s_cbranch_execz .LBB66_77
.LBB66_43:                              ; =>This Inner Loop Header: Depth=1
	ds_load_b32 v6, v20
	ds_load_2addr_b64 v[8:11], v21 offset1:1
	s_wait_dscnt 0x1
	v_cmp_gt_i32_e64 s15, s33, v6
	s_wait_dscnt 0x0
	scratch_store_b128 off, v[8:11], off
	s_wait_storecnt 0x0
	s_barrier_signal -1
	s_barrier_wait -1
	s_bcnt1_i32_b32 s17, s15
	s_wait_xcnt 0x0
	v_dual_mov_b32 v8, s17 :: v_dual_bitop2_b32 v7, s15, v2 bitop3:0x40
	s_delay_alu instid0(VALU_DEP_1)
	v_bcnt_u32_b32 v7, v7, 0
	ds_store_b32 v4, v8 offset:20480
	s_wait_dscnt 0x0
	s_barrier_signal -1
	s_barrier_wait -1
	s_and_saveexec_b32 s17, s0
	s_cbranch_execz .LBB66_60
; %bb.44:                               ;   in Loop: Header=BB66_43 Depth=1
	ds_load_b32 v8, v3 offset:20480
	s_wait_dscnt 0x0
	v_add_nc_u32_e32 v7, v8, v7
	s_or_b32 exec_lo, exec_lo, s17
	s_and_saveexec_b32 s17, s1
	s_cbranch_execnz .LBB66_61
.LBB66_45:                              ;   in Loop: Header=BB66_43 Depth=1
	s_or_b32 exec_lo, exec_lo, s17
	s_and_saveexec_b32 s17, s2
	s_cbranch_execz .LBB66_62
.LBB66_46:                              ;   in Loop: Header=BB66_43 Depth=1
	ds_load_b32 v8, v3 offset:20488
	s_wait_dscnt 0x0
	v_add_nc_u32_e32 v7, v8, v7
	s_or_b32 exec_lo, exec_lo, s17
	s_and_saveexec_b32 s17, s3
	s_cbranch_execnz .LBB66_63
.LBB66_47:                              ;   in Loop: Header=BB66_43 Depth=1
	s_or_b32 exec_lo, exec_lo, s17
	s_and_saveexec_b32 s17, s4
	s_cbranch_execz .LBB66_64
.LBB66_48:                              ;   in Loop: Header=BB66_43 Depth=1
	ds_load_b32 v8, v3 offset:20496
	s_wait_dscnt 0x0
	v_add_nc_u32_e32 v7, v8, v7
	s_or_b32 exec_lo, exec_lo, s17
	s_and_saveexec_b32 s17, s5
	s_cbranch_execnz .LBB66_65
.LBB66_49:                              ;   in Loop: Header=BB66_43 Depth=1
	s_or_b32 exec_lo, exec_lo, s17
	s_and_saveexec_b32 s17, s6
	s_cbranch_execz .LBB66_66
.LBB66_50:                              ;   in Loop: Header=BB66_43 Depth=1
	ds_load_b32 v8, v3 offset:20504
	s_wait_dscnt 0x0
	v_add_nc_u32_e32 v7, v8, v7
	s_or_b32 exec_lo, exec_lo, s17
	s_and_saveexec_b32 s17, s7
	s_cbranch_execnz .LBB66_67
.LBB66_51:                              ;   in Loop: Header=BB66_43 Depth=1
	s_or_b32 exec_lo, exec_lo, s17
	s_and_saveexec_b32 s17, s8
	s_cbranch_execz .LBB66_68
.LBB66_52:                              ;   in Loop: Header=BB66_43 Depth=1
	ds_load_b32 v8, v3 offset:20512
	s_wait_dscnt 0x0
	v_add_nc_u32_e32 v7, v8, v7
	s_or_b32 exec_lo, exec_lo, s17
	s_and_saveexec_b32 s17, s9
	s_cbranch_execnz .LBB66_69
.LBB66_53:                              ;   in Loop: Header=BB66_43 Depth=1
	s_or_b32 exec_lo, exec_lo, s17
	s_and_saveexec_b32 s17, s10
	s_cbranch_execz .LBB66_70
.LBB66_54:                              ;   in Loop: Header=BB66_43 Depth=1
	ds_load_b32 v8, v3 offset:20520
	s_wait_dscnt 0x0
	v_add_nc_u32_e32 v7, v8, v7
	s_or_b32 exec_lo, exec_lo, s17
	s_and_saveexec_b32 s17, s11
	s_cbranch_execnz .LBB66_71
.LBB66_55:                              ;   in Loop: Header=BB66_43 Depth=1
	s_or_b32 exec_lo, exec_lo, s17
	s_and_saveexec_b32 s17, s12
	s_cbranch_execz .LBB66_72
.LBB66_56:                              ;   in Loop: Header=BB66_43 Depth=1
	ds_load_b32 v8, v3 offset:20528
	s_wait_dscnt 0x0
	v_add_nc_u32_e32 v7, v8, v7
	s_or_b32 exec_lo, exec_lo, s17
	s_and_saveexec_b32 s17, s13
	s_cbranch_execnz .LBB66_73
.LBB66_57:                              ;   in Loop: Header=BB66_43 Depth=1
	s_or_b32 exec_lo, exec_lo, s17
	s_and_saveexec_b32 s17, s14
	s_cbranch_execz .LBB66_74
.LBB66_58:                              ;   in Loop: Header=BB66_43 Depth=1
	ds_load_b32 v8, v3 offset:20536
	s_wait_dscnt 0x0
	v_add_nc_u32_e32 v7, v8, v7
	s_or_b32 exec_lo, exec_lo, s17
	s_and_saveexec_b32 s17, s15
	s_cbranch_execnz .LBB66_75
.LBB66_59:                              ;   in Loop: Header=BB66_43 Depth=1
	s_or_b32 exec_lo, exec_lo, s17
	s_and_saveexec_b32 s15, vcc_lo
	s_cbranch_execz .LBB66_42
	s_branch .LBB66_76
.LBB66_60:                              ;   in Loop: Header=BB66_43 Depth=1
	s_or_b32 exec_lo, exec_lo, s17
	s_and_saveexec_b32 s17, s1
	s_cbranch_execz .LBB66_45
.LBB66_61:                              ;   in Loop: Header=BB66_43 Depth=1
	ds_load_b32 v8, v3 offset:20484
	s_wait_dscnt 0x0
	v_add_nc_u32_e32 v7, v8, v7
	s_or_b32 exec_lo, exec_lo, s17
	s_and_saveexec_b32 s17, s2
	s_cbranch_execnz .LBB66_46
.LBB66_62:                              ;   in Loop: Header=BB66_43 Depth=1
	s_or_b32 exec_lo, exec_lo, s17
	s_and_saveexec_b32 s17, s3
	s_cbranch_execz .LBB66_47
.LBB66_63:                              ;   in Loop: Header=BB66_43 Depth=1
	ds_load_b32 v8, v3 offset:20492
	s_wait_dscnt 0x0
	v_add_nc_u32_e32 v7, v8, v7
	s_or_b32 exec_lo, exec_lo, s17
	s_and_saveexec_b32 s17, s4
	s_cbranch_execnz .LBB66_48
.LBB66_64:                              ;   in Loop: Header=BB66_43 Depth=1
	s_or_b32 exec_lo, exec_lo, s17
	s_and_saveexec_b32 s17, s5
	s_cbranch_execz .LBB66_49
.LBB66_65:                              ;   in Loop: Header=BB66_43 Depth=1
	ds_load_b32 v8, v3 offset:20500
	s_wait_dscnt 0x0
	v_add_nc_u32_e32 v7, v8, v7
	s_or_b32 exec_lo, exec_lo, s17
	s_and_saveexec_b32 s17, s6
	s_cbranch_execnz .LBB66_50
.LBB66_66:                              ;   in Loop: Header=BB66_43 Depth=1
	s_or_b32 exec_lo, exec_lo, s17
	s_and_saveexec_b32 s17, s7
	s_cbranch_execz .LBB66_51
.LBB66_67:                              ;   in Loop: Header=BB66_43 Depth=1
	ds_load_b32 v8, v3 offset:20508
	s_wait_dscnt 0x0
	v_add_nc_u32_e32 v7, v8, v7
	s_or_b32 exec_lo, exec_lo, s17
	s_and_saveexec_b32 s17, s8
	s_cbranch_execnz .LBB66_52
.LBB66_68:                              ;   in Loop: Header=BB66_43 Depth=1
	s_or_b32 exec_lo, exec_lo, s17
	s_and_saveexec_b32 s17, s9
	s_cbranch_execz .LBB66_53
.LBB66_69:                              ;   in Loop: Header=BB66_43 Depth=1
	ds_load_b32 v8, v3 offset:20516
	s_wait_dscnt 0x0
	v_add_nc_u32_e32 v7, v8, v7
	s_or_b32 exec_lo, exec_lo, s17
	s_and_saveexec_b32 s17, s10
	s_cbranch_execnz .LBB66_54
.LBB66_70:                              ;   in Loop: Header=BB66_43 Depth=1
	s_or_b32 exec_lo, exec_lo, s17
	s_and_saveexec_b32 s17, s11
	s_cbranch_execz .LBB66_55
.LBB66_71:                              ;   in Loop: Header=BB66_43 Depth=1
	ds_load_b32 v8, v3 offset:20524
	s_wait_dscnt 0x0
	v_add_nc_u32_e32 v7, v8, v7
	s_or_b32 exec_lo, exec_lo, s17
	s_and_saveexec_b32 s17, s12
	s_cbranch_execnz .LBB66_56
.LBB66_72:                              ;   in Loop: Header=BB66_43 Depth=1
	s_or_b32 exec_lo, exec_lo, s17
	s_and_saveexec_b32 s17, s13
	s_cbranch_execz .LBB66_57
.LBB66_73:                              ;   in Loop: Header=BB66_43 Depth=1
	ds_load_b32 v8, v3 offset:20532
	s_wait_dscnt 0x0
	v_add_nc_u32_e32 v7, v8, v7
	s_or_b32 exec_lo, exec_lo, s17
	s_and_saveexec_b32 s17, s14
	s_cbranch_execnz .LBB66_58
.LBB66_74:                              ;   in Loop: Header=BB66_43 Depth=1
	s_or_b32 exec_lo, exec_lo, s17
	s_and_saveexec_b32 s17, s15
	s_cbranch_execz .LBB66_59
.LBB66_75:                              ;   in Loop: Header=BB66_43 Depth=1
	scratch_load_b128 v[8:11], off, off
	v_add3_u32 v12, v5, -1, v7
	v_add_lshl_u32 v13, v5, v7, 4
	s_delay_alu instid0(VALU_DEP_2) | instskip(NEXT) | instid1(VALU_DEP_2)
	v_lshl_add_u32 v12, v12, 2, 0
	v_add3_u32 v13, 0, v13, 0xff0
	ds_store_b32 v12, v6
	s_wait_loadcnt 0x0
	ds_store_2addr_b64 v13, v[8:9], v[10:11] offset1:1
	s_or_b32 exec_lo, exec_lo, s17
	s_and_saveexec_b32 s15, vcc_lo
	s_cbranch_execz .LBB66_42
.LBB66_76:                              ;   in Loop: Header=BB66_43 Depth=1
	ds_store_b32 v3, v7 offset:20540
	s_branch .LBB66_42
.LBB66_77:
	s_or_b32 exec_lo, exec_lo, s16
	s_wait_kmcnt 0x0
	s_ashr_i32 s21, s20, 31
	s_delay_alu instid0(SALU_CYCLE_1) | instskip(NEXT) | instid1(SALU_CYCLE_1)
	s_lshl_b64 s[0:1], s[20:21], 2
	s_add_nc_u64 s[2:3], s[26:27], s[0:1]
	s_load_b64 s[0:1], s[2:3], 0x0
	s_wait_kmcnt 0x0
	s_sub_co_i32 s4, s1, s0
	s_mov_b32 s1, exec_lo
	v_cmpx_gt_i32_e64 s4, v0
	s_cbranch_execz .LBB66_91
; %bb.78:
	v_sub_co_u32 v1, s1, s4, 2
	s_sub_co_i32 s2, s0, s18
	s_xor_b32 s6, s1, -1
	s_and_b32 s5, s4, -2
	v_readfirstlane_b32 s3, v1
	s_lshr_b32 s0, s3, 1
	s_mov_b32 s3, 0
	s_add_co_i32 s0, s0, 1
	s_mov_b32 s11, s3
	s_and_b32 s1, s0, 7
	s_and_b32 s7, s0, -8
	s_cmp_lg_u32 s1, 0
	v_cmp_lt_u32_e64 s0, 13, v1
	s_cselect_b32 s8, -1, 0
	s_cmp_lg_u32 s4, s5
	s_cselect_b32 s9, -1, 0
	s_lshl_b32 s10, s1, 3
	s_branch .LBB66_80
.LBB66_79:                              ;   in Loop: Header=BB66_80 Depth=1
	v_mul_lo_u32 v3, v0, 12
	v_add_nc_u32_e32 v0, 0x200, v0
	s_delay_alu instid0(VALU_DEP_1) | instskip(SKIP_1) | instid1(VALU_DEP_3)
	v_cmp_le_i32_e32 vcc_lo, s4, v0
	s_or_b32 s11, vcc_lo, s11
	v_add3_u32 v1, v1, v3, 0x1000
	s_wait_dscnt 0x0
	ds_load_2addr_b64 v[4:7], v1 offset1:1
	s_wait_dscnt 0x0
	global_store_b128 v2, v[4:7], s[24:25] scale_offset
	s_wait_xcnt 0x0
	s_and_not1_b32 exec_lo, exec_lo, s11
	s_cbranch_execz .LBB66_91
.LBB66_80:                              ; =>This Loop Header: Depth=1
                                        ;     Child Loop BB66_83 Depth 2
                                        ;     Child Loop BB66_86 Depth 2
	;; [unrolled: 1-line block ×3, first 2 shown]
	v_lshl_add_u32 v1, v0, 2, 0
	v_mov_b32_e32 v2, s2
	s_and_not1_b32 vcc_lo, exec_lo, s6
	s_mov_b32 s1, 0
	s_mov_b32 s12, -1
	ds_load_b32 v4, v1
	s_cbranch_vccnz .LBB66_88
; %bb.81:                               ;   in Loop: Header=BB66_80 Depth=1
	v_mov_b64_e32 v[2:3], s[2:3]
	s_and_not1_b32 vcc_lo, exec_lo, s0
	s_mov_b32 s12, 0
	s_cbranch_vccnz .LBB66_84
; %bb.82:                               ;   in Loop: Header=BB66_80 Depth=1
	v_dual_mov_b32 v2, s2 :: v_dual_mov_b32 v3, 0
	s_mov_b32 s13, 0
	s_mov_b32 s14, s7
.LBB66_83:                              ;   Parent Loop BB66_80 Depth=1
                                        ; =>  This Inner Loop Header: Depth=2
	v_mov_b32_e32 v5, s13
	s_add_co_i32 s14, s14, -8
	s_add_co_i32 s12, s12, 16
	s_add_co_i32 s13, s13, 64
	s_cmp_lg_u32 s14, 0
	ds_load_2addr_b32 v[6:7], v5 offset1:1
	ds_load_2addr_b32 v[8:9], v5 offset0:2 offset1:3
	ds_load_2addr_b32 v[10:11], v5 offset0:4 offset1:5
	;; [unrolled: 1-line block ×7, first 2 shown]
	s_wait_dscnt 0x7
	v_cmp_gt_i32_e32 vcc_lo, v4, v7
	s_wait_dscnt 0x5
	v_cmp_gt_i32_e64 s1, v4, v10
	v_cndmask_b32_e64 v5, 0, 1, vcc_lo
	v_cmp_gt_i32_e32 vcc_lo, v4, v6
	s_delay_alu instid0(VALU_DEP_3) | instskip(SKIP_3) | instid1(VALU_DEP_3)
	v_cndmask_b32_e64 v7, 0, 1, s1
	v_cmp_gt_i32_e64 s1, v4, v11
	v_cndmask_b32_e64 v6, 0, 1, vcc_lo
	v_cmp_gt_i32_e32 vcc_lo, v4, v8
	v_cndmask_b32_e64 v8, 0, 1, s1
	s_wait_dscnt 0x4
	v_cmp_gt_i32_e64 s1, v4, v13
	v_add_co_ci_u32_e64 v2, null, v2, v6, vcc_lo
	s_delay_alu instid0(VALU_DEP_2) | instskip(SKIP_3) | instid1(VALU_DEP_2)
	v_cndmask_b32_e64 v10, 0, 1, s1
	v_cmp_gt_i32_e64 s1, v4, v12
	s_wait_dscnt 0x2
	v_cmp_gt_i32_e32 vcc_lo, v4, v16
	v_cndmask_b32_e64 v11, 0, 1, s1
	v_cmp_gt_i32_e64 s1, v4, v14
	v_add_co_ci_u32_e64 v2, null, v2, v7, vcc_lo
	s_wait_dscnt 0x1
	v_cmp_gt_i32_e32 vcc_lo, v4, v18
	s_delay_alu instid0(VALU_DEP_3) | instskip(SKIP_4) | instid1(VALU_DEP_3)
	v_cndmask_b32_e64 v12, 0, 1, s1
	v_cmp_gt_i32_e64 s1, v4, v15
	v_add_co_ci_u32_e64 v2, null, v2, v11, vcc_lo
	s_wait_dscnt 0x0
	v_cmp_gt_i32_e32 vcc_lo, v4, v20
	v_cndmask_b32_e64 v13, 0, 1, s1
	v_cmp_gt_i32_e64 s1, v4, v9
	v_add_co_ci_u32_e64 v2, null, v2, v12, vcc_lo
	s_delay_alu instid0(VALU_DEP_2) | instskip(SKIP_1) | instid1(VALU_DEP_1)
	v_add_co_ci_u32_e64 v3, null, v3, v5, s1
	v_cmp_gt_i32_e64 s1, v4, v17
	v_add_co_ci_u32_e64 v3, null, v3, v8, s1
	v_cmp_gt_i32_e64 s1, v4, v19
	s_delay_alu instid0(VALU_DEP_1) | instskip(SKIP_1) | instid1(VALU_DEP_1)
	v_add_co_ci_u32_e64 v3, null, v3, v10, s1
	v_cmp_gt_i32_e64 s1, v4, v21
	v_add_co_ci_u32_e64 v3, null, v3, v13, s1
	s_cbranch_scc1 .LBB66_83
.LBB66_84:                              ;   in Loop: Header=BB66_80 Depth=1
	s_and_not1_b32 vcc_lo, exec_lo, s8
	s_cbranch_vccnz .LBB66_87
; %bb.85:                               ;   in Loop: Header=BB66_80 Depth=1
	s_lshl_b32 s1, s12, 2
	s_mov_b32 s12, s10
	s_add_co_i32 s1, s1, 0
.LBB66_86:                              ;   Parent Loop BB66_80 Depth=1
                                        ; =>  This Inner Loop Header: Depth=2
	s_delay_alu instid0(SALU_CYCLE_1)
	v_mov_b32_e32 v5, s1
	s_add_co_i32 s12, s12, -8
	s_add_co_i32 s1, s1, 8
	s_cmp_lg_u32 s12, 0
	ds_load_2addr_b32 v[6:7], v5 offset1:1
	s_wait_dscnt 0x0
	v_cmp_gt_i32_e32 vcc_lo, v4, v7
	v_add_co_ci_u32_e64 v3, null, 0, v3, vcc_lo
	v_cmp_gt_i32_e32 vcc_lo, v4, v6
	v_add_co_ci_u32_e64 v2, null, 0, v2, vcc_lo
	s_cbranch_scc1 .LBB66_86
.LBB66_87:                              ;   in Loop: Header=BB66_80 Depth=1
	s_delay_alu instid0(VALU_DEP_1)
	v_add_nc_u32_e32 v2, v2, v3
	s_mov_b32 s1, s5
	s_mov_b32 s12, s9
.LBB66_88:                              ;   in Loop: Header=BB66_80 Depth=1
	s_delay_alu instid0(SALU_CYCLE_1)
	s_and_b32 vcc_lo, exec_lo, s12
	s_cbranch_vccz .LBB66_79
; %bb.89:                               ;   in Loop: Header=BB66_80 Depth=1
	s_lshl_b32 s12, s1, 2
	s_delay_alu instid0(SALU_CYCLE_1)
	s_add_co_i32 s12, s12, 0
.LBB66_90:                              ;   Parent Loop BB66_80 Depth=1
                                        ; =>  This Inner Loop Header: Depth=2
	s_delay_alu instid0(SALU_CYCLE_1)
	v_mov_b32_e32 v3, s12
	s_add_co_i32 s1, s1, 1
	s_add_co_i32 s12, s12, 4
	s_cmp_ge_i32 s1, s4
	ds_load_b32 v3, v3
	s_wait_dscnt 0x0
	v_cmp_gt_i32_e32 vcc_lo, v4, v3
	v_add_co_ci_u32_e64 v2, null, 0, v2, vcc_lo
	s_cbranch_scc0 .LBB66_90
	s_branch .LBB66_79
.LBB66_91:
	s_endpgm
	.section	.rodata,"a",@progbits
	.p2align	6, 0x0
	.amdhsa_kernel _ZN9rocsparseL41csrgemm_numeric_fill_block_per_row_kernelILj512ELj32ELj1024ELj137ELj32Eii21rocsparse_complex_numIdEEEvT5_PKS3_S5_NS_24const_host_device_scalarIT6_EEPKT4_S5_PKS7_SB_S5_SD_S8_SB_S5_SD_SB_S5_PS7_21rocsparse_index_base_SF_SF_SF_bbb
		.amdhsa_group_segment_fixed_size 0
		.amdhsa_private_segment_fixed_size 40
		.amdhsa_kernarg_size 172
		.amdhsa_user_sgpr_count 2
		.amdhsa_user_sgpr_dispatch_ptr 0
		.amdhsa_user_sgpr_queue_ptr 0
		.amdhsa_user_sgpr_kernarg_segment_ptr 1
		.amdhsa_user_sgpr_dispatch_id 0
		.amdhsa_user_sgpr_kernarg_preload_length 0
		.amdhsa_user_sgpr_kernarg_preload_offset 0
		.amdhsa_user_sgpr_private_segment_size 0
		.amdhsa_wavefront_size32 1
		.amdhsa_uses_dynamic_stack 0
		.amdhsa_enable_private_segment 1
		.amdhsa_system_sgpr_workgroup_id_x 1
		.amdhsa_system_sgpr_workgroup_id_y 0
		.amdhsa_system_sgpr_workgroup_id_z 0
		.amdhsa_system_sgpr_workgroup_info 0
		.amdhsa_system_vgpr_workitem_id 0
		.amdhsa_next_free_vgpr 30
		.amdhsa_next_free_sgpr 38
		.amdhsa_named_barrier_count 0
		.amdhsa_reserve_vcc 1
		.amdhsa_float_round_mode_32 0
		.amdhsa_float_round_mode_16_64 0
		.amdhsa_float_denorm_mode_32 3
		.amdhsa_float_denorm_mode_16_64 3
		.amdhsa_fp16_overflow 0
		.amdhsa_memory_ordered 1
		.amdhsa_forward_progress 1
		.amdhsa_inst_pref_size 30
		.amdhsa_round_robin_scheduling 0
		.amdhsa_exception_fp_ieee_invalid_op 0
		.amdhsa_exception_fp_denorm_src 0
		.amdhsa_exception_fp_ieee_div_zero 0
		.amdhsa_exception_fp_ieee_overflow 0
		.amdhsa_exception_fp_ieee_underflow 0
		.amdhsa_exception_fp_ieee_inexact 0
		.amdhsa_exception_int_div_zero 0
	.end_amdhsa_kernel
	.section	.text._ZN9rocsparseL41csrgemm_numeric_fill_block_per_row_kernelILj512ELj32ELj1024ELj137ELj32Eii21rocsparse_complex_numIdEEEvT5_PKS3_S5_NS_24const_host_device_scalarIT6_EEPKT4_S5_PKS7_SB_S5_SD_S8_SB_S5_SD_SB_S5_PS7_21rocsparse_index_base_SF_SF_SF_bbb,"axG",@progbits,_ZN9rocsparseL41csrgemm_numeric_fill_block_per_row_kernelILj512ELj32ELj1024ELj137ELj32Eii21rocsparse_complex_numIdEEEvT5_PKS3_S5_NS_24const_host_device_scalarIT6_EEPKT4_S5_PKS7_SB_S5_SD_S8_SB_S5_SD_SB_S5_PS7_21rocsparse_index_base_SF_SF_SF_bbb,comdat
.Lfunc_end66:
	.size	_ZN9rocsparseL41csrgemm_numeric_fill_block_per_row_kernelILj512ELj32ELj1024ELj137ELj32Eii21rocsparse_complex_numIdEEEvT5_PKS3_S5_NS_24const_host_device_scalarIT6_EEPKT4_S5_PKS7_SB_S5_SD_S8_SB_S5_SD_SB_S5_PS7_21rocsparse_index_base_SF_SF_SF_bbb, .Lfunc_end66-_ZN9rocsparseL41csrgemm_numeric_fill_block_per_row_kernelILj512ELj32ELj1024ELj137ELj32Eii21rocsparse_complex_numIdEEEvT5_PKS3_S5_NS_24const_host_device_scalarIT6_EEPKT4_S5_PKS7_SB_S5_SD_S8_SB_S5_SD_SB_S5_PS7_21rocsparse_index_base_SF_SF_SF_bbb
                                        ; -- End function
	.set _ZN9rocsparseL41csrgemm_numeric_fill_block_per_row_kernelILj512ELj32ELj1024ELj137ELj32Eii21rocsparse_complex_numIdEEEvT5_PKS3_S5_NS_24const_host_device_scalarIT6_EEPKT4_S5_PKS7_SB_S5_SD_S8_SB_S5_SD_SB_S5_PS7_21rocsparse_index_base_SF_SF_SF_bbb.num_vgpr, 30
	.set _ZN9rocsparseL41csrgemm_numeric_fill_block_per_row_kernelILj512ELj32ELj1024ELj137ELj32Eii21rocsparse_complex_numIdEEEvT5_PKS3_S5_NS_24const_host_device_scalarIT6_EEPKT4_S5_PKS7_SB_S5_SD_S8_SB_S5_SD_SB_S5_PS7_21rocsparse_index_base_SF_SF_SF_bbb.num_agpr, 0
	.set _ZN9rocsparseL41csrgemm_numeric_fill_block_per_row_kernelILj512ELj32ELj1024ELj137ELj32Eii21rocsparse_complex_numIdEEEvT5_PKS3_S5_NS_24const_host_device_scalarIT6_EEPKT4_S5_PKS7_SB_S5_SD_S8_SB_S5_SD_SB_S5_PS7_21rocsparse_index_base_SF_SF_SF_bbb.numbered_sgpr, 38
	.set _ZN9rocsparseL41csrgemm_numeric_fill_block_per_row_kernelILj512ELj32ELj1024ELj137ELj32Eii21rocsparse_complex_numIdEEEvT5_PKS3_S5_NS_24const_host_device_scalarIT6_EEPKT4_S5_PKS7_SB_S5_SD_S8_SB_S5_SD_SB_S5_PS7_21rocsparse_index_base_SF_SF_SF_bbb.num_named_barrier, 0
	.set _ZN9rocsparseL41csrgemm_numeric_fill_block_per_row_kernelILj512ELj32ELj1024ELj137ELj32Eii21rocsparse_complex_numIdEEEvT5_PKS3_S5_NS_24const_host_device_scalarIT6_EEPKT4_S5_PKS7_SB_S5_SD_S8_SB_S5_SD_SB_S5_PS7_21rocsparse_index_base_SF_SF_SF_bbb.private_seg_size, 40
	.set _ZN9rocsparseL41csrgemm_numeric_fill_block_per_row_kernelILj512ELj32ELj1024ELj137ELj32Eii21rocsparse_complex_numIdEEEvT5_PKS3_S5_NS_24const_host_device_scalarIT6_EEPKT4_S5_PKS7_SB_S5_SD_S8_SB_S5_SD_SB_S5_PS7_21rocsparse_index_base_SF_SF_SF_bbb.uses_vcc, 1
	.set _ZN9rocsparseL41csrgemm_numeric_fill_block_per_row_kernelILj512ELj32ELj1024ELj137ELj32Eii21rocsparse_complex_numIdEEEvT5_PKS3_S5_NS_24const_host_device_scalarIT6_EEPKT4_S5_PKS7_SB_S5_SD_S8_SB_S5_SD_SB_S5_PS7_21rocsparse_index_base_SF_SF_SF_bbb.uses_flat_scratch, 1
	.set _ZN9rocsparseL41csrgemm_numeric_fill_block_per_row_kernelILj512ELj32ELj1024ELj137ELj32Eii21rocsparse_complex_numIdEEEvT5_PKS3_S5_NS_24const_host_device_scalarIT6_EEPKT4_S5_PKS7_SB_S5_SD_S8_SB_S5_SD_SB_S5_PS7_21rocsparse_index_base_SF_SF_SF_bbb.has_dyn_sized_stack, 0
	.set _ZN9rocsparseL41csrgemm_numeric_fill_block_per_row_kernelILj512ELj32ELj1024ELj137ELj32Eii21rocsparse_complex_numIdEEEvT5_PKS3_S5_NS_24const_host_device_scalarIT6_EEPKT4_S5_PKS7_SB_S5_SD_S8_SB_S5_SD_SB_S5_PS7_21rocsparse_index_base_SF_SF_SF_bbb.has_recursion, 0
	.set _ZN9rocsparseL41csrgemm_numeric_fill_block_per_row_kernelILj512ELj32ELj1024ELj137ELj32Eii21rocsparse_complex_numIdEEEvT5_PKS3_S5_NS_24const_host_device_scalarIT6_EEPKT4_S5_PKS7_SB_S5_SD_S8_SB_S5_SD_SB_S5_PS7_21rocsparse_index_base_SF_SF_SF_bbb.has_indirect_call, 0
	.section	.AMDGPU.csdata,"",@progbits
; Kernel info:
; codeLenInByte = 3752
; TotalNumSgprs: 40
; NumVgprs: 30
; ScratchSize: 40
; MemoryBound: 0
; FloatMode: 240
; IeeeMode: 1
; LDSByteSize: 0 bytes/workgroup (compile time only)
; SGPRBlocks: 0
; VGPRBlocks: 1
; NumSGPRsForWavesPerEU: 40
; NumVGPRsForWavesPerEU: 30
; NamedBarCnt: 0
; Occupancy: 16
; WaveLimiterHint : 1
; COMPUTE_PGM_RSRC2:SCRATCH_EN: 1
; COMPUTE_PGM_RSRC2:USER_SGPR: 2
; COMPUTE_PGM_RSRC2:TRAP_HANDLER: 0
; COMPUTE_PGM_RSRC2:TGID_X_EN: 1
; COMPUTE_PGM_RSRC2:TGID_Y_EN: 0
; COMPUTE_PGM_RSRC2:TGID_Z_EN: 0
; COMPUTE_PGM_RSRC2:TIDIG_COMP_CNT: 0
	.section	.text._ZN9rocsparseL41csrgemm_numeric_fill_block_per_row_kernelILj512ELj32ELj1024ELj137ELj64Eii21rocsparse_complex_numIdEEEvT5_PKS3_S5_NS_24const_host_device_scalarIT6_EEPKT4_S5_PKS7_SB_S5_SD_S8_SB_S5_SD_SB_S5_PS7_21rocsparse_index_base_SF_SF_SF_bbb,"axG",@progbits,_ZN9rocsparseL41csrgemm_numeric_fill_block_per_row_kernelILj512ELj32ELj1024ELj137ELj64Eii21rocsparse_complex_numIdEEEvT5_PKS3_S5_NS_24const_host_device_scalarIT6_EEPKT4_S5_PKS7_SB_S5_SD_S8_SB_S5_SD_SB_S5_PS7_21rocsparse_index_base_SF_SF_SF_bbb,comdat
	.globl	_ZN9rocsparseL41csrgemm_numeric_fill_block_per_row_kernelILj512ELj32ELj1024ELj137ELj64Eii21rocsparse_complex_numIdEEEvT5_PKS3_S5_NS_24const_host_device_scalarIT6_EEPKT4_S5_PKS7_SB_S5_SD_S8_SB_S5_SD_SB_S5_PS7_21rocsparse_index_base_SF_SF_SF_bbb ; -- Begin function _ZN9rocsparseL41csrgemm_numeric_fill_block_per_row_kernelILj512ELj32ELj1024ELj137ELj64Eii21rocsparse_complex_numIdEEEvT5_PKS3_S5_NS_24const_host_device_scalarIT6_EEPKT4_S5_PKS7_SB_S5_SD_S8_SB_S5_SD_SB_S5_PS7_21rocsparse_index_base_SF_SF_SF_bbb
	.p2align	8
	.type	_ZN9rocsparseL41csrgemm_numeric_fill_block_per_row_kernelILj512ELj32ELj1024ELj137ELj64Eii21rocsparse_complex_numIdEEEvT5_PKS3_S5_NS_24const_host_device_scalarIT6_EEPKT4_S5_PKS7_SB_S5_SD_S8_SB_S5_SD_SB_S5_PS7_21rocsparse_index_base_SF_SF_SF_bbb,@function
_ZN9rocsparseL41csrgemm_numeric_fill_block_per_row_kernelILj512ELj32ELj1024ELj137ELj64Eii21rocsparse_complex_numIdEEEvT5_PKS3_S5_NS_24const_host_device_scalarIT6_EEPKT4_S5_PKS7_SB_S5_SD_S8_SB_S5_SD_SB_S5_PS7_21rocsparse_index_base_SF_SF_SF_bbb: ; @_ZN9rocsparseL41csrgemm_numeric_fill_block_per_row_kernelILj512ELj32ELj1024ELj137ELj64Eii21rocsparse_complex_numIdEEEvT5_PKS3_S5_NS_24const_host_device_scalarIT6_EEPKT4_S5_PKS7_SB_S5_SD_S8_SB_S5_SD_SB_S5_PS7_21rocsparse_index_base_SF_SF_SF_bbb
; %bb.0:
	s_clause 0x3
	s_load_b32 s3, s[0:1], 0xa8
	s_load_b128 s[4:7], s[0:1], 0x18
	s_load_b128 s[16:19], s[0:1], 0x58
	;; [unrolled: 1-line block ×3, first 2 shown]
	v_mov_b64_e32 v[6:7], 0
	v_mov_b64_e32 v[10:11], 0
	v_mov_b64_e32 v[12:13], 0
	v_mbcnt_lo_u32_b32 v22, -1, 0
	s_wait_kmcnt 0x0
	s_bitcmp1_b32 s3, 0
	v_mov_b64_e32 v[2:3], s[4:5]
	s_cselect_b32 s35, -1, 0
	s_bitcmp1_b32 s3, 16
	v_mov_b64_e32 v[4:5], s[16:17]
	s_cselect_b32 s2, -1, 0
	s_clause 0x1
	scratch_store_b64 off, v[2:3], off offset:16
	scratch_store_b64 off, v[4:5], off offset:24
	s_xor_b32 s26, s2, -1
	s_bitcmp0_b32 s3, 0
	v_cndmask_b32_e64 v1, 0, 1, s26
	s_delay_alu instid0(VALU_DEP_1)
	v_cmp_ne_u32_e32 vcc_lo, 1, v1
	s_cbranch_scc1 .LBB67_3
; %bb.1:
	s_wait_xcnt 0x1
	v_dual_mov_b32 v2, 16 :: v_dual_lshlrev_b32 v3, 20, v22
	v_mov_b64_e32 v[12:13], s[6:7]
	s_and_b32 vcc_lo, exec_lo, vcc_lo
	s_delay_alu instid0(VALU_DEP_2) | instskip(NEXT) | instid1(VALU_DEP_1)
	v_add_nc_u64_e32 v[2:3], src_flat_scratch_base_lo, v[2:3]
	v_cndmask_b32_e64 v3, s5, v3, s2
	s_delay_alu instid0(VALU_DEP_2)
	v_cndmask_b32_e64 v2, s4, v2, s2
	flat_load_b64 v[10:11], v[2:3]
	s_cbranch_vccnz .LBB67_3
; %bb.2:
	v_mov_b32_e32 v1, 0
	flat_load_b64 v[12:13], v1, s[4:5] offset:8
.LBB67_3:
	s_clause 0x4
	s_load_b64 s[24:25], s[0:1], 0x90
	s_load_b128 s[4:7], s[0:1], 0x70
	s_load_b128 s[12:15], s[0:1], 0x48
	;; [unrolled: 1-line block ×3, first 2 shown]
	s_load_b64 s[28:29], s[0:1], 0x30
	v_mov_b64_e32 v[8:9], 0
	s_bitcmp1_b32 s3, 8
	s_cselect_b32 s34, -1, 0
	s_bfe_u32 s3, s3, 0x10008
	s_delay_alu instid0(SALU_CYCLE_1)
	s_cmp_eq_u32 s3, 0
	s_cbranch_scc1 .LBB67_6
; %bb.4:
	v_dual_mov_b32 v2, 24 :: v_dual_lshlrev_b32 v3, 20, v22
	v_mov_b64_e32 v[6:7], s[18:19]
	s_and_not1_b32 vcc_lo, exec_lo, s26
	s_delay_alu instid0(VALU_DEP_2) | instskip(NEXT) | instid1(VALU_DEP_1)
	v_add_nc_u64_e32 v[2:3], src_flat_scratch_base_lo, v[2:3]
	v_cndmask_b32_e64 v3, s17, v3, s2
	s_delay_alu instid0(VALU_DEP_2)
	v_cndmask_b32_e64 v2, s16, v2, s2
	flat_load_b64 v[8:9], v[2:3]
	s_cbranch_vccnz .LBB67_6
; %bb.5:
	v_mov_b32_e32 v1, 0
	flat_load_b64 v[6:7], v1, s[16:17] offset:8
.LBB67_6:
	s_clause 0x4
	s_load_b32 s33, s[0:1], 0x0
	s_load_b64 s[30:31], s[0:1], 0x28
	s_load_b64 s[26:27], s[0:1], 0x80
	;; [unrolled: 1-line block ×3, first 2 shown]
	s_load_b128 s[16:19], s[0:1], 0x38
	v_lshl_add_u32 v20, v0, 2, 0
	v_lshlrev_b32_e32 v4, 4, v0
	s_wait_xcnt 0x0
	s_mov_b32 s0, 0
	v_or_b32_e32 v1, 0xfffffe00, v0
	s_mov_b32 s1, s0
	v_mov_b32_e32 v14, v20
	v_add3_u32 v21, v4, 0, 0x1000
	s_mov_b32 s36, s0
	s_mov_b32 s37, s0
	v_mov_b64_e32 v[2:3], s[0:1]
	v_mov_b64_e32 v[4:5], s[36:37]
	v_dual_mov_b32 v15, v1 :: v_dual_mov_b32 v17, v21
	s_wait_kmcnt 0x0
	v_mov_b32_e32 v16, s33
.LBB67_7:                               ; =>This Inner Loop Header: Depth=1
	s_delay_alu instid0(VALU_DEP_2)
	v_add_co_u32 v15, s1, 0x200, v15
	s_xor_b32 s1, s1, -1
	ds_store_b32 v14, v16
	ds_store_2addr_b64 v17, v[2:3], v[4:5] offset1:1
	v_add_nc_u32_e32 v17, 0x2000, v17
	v_add_nc_u32_e32 v14, 0x800, v14
	s_and_b32 s1, exec_lo, s1
	s_delay_alu instid0(SALU_CYCLE_1) | instskip(NEXT) | instid1(SALU_CYCLE_1)
	s_or_b32 s0, s1, s0
	s_and_not1_b32 exec_lo, exec_lo, s0
	s_cbranch_execnz .LBB67_7
; %bb.8:
	s_or_b32 exec_lo, exec_lo, s0
	s_wait_storecnt 0x0
	s_wait_loadcnt_dscnt 0x0
	s_barrier_signal -1
	s_barrier_wait -1
	s_load_b32 s0, s[20:21], 0x0
	s_bfe_u32 s1, ttmp6, 0x4000c
	s_wait_xcnt 0x0
	s_and_b32 s20, ttmp6, 15
	s_add_co_i32 s1, s1, 1
	s_getreg_b32 s21, hwreg(HW_REG_IB_STS2, 6, 4)
	s_mul_i32 s1, ttmp9, s1
	s_delay_alu instid0(SALU_CYCLE_1)
	s_add_co_i32 s20, s20, s1
	s_cmp_eq_u32 s21, 0
	s_cselect_b32 s1, ttmp9, s20
	s_and_b32 vcc_lo, exec_lo, s35
	s_wait_kmcnt 0x0
	s_add_co_i32 s0, s0, s1
	s_load_b32 s20, s[22:23], s0 offset:0x0 scale_offset
	s_cbranch_vccz .LBB67_26
; %bb.9:
	s_wait_kmcnt 0x0
	s_ashr_i32 s21, s20, 31
	v_lshrrev_b32_e32 v2, 5, v0
	s_lshl_b64 s[0:1], s[20:21], 2
	s_delay_alu instid0(SALU_CYCLE_1) | instskip(NEXT) | instid1(VALU_DEP_1)
	s_add_nc_u64 s[0:1], s[30:31], s[0:1]
	v_subrev_nc_u32_e32 v2, s8, v2
	s_load_b64 s[22:23], s[0:1], 0x0
	s_wait_xcnt 0x0
	s_mov_b32 s1, exec_lo
	s_wait_kmcnt 0x0
	v_add_nc_u32_e32 v14, s22, v2
	s_sub_co_i32 s0, s23, s8
	s_delay_alu instid0(VALU_DEP_1) | instid1(SALU_CYCLE_1)
	v_cmpx_gt_i32_e64 s0, v14
	s_cbranch_execz .LBB67_25
; %bb.10:
	v_and_b32_e32 v2, 31, v0
	s_mov_b32 s21, 0
	s_delay_alu instid0(VALU_DEP_1)
	v_subrev_nc_u32_e32 v23, s9, v2
	s_branch .LBB67_12
.LBB67_11:                              ;   in Loop: Header=BB67_12 Depth=1
	s_or_b32 exec_lo, exec_lo, s22
	v_add_nc_u32_e32 v14, 16, v14
	s_delay_alu instid0(VALU_DEP_1) | instskip(SKIP_1) | instid1(SALU_CYCLE_1)
	v_cmp_le_i32_e32 vcc_lo, s0, v14
	s_or_b32 s21, vcc_lo, s21
	s_and_not1_b32 exec_lo, exec_lo, s21
	s_cbranch_execz .LBB67_25
.LBB67_12:                              ; =>This Loop Header: Depth=1
                                        ;     Child Loop BB67_16 Depth 2
                                        ;       Child Loop BB67_19 Depth 3
	global_load_b32 v2, v14, s[28:29] scale_offset
	s_mov_b32 s22, exec_lo
	s_wait_loadcnt 0x0
	v_subrev_nc_u32_e32 v2, s8, v2
	s_delay_alu instid0(VALU_DEP_1) | instskip(NEXT) | instid1(VALU_DEP_1)
	v_ashrrev_i32_e32 v3, 31, v2
	v_lshl_add_u64 v[2:3], v[2:3], 2, s[18:19]
	global_load_b64 v[2:3], v[2:3], off
	s_wait_loadcnt 0x0
	v_subrev_nc_u32_e32 v24, s9, v3
	v_add_nc_u32_e32 v25, v2, v23
	s_wait_xcnt 0x0
	s_delay_alu instid0(VALU_DEP_1)
	v_cmpx_lt_i32_e64 v25, v24
	s_cbranch_execz .LBB67_11
; %bb.13:                               ;   in Loop: Header=BB67_12 Depth=1
	v_ashrrev_i32_e32 v15, 31, v14
	s_mov_b32 s23, 0
	s_delay_alu instid0(VALU_DEP_1) | instskip(SKIP_4) | instid1(VALU_DEP_2)
	v_lshl_add_u64 v[2:3], v[14:15], 4, s[16:17]
	global_load_b128 v[2:5], v[2:3], off
	s_wait_loadcnt 0x0
	v_mul_f64_e64 v[16:17], v[4:5], -v[12:13]
	v_mul_f64_e32 v[18:19], v[10:11], v[4:5]
	v_fmac_f64_e32 v[16:17], v[10:11], v[2:3]
	s_delay_alu instid0(VALU_DEP_2)
	v_fmac_f64_e32 v[18:19], v[12:13], v[2:3]
	s_branch .LBB67_16
.LBB67_14:                              ;   in Loop: Header=BB67_16 Depth=2
	s_or_b32 exec_lo, exec_lo, s31
.LBB67_15:                              ;   in Loop: Header=BB67_16 Depth=2
	s_delay_alu instid0(SALU_CYCLE_1) | instskip(SKIP_3) | instid1(VALU_DEP_2)
	s_or_b32 exec_lo, exec_lo, s30
	s_wait_loadcnt 0x0
	v_dual_mul_f64 v[26:27], v[4:5], -v[18:19] :: v_dual_add_nc_u32 v25, 32, v25
	v_mul_f64_e32 v[4:5], v[16:17], v[4:5]
	v_cmp_ge_i32_e32 vcc_lo, v25, v24
	s_or_b32 s23, vcc_lo, s23
	s_delay_alu instid0(VALU_DEP_3) | instskip(NEXT) | instid1(VALU_DEP_3)
	v_fmac_f64_e32 v[26:27], v[16:17], v[2:3]
	v_fmac_f64_e32 v[4:5], v[18:19], v[2:3]
	v_lshl_add_u32 v2, v15, 4, 0
	ds_add_f64 v2, v[26:27] offset:4096
	ds_add_f64 v2, v[4:5] offset:4104
	s_and_not1_b32 exec_lo, exec_lo, s23
	s_cbranch_execz .LBB67_11
.LBB67_16:                              ;   Parent Loop BB67_12 Depth=1
                                        ; =>  This Loop Header: Depth=2
                                        ;       Child Loop BB67_19 Depth 3
	s_clause 0x1
	global_load_b32 v15, v25, s[12:13] scale_offset
	global_load_b128 v[2:5], v25, s[14:15] scale_offset
	s_mov_b32 s30, exec_lo
	s_wait_loadcnt 0x1
	v_subrev_nc_u32_e32 v26, s9, v15
	s_delay_alu instid0(VALU_DEP_1) | instskip(NEXT) | instid1(VALU_DEP_1)
	v_mul_lo_u32 v15, 0x89, v26
	v_and_b32_e32 v15, 0x3ff, v15
	s_delay_alu instid0(VALU_DEP_1)
	v_lshl_add_u32 v27, v15, 2, 0
	ds_load_b32 v28, v27
	s_wait_dscnt 0x0
	s_wait_xcnt 0x0
	v_cmpx_ne_u32_e64 v28, v26
	s_cbranch_execz .LBB67_15
; %bb.17:                               ;   in Loop: Header=BB67_16 Depth=2
	s_mov_b32 s31, 0
	s_branch .LBB67_19
.LBB67_18:                              ;   in Loop: Header=BB67_19 Depth=3
	s_or_b32 exec_lo, exec_lo, s37
	s_delay_alu instid0(SALU_CYCLE_1) | instskip(NEXT) | instid1(SALU_CYCLE_1)
	s_and_b32 s35, exec_lo, s36
	s_or_b32 s31, s35, s31
	s_delay_alu instid0(SALU_CYCLE_1)
	s_and_not1_b32 exec_lo, exec_lo, s31
	s_cbranch_execz .LBB67_14
.LBB67_19:                              ;   Parent Loop BB67_12 Depth=1
                                        ;     Parent Loop BB67_16 Depth=2
                                        ; =>    This Inner Loop Header: Depth=3
	s_mov_b32 s35, 0
	s_mov_b32 s36, exec_lo
	v_cmpx_ne_u32_e64 s33, v28
	s_xor_b32 s36, exec_lo, s36
	s_cbranch_execz .LBB67_21
; %bb.20:                               ;   in Loop: Header=BB67_19 Depth=3
	v_add_nc_u32_e32 v15, 1, v15
	s_mov_b32 s35, exec_lo
                                        ; implicit-def: $vgpr27
	s_delay_alu instid0(VALU_DEP_1)
	v_and_b32_e32 v15, 0x3ff, v15
	s_and_not1_saveexec_b32 s36, s36
	s_cbranch_execz .LBB67_23
	s_branch .LBB67_22
.LBB67_21:                              ;   in Loop: Header=BB67_19 Depth=3
	s_and_not1_saveexec_b32 s36, s36
	s_cbranch_execz .LBB67_23
.LBB67_22:                              ;   in Loop: Header=BB67_19 Depth=3
	v_mov_b32_e32 v28, s33
	s_and_not1_b32 s35, s35, exec_lo
	ds_cmpstore_rtn_b32 v27, v27, v26, v28
	s_wait_dscnt 0x0
	v_cmp_ne_u32_e32 vcc_lo, s33, v27
	s_and_b32 s37, vcc_lo, exec_lo
	s_delay_alu instid0(SALU_CYCLE_1)
	s_or_b32 s35, s35, s37
.LBB67_23:                              ;   in Loop: Header=BB67_19 Depth=3
	s_or_b32 exec_lo, exec_lo, s36
	s_mov_b32 s36, -1
                                        ; implicit-def: $vgpr27
                                        ; implicit-def: $vgpr28
	s_and_saveexec_b32 s37, s35
	s_cbranch_execz .LBB67_18
; %bb.24:                               ;   in Loop: Header=BB67_19 Depth=3
	v_lshl_add_u32 v27, v15, 2, 0
	ds_load_b32 v28, v27
	s_wait_dscnt 0x0
	v_cmp_eq_u32_e32 vcc_lo, v28, v26
	s_or_not1_b32 s36, vcc_lo, exec_lo
	s_branch .LBB67_18
.LBB67_25:
	s_or_b32 exec_lo, exec_lo, s1
.LBB67_26:
	s_delay_alu instid0(SALU_CYCLE_1)
	s_and_not1_b32 vcc_lo, exec_lo, s34
	s_cbranch_vccnz .LBB67_41
; %bb.27:
	s_wait_kmcnt 0x0
	s_ashr_i32 s21, s20, 31
	v_subrev_nc_u32_e32 v2, s11, v0
	s_lshl_b64 s[0:1], s[20:21], 2
	s_delay_alu instid0(SALU_CYCLE_1)
	s_add_nc_u64 s[0:1], s[2:3], s[0:1]
	s_load_b64 s[2:3], s[0:1], 0x0
	s_wait_xcnt 0x0
	s_mov_b32 s1, exec_lo
	s_wait_kmcnt 0x0
	v_add_nc_u32_e32 v10, s2, v2
	s_sub_co_i32 s0, s3, s11
	s_delay_alu instid0(VALU_DEP_1) | instid1(SALU_CYCLE_1)
	v_cmpx_gt_i32_e64 s0, v10
	s_cbranch_execz .LBB67_40
; %bb.28:
	s_mov_b32 s2, 0
	s_branch .LBB67_31
.LBB67_29:                              ;   in Loop: Header=BB67_31 Depth=1
	s_or_b32 exec_lo, exec_lo, s8
.LBB67_30:                              ;   in Loop: Header=BB67_31 Depth=1
	s_delay_alu instid0(SALU_CYCLE_1) | instskip(SKIP_4) | instid1(VALU_DEP_1)
	s_or_b32 exec_lo, exec_lo, s3
	s_wait_loadcnt 0x0
	v_mul_f64_e64 v[12:13], v[4:5], -v[6:7]
	v_mul_f64_e32 v[4:5], v[8:9], v[4:5]
	v_add_nc_u32_e32 v10, 0x200, v10
	v_cmp_le_i32_e32 vcc_lo, s0, v10
	s_or_b32 s2, vcc_lo, s2
	s_delay_alu instid0(VALU_DEP_4) | instskip(NEXT) | instid1(VALU_DEP_4)
	v_fmac_f64_e32 v[12:13], v[8:9], v[2:3]
	v_fmac_f64_e32 v[4:5], v[6:7], v[2:3]
	v_lshl_add_u32 v2, v11, 4, 0
	ds_add_f64 v2, v[12:13] offset:4096
	ds_add_f64 v2, v[4:5] offset:4104
	s_and_not1_b32 exec_lo, exec_lo, s2
	s_cbranch_execz .LBB67_40
.LBB67_31:                              ; =>This Loop Header: Depth=1
                                        ;     Child Loop BB67_34 Depth 2
	s_clause 0x1
	global_load_b32 v11, v10, s[4:5] scale_offset
	global_load_b128 v[2:5], v10, s[6:7] scale_offset
	s_mov_b32 s3, exec_lo
	s_wait_loadcnt 0x1
	v_subrev_nc_u32_e32 v12, s11, v11
	s_delay_alu instid0(VALU_DEP_1) | instskip(NEXT) | instid1(VALU_DEP_1)
	v_mul_lo_u32 v11, 0x89, v12
	v_and_b32_e32 v11, 0x3ff, v11
	s_delay_alu instid0(VALU_DEP_1)
	v_lshl_add_u32 v13, v11, 2, 0
	ds_load_b32 v14, v13
	s_wait_dscnt 0x0
	s_wait_xcnt 0x0
	v_cmpx_ne_u32_e64 v14, v12
	s_cbranch_execz .LBB67_30
; %bb.32:                               ;   in Loop: Header=BB67_31 Depth=1
	s_mov_b32 s8, 0
	s_branch .LBB67_34
.LBB67_33:                              ;   in Loop: Header=BB67_34 Depth=2
	s_or_b32 exec_lo, exec_lo, s13
	s_delay_alu instid0(SALU_CYCLE_1) | instskip(NEXT) | instid1(SALU_CYCLE_1)
	s_and_b32 s9, exec_lo, s12
	s_or_b32 s8, s9, s8
	s_delay_alu instid0(SALU_CYCLE_1)
	s_and_not1_b32 exec_lo, exec_lo, s8
	s_cbranch_execz .LBB67_29
.LBB67_34:                              ;   Parent Loop BB67_31 Depth=1
                                        ; =>  This Inner Loop Header: Depth=2
	s_mov_b32 s9, 0
	s_mov_b32 s12, exec_lo
	v_cmpx_ne_u32_e64 s33, v14
	s_xor_b32 s12, exec_lo, s12
	s_cbranch_execz .LBB67_36
; %bb.35:                               ;   in Loop: Header=BB67_34 Depth=2
	v_add_nc_u32_e32 v11, 1, v11
	s_mov_b32 s9, exec_lo
                                        ; implicit-def: $vgpr13
	s_delay_alu instid0(VALU_DEP_1)
	v_and_b32_e32 v11, 0x3ff, v11
	s_and_not1_saveexec_b32 s12, s12
	s_cbranch_execz .LBB67_38
	s_branch .LBB67_37
.LBB67_36:                              ;   in Loop: Header=BB67_34 Depth=2
	s_and_not1_saveexec_b32 s12, s12
	s_cbranch_execz .LBB67_38
.LBB67_37:                              ;   in Loop: Header=BB67_34 Depth=2
	v_mov_b32_e32 v14, s33
	s_and_not1_b32 s9, s9, exec_lo
	ds_cmpstore_rtn_b32 v13, v13, v12, v14
	s_wait_dscnt 0x0
	v_cmp_ne_u32_e32 vcc_lo, s33, v13
	s_and_b32 s13, vcc_lo, exec_lo
	s_delay_alu instid0(SALU_CYCLE_1)
	s_or_b32 s9, s9, s13
.LBB67_38:                              ;   in Loop: Header=BB67_34 Depth=2
	s_or_b32 exec_lo, exec_lo, s12
	s_mov_b32 s12, -1
                                        ; implicit-def: $vgpr13
                                        ; implicit-def: $vgpr14
	s_and_saveexec_b32 s13, s9
	s_cbranch_execz .LBB67_33
; %bb.39:                               ;   in Loop: Header=BB67_34 Depth=2
	v_lshl_add_u32 v13, v11, 2, 0
	ds_load_b32 v14, v13
	s_wait_dscnt 0x0
	v_cmp_eq_u32_e32 vcc_lo, v14, v12
	s_or_not1_b32 s12, vcc_lo, exec_lo
	s_branch .LBB67_33
.LBB67_40:
	s_or_b32 exec_lo, exec_lo, s1
.LBB67_41:
	v_dual_lshrrev_b32 v2, 4, v0 :: v_dual_bitop2_b32 v4, 31, v22 bitop3:0x14
	v_mov_b32_e32 v3, 0
	s_wait_xcnt 0x0
	v_cmp_lt_u32_e64 s0, 63, v0
	v_cmp_lt_u32_e64 s1, 0x7f, v0
	v_and_b32_e32 v5, 28, v2
	v_cmp_lt_u32_e64 s2, 0xbf, v0
	v_lshrrev_b32_e64 v2, v4, -1
	v_cmp_lt_u32_e64 s3, 0xff, v0
	v_cmp_lt_u32_e64 s4, 0x13f, v0
	v_dual_mov_b32 v5, 0 :: v_dual_add_nc_u32 v4, 0, v5
	v_cmp_lt_u32_e64 s5, 0x17f, v0
	v_cmp_lt_u32_e64 s6, 0x1bf, v0
	s_mov_b32 s8, 0
	s_wait_dscnt 0x0
	v_cmp_eq_u32_e32 vcc_lo, 0x1ff, v0
	s_barrier_signal -1
	s_barrier_wait -1
	s_branch .LBB67_43
.LBB67_42:                              ;   in Loop: Header=BB67_43 Depth=1
	s_or_b32 exec_lo, exec_lo, s7
	s_wait_dscnt 0x0
	s_barrier_signal -1
	s_barrier_wait -1
	ds_load_b32 v6, v3 offset:20508
	v_add_co_u32 v1, s7, 0x200, v1
	s_xor_b32 s7, s7, -1
	v_add_nc_u32_e32 v21, 0x2000, v21
	v_add_nc_u32_e32 v20, 0x800, v20
	s_and_b32 s7, exec_lo, s7
	s_delay_alu instid0(SALU_CYCLE_1)
	s_or_b32 s8, s7, s8
	s_wait_dscnt 0x0
	v_add_nc_u32_e32 v5, v6, v5
	s_and_not1_b32 exec_lo, exec_lo, s8
	s_cbranch_execz .LBB67_61
.LBB67_43:                              ; =>This Inner Loop Header: Depth=1
	ds_load_b32 v6, v20
	ds_load_2addr_b64 v[8:11], v21 offset1:1
	s_wait_dscnt 0x1
	v_cmp_gt_i32_e64 s7, s33, v6
	s_wait_dscnt 0x0
	scratch_store_b128 off, v[8:11], off
	s_wait_storecnt 0x0
	s_barrier_signal -1
	s_barrier_wait -1
	s_bcnt1_i32_b32 s9, s7
	s_wait_xcnt 0x0
	v_dual_mov_b32 v8, s9 :: v_dual_bitop2_b32 v7, s7, v2 bitop3:0x40
	s_delay_alu instid0(VALU_DEP_1)
	v_bcnt_u32_b32 v7, v7, 0
	ds_store_b32 v4, v8 offset:20480
	s_wait_dscnt 0x0
	s_barrier_signal -1
	s_barrier_wait -1
	s_and_saveexec_b32 s9, s0
	s_cbranch_execz .LBB67_52
; %bb.44:                               ;   in Loop: Header=BB67_43 Depth=1
	ds_load_b32 v8, v3 offset:20480
	s_wait_dscnt 0x0
	v_add_nc_u32_e32 v7, v8, v7
	s_or_b32 exec_lo, exec_lo, s9
	s_and_saveexec_b32 s9, s1
	s_cbranch_execnz .LBB67_53
.LBB67_45:                              ;   in Loop: Header=BB67_43 Depth=1
	s_or_b32 exec_lo, exec_lo, s9
	s_and_saveexec_b32 s9, s2
	s_cbranch_execz .LBB67_54
.LBB67_46:                              ;   in Loop: Header=BB67_43 Depth=1
	ds_load_b32 v8, v3 offset:20488
	s_wait_dscnt 0x0
	v_add_nc_u32_e32 v7, v8, v7
	s_or_b32 exec_lo, exec_lo, s9
	s_and_saveexec_b32 s9, s3
	s_cbranch_execnz .LBB67_55
.LBB67_47:                              ;   in Loop: Header=BB67_43 Depth=1
	s_or_b32 exec_lo, exec_lo, s9
	s_and_saveexec_b32 s9, s4
	s_cbranch_execz .LBB67_56
.LBB67_48:                              ;   in Loop: Header=BB67_43 Depth=1
	ds_load_b32 v8, v3 offset:20496
	s_wait_dscnt 0x0
	v_add_nc_u32_e32 v7, v8, v7
	s_or_b32 exec_lo, exec_lo, s9
	s_and_saveexec_b32 s9, s5
	s_cbranch_execnz .LBB67_57
.LBB67_49:                              ;   in Loop: Header=BB67_43 Depth=1
	s_or_b32 exec_lo, exec_lo, s9
	s_and_saveexec_b32 s9, s6
	s_cbranch_execz .LBB67_58
.LBB67_50:                              ;   in Loop: Header=BB67_43 Depth=1
	ds_load_b32 v8, v3 offset:20504
	s_wait_dscnt 0x0
	v_add_nc_u32_e32 v7, v8, v7
	s_or_b32 exec_lo, exec_lo, s9
	s_and_saveexec_b32 s9, s7
	s_cbranch_execnz .LBB67_59
.LBB67_51:                              ;   in Loop: Header=BB67_43 Depth=1
	s_or_b32 exec_lo, exec_lo, s9
	s_and_saveexec_b32 s7, vcc_lo
	s_cbranch_execz .LBB67_42
	s_branch .LBB67_60
.LBB67_52:                              ;   in Loop: Header=BB67_43 Depth=1
	s_or_b32 exec_lo, exec_lo, s9
	s_and_saveexec_b32 s9, s1
	s_cbranch_execz .LBB67_45
.LBB67_53:                              ;   in Loop: Header=BB67_43 Depth=1
	ds_load_b32 v8, v3 offset:20484
	s_wait_dscnt 0x0
	v_add_nc_u32_e32 v7, v8, v7
	s_or_b32 exec_lo, exec_lo, s9
	s_and_saveexec_b32 s9, s2
	s_cbranch_execnz .LBB67_46
.LBB67_54:                              ;   in Loop: Header=BB67_43 Depth=1
	s_or_b32 exec_lo, exec_lo, s9
	s_and_saveexec_b32 s9, s3
	s_cbranch_execz .LBB67_47
.LBB67_55:                              ;   in Loop: Header=BB67_43 Depth=1
	ds_load_b32 v8, v3 offset:20492
	s_wait_dscnt 0x0
	v_add_nc_u32_e32 v7, v8, v7
	s_or_b32 exec_lo, exec_lo, s9
	s_and_saveexec_b32 s9, s4
	s_cbranch_execnz .LBB67_48
.LBB67_56:                              ;   in Loop: Header=BB67_43 Depth=1
	s_or_b32 exec_lo, exec_lo, s9
	s_and_saveexec_b32 s9, s5
	s_cbranch_execz .LBB67_49
.LBB67_57:                              ;   in Loop: Header=BB67_43 Depth=1
	ds_load_b32 v8, v3 offset:20500
	s_wait_dscnt 0x0
	v_add_nc_u32_e32 v7, v8, v7
	s_or_b32 exec_lo, exec_lo, s9
	s_and_saveexec_b32 s9, s6
	s_cbranch_execnz .LBB67_50
.LBB67_58:                              ;   in Loop: Header=BB67_43 Depth=1
	s_or_b32 exec_lo, exec_lo, s9
	s_and_saveexec_b32 s9, s7
	s_cbranch_execz .LBB67_51
.LBB67_59:                              ;   in Loop: Header=BB67_43 Depth=1
	scratch_load_b128 v[8:11], off, off
	v_add3_u32 v12, v5, -1, v7
	v_add_lshl_u32 v13, v5, v7, 4
	s_delay_alu instid0(VALU_DEP_2) | instskip(NEXT) | instid1(VALU_DEP_2)
	v_lshl_add_u32 v12, v12, 2, 0
	v_add3_u32 v13, 0, v13, 0xff0
	ds_store_b32 v12, v6
	s_wait_loadcnt 0x0
	ds_store_2addr_b64 v13, v[8:9], v[10:11] offset1:1
	s_or_b32 exec_lo, exec_lo, s9
	s_and_saveexec_b32 s7, vcc_lo
	s_cbranch_execz .LBB67_42
.LBB67_60:                              ;   in Loop: Header=BB67_43 Depth=1
	ds_store_b32 v3, v7 offset:20508
	s_branch .LBB67_42
.LBB67_61:
	s_or_b32 exec_lo, exec_lo, s8
	s_wait_kmcnt 0x0
	s_ashr_i32 s21, s20, 31
	s_delay_alu instid0(SALU_CYCLE_1) | instskip(NEXT) | instid1(SALU_CYCLE_1)
	s_lshl_b64 s[0:1], s[20:21], 2
	s_add_nc_u64 s[2:3], s[26:27], s[0:1]
	s_load_b64 s[0:1], s[2:3], 0x0
	s_wait_kmcnt 0x0
	s_sub_co_i32 s4, s1, s0
	s_mov_b32 s1, exec_lo
	v_cmpx_gt_i32_e64 s4, v0
	s_cbranch_execz .LBB67_75
; %bb.62:
	v_sub_co_u32 v1, s1, s4, 2
	s_sub_co_i32 s2, s0, s10
	s_xor_b32 s6, s1, -1
	s_and_b32 s5, s4, -2
	v_readfirstlane_b32 s3, v1
	s_lshr_b32 s0, s3, 1
	s_mov_b32 s3, 0
	s_add_co_i32 s0, s0, 1
	s_mov_b32 s11, s3
	s_and_b32 s1, s0, 7
	s_and_b32 s7, s0, -8
	s_cmp_lg_u32 s1, 0
	v_cmp_lt_u32_e64 s0, 13, v1
	s_cselect_b32 s8, -1, 0
	s_cmp_lg_u32 s4, s5
	s_cselect_b32 s9, -1, 0
	s_lshl_b32 s10, s1, 3
	s_branch .LBB67_64
.LBB67_63:                              ;   in Loop: Header=BB67_64 Depth=1
	v_mul_lo_u32 v3, v0, 12
	v_add_nc_u32_e32 v0, 0x200, v0
	s_delay_alu instid0(VALU_DEP_1) | instskip(SKIP_1) | instid1(VALU_DEP_3)
	v_cmp_le_i32_e32 vcc_lo, s4, v0
	s_or_b32 s11, vcc_lo, s11
	v_add3_u32 v1, v1, v3, 0x1000
	s_wait_dscnt 0x0
	ds_load_2addr_b64 v[4:7], v1 offset1:1
	s_wait_dscnt 0x0
	global_store_b128 v2, v[4:7], s[24:25] scale_offset
	s_wait_xcnt 0x0
	s_and_not1_b32 exec_lo, exec_lo, s11
	s_cbranch_execz .LBB67_75
.LBB67_64:                              ; =>This Loop Header: Depth=1
                                        ;     Child Loop BB67_67 Depth 2
                                        ;     Child Loop BB67_70 Depth 2
	;; [unrolled: 1-line block ×3, first 2 shown]
	v_lshl_add_u32 v1, v0, 2, 0
	v_mov_b32_e32 v2, s2
	s_and_not1_b32 vcc_lo, exec_lo, s6
	s_mov_b32 s1, 0
	s_mov_b32 s12, -1
	ds_load_b32 v4, v1
	s_cbranch_vccnz .LBB67_72
; %bb.65:                               ;   in Loop: Header=BB67_64 Depth=1
	v_mov_b64_e32 v[2:3], s[2:3]
	s_and_not1_b32 vcc_lo, exec_lo, s0
	s_mov_b32 s12, 0
	s_cbranch_vccnz .LBB67_68
; %bb.66:                               ;   in Loop: Header=BB67_64 Depth=1
	v_dual_mov_b32 v2, s2 :: v_dual_mov_b32 v3, 0
	s_mov_b32 s13, 0
	s_mov_b32 s14, s7
.LBB67_67:                              ;   Parent Loop BB67_64 Depth=1
                                        ; =>  This Inner Loop Header: Depth=2
	v_mov_b32_e32 v5, s13
	s_add_co_i32 s14, s14, -8
	s_add_co_i32 s12, s12, 16
	s_add_co_i32 s13, s13, 64
	s_cmp_lg_u32 s14, 0
	ds_load_2addr_b32 v[6:7], v5 offset1:1
	ds_load_2addr_b32 v[8:9], v5 offset0:2 offset1:3
	ds_load_2addr_b32 v[10:11], v5 offset0:4 offset1:5
	;; [unrolled: 1-line block ×7, first 2 shown]
	s_wait_dscnt 0x7
	v_cmp_gt_i32_e32 vcc_lo, v4, v7
	s_wait_dscnt 0x5
	v_cmp_gt_i32_e64 s1, v4, v10
	v_cndmask_b32_e64 v5, 0, 1, vcc_lo
	v_cmp_gt_i32_e32 vcc_lo, v4, v6
	s_delay_alu instid0(VALU_DEP_3) | instskip(SKIP_3) | instid1(VALU_DEP_3)
	v_cndmask_b32_e64 v7, 0, 1, s1
	v_cmp_gt_i32_e64 s1, v4, v11
	v_cndmask_b32_e64 v6, 0, 1, vcc_lo
	v_cmp_gt_i32_e32 vcc_lo, v4, v8
	v_cndmask_b32_e64 v8, 0, 1, s1
	s_wait_dscnt 0x4
	v_cmp_gt_i32_e64 s1, v4, v13
	v_add_co_ci_u32_e64 v2, null, v2, v6, vcc_lo
	s_delay_alu instid0(VALU_DEP_2) | instskip(SKIP_3) | instid1(VALU_DEP_2)
	v_cndmask_b32_e64 v10, 0, 1, s1
	v_cmp_gt_i32_e64 s1, v4, v12
	s_wait_dscnt 0x2
	v_cmp_gt_i32_e32 vcc_lo, v4, v16
	v_cndmask_b32_e64 v11, 0, 1, s1
	v_cmp_gt_i32_e64 s1, v4, v14
	v_add_co_ci_u32_e64 v2, null, v2, v7, vcc_lo
	s_wait_dscnt 0x1
	v_cmp_gt_i32_e32 vcc_lo, v4, v18
	s_delay_alu instid0(VALU_DEP_3) | instskip(SKIP_4) | instid1(VALU_DEP_3)
	v_cndmask_b32_e64 v12, 0, 1, s1
	v_cmp_gt_i32_e64 s1, v4, v15
	v_add_co_ci_u32_e64 v2, null, v2, v11, vcc_lo
	s_wait_dscnt 0x0
	v_cmp_gt_i32_e32 vcc_lo, v4, v20
	v_cndmask_b32_e64 v13, 0, 1, s1
	v_cmp_gt_i32_e64 s1, v4, v9
	v_add_co_ci_u32_e64 v2, null, v2, v12, vcc_lo
	s_delay_alu instid0(VALU_DEP_2) | instskip(SKIP_1) | instid1(VALU_DEP_1)
	v_add_co_ci_u32_e64 v3, null, v3, v5, s1
	v_cmp_gt_i32_e64 s1, v4, v17
	v_add_co_ci_u32_e64 v3, null, v3, v8, s1
	v_cmp_gt_i32_e64 s1, v4, v19
	s_delay_alu instid0(VALU_DEP_1) | instskip(SKIP_1) | instid1(VALU_DEP_1)
	v_add_co_ci_u32_e64 v3, null, v3, v10, s1
	v_cmp_gt_i32_e64 s1, v4, v21
	v_add_co_ci_u32_e64 v3, null, v3, v13, s1
	s_cbranch_scc1 .LBB67_67
.LBB67_68:                              ;   in Loop: Header=BB67_64 Depth=1
	s_and_not1_b32 vcc_lo, exec_lo, s8
	s_cbranch_vccnz .LBB67_71
; %bb.69:                               ;   in Loop: Header=BB67_64 Depth=1
	s_lshl_b32 s1, s12, 2
	s_mov_b32 s12, s10
	s_add_co_i32 s1, s1, 0
.LBB67_70:                              ;   Parent Loop BB67_64 Depth=1
                                        ; =>  This Inner Loop Header: Depth=2
	s_delay_alu instid0(SALU_CYCLE_1)
	v_mov_b32_e32 v5, s1
	s_add_co_i32 s12, s12, -8
	s_add_co_i32 s1, s1, 8
	s_cmp_lg_u32 s12, 0
	ds_load_2addr_b32 v[6:7], v5 offset1:1
	s_wait_dscnt 0x0
	v_cmp_gt_i32_e32 vcc_lo, v4, v7
	v_add_co_ci_u32_e64 v3, null, 0, v3, vcc_lo
	v_cmp_gt_i32_e32 vcc_lo, v4, v6
	v_add_co_ci_u32_e64 v2, null, 0, v2, vcc_lo
	s_cbranch_scc1 .LBB67_70
.LBB67_71:                              ;   in Loop: Header=BB67_64 Depth=1
	s_delay_alu instid0(VALU_DEP_1)
	v_add_nc_u32_e32 v2, v2, v3
	s_mov_b32 s1, s5
	s_mov_b32 s12, s9
.LBB67_72:                              ;   in Loop: Header=BB67_64 Depth=1
	s_delay_alu instid0(SALU_CYCLE_1)
	s_and_b32 vcc_lo, exec_lo, s12
	s_cbranch_vccz .LBB67_63
; %bb.73:                               ;   in Loop: Header=BB67_64 Depth=1
	s_lshl_b32 s12, s1, 2
	s_delay_alu instid0(SALU_CYCLE_1)
	s_add_co_i32 s12, s12, 0
.LBB67_74:                              ;   Parent Loop BB67_64 Depth=1
                                        ; =>  This Inner Loop Header: Depth=2
	s_delay_alu instid0(SALU_CYCLE_1)
	v_mov_b32_e32 v3, s12
	s_add_co_i32 s1, s1, 1
	s_add_co_i32 s12, s12, 4
	s_cmp_ge_i32 s1, s4
	ds_load_b32 v3, v3
	s_wait_dscnt 0x0
	v_cmp_gt_i32_e32 vcc_lo, v4, v3
	v_add_co_ci_u32_e64 v2, null, 0, v2, vcc_lo
	s_cbranch_scc0 .LBB67_74
	s_branch .LBB67_63
.LBB67_75:
	s_endpgm
	.section	.rodata,"a",@progbits
	.p2align	6, 0x0
	.amdhsa_kernel _ZN9rocsparseL41csrgemm_numeric_fill_block_per_row_kernelILj512ELj32ELj1024ELj137ELj64Eii21rocsparse_complex_numIdEEEvT5_PKS3_S5_NS_24const_host_device_scalarIT6_EEPKT4_S5_PKS7_SB_S5_SD_S8_SB_S5_SD_SB_S5_PS7_21rocsparse_index_base_SF_SF_SF_bbb
		.amdhsa_group_segment_fixed_size 0
		.amdhsa_private_segment_fixed_size 40
		.amdhsa_kernarg_size 172
		.amdhsa_user_sgpr_count 2
		.amdhsa_user_sgpr_dispatch_ptr 0
		.amdhsa_user_sgpr_queue_ptr 0
		.amdhsa_user_sgpr_kernarg_segment_ptr 1
		.amdhsa_user_sgpr_dispatch_id 0
		.amdhsa_user_sgpr_kernarg_preload_length 0
		.amdhsa_user_sgpr_kernarg_preload_offset 0
		.amdhsa_user_sgpr_private_segment_size 0
		.amdhsa_wavefront_size32 1
		.amdhsa_uses_dynamic_stack 0
		.amdhsa_enable_private_segment 1
		.amdhsa_system_sgpr_workgroup_id_x 1
		.amdhsa_system_sgpr_workgroup_id_y 0
		.amdhsa_system_sgpr_workgroup_id_z 0
		.amdhsa_system_sgpr_workgroup_info 0
		.amdhsa_system_vgpr_workitem_id 0
		.amdhsa_next_free_vgpr 29
		.amdhsa_next_free_sgpr 38
		.amdhsa_named_barrier_count 0
		.amdhsa_reserve_vcc 1
		.amdhsa_float_round_mode_32 0
		.amdhsa_float_round_mode_16_64 0
		.amdhsa_float_denorm_mode_32 3
		.amdhsa_float_denorm_mode_16_64 3
		.amdhsa_fp16_overflow 0
		.amdhsa_memory_ordered 1
		.amdhsa_forward_progress 1
		.amdhsa_inst_pref_size 27
		.amdhsa_round_robin_scheduling 0
		.amdhsa_exception_fp_ieee_invalid_op 0
		.amdhsa_exception_fp_denorm_src 0
		.amdhsa_exception_fp_ieee_div_zero 0
		.amdhsa_exception_fp_ieee_overflow 0
		.amdhsa_exception_fp_ieee_underflow 0
		.amdhsa_exception_fp_ieee_inexact 0
		.amdhsa_exception_int_div_zero 0
	.end_amdhsa_kernel
	.section	.text._ZN9rocsparseL41csrgemm_numeric_fill_block_per_row_kernelILj512ELj32ELj1024ELj137ELj64Eii21rocsparse_complex_numIdEEEvT5_PKS3_S5_NS_24const_host_device_scalarIT6_EEPKT4_S5_PKS7_SB_S5_SD_S8_SB_S5_SD_SB_S5_PS7_21rocsparse_index_base_SF_SF_SF_bbb,"axG",@progbits,_ZN9rocsparseL41csrgemm_numeric_fill_block_per_row_kernelILj512ELj32ELj1024ELj137ELj64Eii21rocsparse_complex_numIdEEEvT5_PKS3_S5_NS_24const_host_device_scalarIT6_EEPKT4_S5_PKS7_SB_S5_SD_S8_SB_S5_SD_SB_S5_PS7_21rocsparse_index_base_SF_SF_SF_bbb,comdat
.Lfunc_end67:
	.size	_ZN9rocsparseL41csrgemm_numeric_fill_block_per_row_kernelILj512ELj32ELj1024ELj137ELj64Eii21rocsparse_complex_numIdEEEvT5_PKS3_S5_NS_24const_host_device_scalarIT6_EEPKT4_S5_PKS7_SB_S5_SD_S8_SB_S5_SD_SB_S5_PS7_21rocsparse_index_base_SF_SF_SF_bbb, .Lfunc_end67-_ZN9rocsparseL41csrgemm_numeric_fill_block_per_row_kernelILj512ELj32ELj1024ELj137ELj64Eii21rocsparse_complex_numIdEEEvT5_PKS3_S5_NS_24const_host_device_scalarIT6_EEPKT4_S5_PKS7_SB_S5_SD_S8_SB_S5_SD_SB_S5_PS7_21rocsparse_index_base_SF_SF_SF_bbb
                                        ; -- End function
	.set _ZN9rocsparseL41csrgemm_numeric_fill_block_per_row_kernelILj512ELj32ELj1024ELj137ELj64Eii21rocsparse_complex_numIdEEEvT5_PKS3_S5_NS_24const_host_device_scalarIT6_EEPKT4_S5_PKS7_SB_S5_SD_S8_SB_S5_SD_SB_S5_PS7_21rocsparse_index_base_SF_SF_SF_bbb.num_vgpr, 29
	.set _ZN9rocsparseL41csrgemm_numeric_fill_block_per_row_kernelILj512ELj32ELj1024ELj137ELj64Eii21rocsparse_complex_numIdEEEvT5_PKS3_S5_NS_24const_host_device_scalarIT6_EEPKT4_S5_PKS7_SB_S5_SD_S8_SB_S5_SD_SB_S5_PS7_21rocsparse_index_base_SF_SF_SF_bbb.num_agpr, 0
	.set _ZN9rocsparseL41csrgemm_numeric_fill_block_per_row_kernelILj512ELj32ELj1024ELj137ELj64Eii21rocsparse_complex_numIdEEEvT5_PKS3_S5_NS_24const_host_device_scalarIT6_EEPKT4_S5_PKS7_SB_S5_SD_S8_SB_S5_SD_SB_S5_PS7_21rocsparse_index_base_SF_SF_SF_bbb.numbered_sgpr, 38
	.set _ZN9rocsparseL41csrgemm_numeric_fill_block_per_row_kernelILj512ELj32ELj1024ELj137ELj64Eii21rocsparse_complex_numIdEEEvT5_PKS3_S5_NS_24const_host_device_scalarIT6_EEPKT4_S5_PKS7_SB_S5_SD_S8_SB_S5_SD_SB_S5_PS7_21rocsparse_index_base_SF_SF_SF_bbb.num_named_barrier, 0
	.set _ZN9rocsparseL41csrgemm_numeric_fill_block_per_row_kernelILj512ELj32ELj1024ELj137ELj64Eii21rocsparse_complex_numIdEEEvT5_PKS3_S5_NS_24const_host_device_scalarIT6_EEPKT4_S5_PKS7_SB_S5_SD_S8_SB_S5_SD_SB_S5_PS7_21rocsparse_index_base_SF_SF_SF_bbb.private_seg_size, 40
	.set _ZN9rocsparseL41csrgemm_numeric_fill_block_per_row_kernelILj512ELj32ELj1024ELj137ELj64Eii21rocsparse_complex_numIdEEEvT5_PKS3_S5_NS_24const_host_device_scalarIT6_EEPKT4_S5_PKS7_SB_S5_SD_S8_SB_S5_SD_SB_S5_PS7_21rocsparse_index_base_SF_SF_SF_bbb.uses_vcc, 1
	.set _ZN9rocsparseL41csrgemm_numeric_fill_block_per_row_kernelILj512ELj32ELj1024ELj137ELj64Eii21rocsparse_complex_numIdEEEvT5_PKS3_S5_NS_24const_host_device_scalarIT6_EEPKT4_S5_PKS7_SB_S5_SD_S8_SB_S5_SD_SB_S5_PS7_21rocsparse_index_base_SF_SF_SF_bbb.uses_flat_scratch, 1
	.set _ZN9rocsparseL41csrgemm_numeric_fill_block_per_row_kernelILj512ELj32ELj1024ELj137ELj64Eii21rocsparse_complex_numIdEEEvT5_PKS3_S5_NS_24const_host_device_scalarIT6_EEPKT4_S5_PKS7_SB_S5_SD_S8_SB_S5_SD_SB_S5_PS7_21rocsparse_index_base_SF_SF_SF_bbb.has_dyn_sized_stack, 0
	.set _ZN9rocsparseL41csrgemm_numeric_fill_block_per_row_kernelILj512ELj32ELj1024ELj137ELj64Eii21rocsparse_complex_numIdEEEvT5_PKS3_S5_NS_24const_host_device_scalarIT6_EEPKT4_S5_PKS7_SB_S5_SD_S8_SB_S5_SD_SB_S5_PS7_21rocsparse_index_base_SF_SF_SF_bbb.has_recursion, 0
	.set _ZN9rocsparseL41csrgemm_numeric_fill_block_per_row_kernelILj512ELj32ELj1024ELj137ELj64Eii21rocsparse_complex_numIdEEEvT5_PKS3_S5_NS_24const_host_device_scalarIT6_EEPKT4_S5_PKS7_SB_S5_SD_S8_SB_S5_SD_SB_S5_PS7_21rocsparse_index_base_SF_SF_SF_bbb.has_indirect_call, 0
	.section	.AMDGPU.csdata,"",@progbits
; Kernel info:
; codeLenInByte = 3344
; TotalNumSgprs: 40
; NumVgprs: 29
; ScratchSize: 40
; MemoryBound: 0
; FloatMode: 240
; IeeeMode: 1
; LDSByteSize: 0 bytes/workgroup (compile time only)
; SGPRBlocks: 0
; VGPRBlocks: 1
; NumSGPRsForWavesPerEU: 40
; NumVGPRsForWavesPerEU: 29
; NamedBarCnt: 0
; Occupancy: 16
; WaveLimiterHint : 1
; COMPUTE_PGM_RSRC2:SCRATCH_EN: 1
; COMPUTE_PGM_RSRC2:USER_SGPR: 2
; COMPUTE_PGM_RSRC2:TRAP_HANDLER: 0
; COMPUTE_PGM_RSRC2:TGID_X_EN: 1
; COMPUTE_PGM_RSRC2:TGID_Y_EN: 0
; COMPUTE_PGM_RSRC2:TGID_Z_EN: 0
; COMPUTE_PGM_RSRC2:TIDIG_COMP_CNT: 0
	.section	.text._ZN9rocsparseL41csrgemm_numeric_fill_block_per_row_kernelILj1024ELj32ELj2048ELj137ELj32Eii21rocsparse_complex_numIdEEEvT5_PKS3_S5_NS_24const_host_device_scalarIT6_EEPKT4_S5_PKS7_SB_S5_SD_S8_SB_S5_SD_SB_S5_PS7_21rocsparse_index_base_SF_SF_SF_bbb,"axG",@progbits,_ZN9rocsparseL41csrgemm_numeric_fill_block_per_row_kernelILj1024ELj32ELj2048ELj137ELj32Eii21rocsparse_complex_numIdEEEvT5_PKS3_S5_NS_24const_host_device_scalarIT6_EEPKT4_S5_PKS7_SB_S5_SD_S8_SB_S5_SD_SB_S5_PS7_21rocsparse_index_base_SF_SF_SF_bbb,comdat
	.globl	_ZN9rocsparseL41csrgemm_numeric_fill_block_per_row_kernelILj1024ELj32ELj2048ELj137ELj32Eii21rocsparse_complex_numIdEEEvT5_PKS3_S5_NS_24const_host_device_scalarIT6_EEPKT4_S5_PKS7_SB_S5_SD_S8_SB_S5_SD_SB_S5_PS7_21rocsparse_index_base_SF_SF_SF_bbb ; -- Begin function _ZN9rocsparseL41csrgemm_numeric_fill_block_per_row_kernelILj1024ELj32ELj2048ELj137ELj32Eii21rocsparse_complex_numIdEEEvT5_PKS3_S5_NS_24const_host_device_scalarIT6_EEPKT4_S5_PKS7_SB_S5_SD_S8_SB_S5_SD_SB_S5_PS7_21rocsparse_index_base_SF_SF_SF_bbb
	.p2align	8
	.type	_ZN9rocsparseL41csrgemm_numeric_fill_block_per_row_kernelILj1024ELj32ELj2048ELj137ELj32Eii21rocsparse_complex_numIdEEEvT5_PKS3_S5_NS_24const_host_device_scalarIT6_EEPKT4_S5_PKS7_SB_S5_SD_S8_SB_S5_SD_SB_S5_PS7_21rocsparse_index_base_SF_SF_SF_bbb,@function
_ZN9rocsparseL41csrgemm_numeric_fill_block_per_row_kernelILj1024ELj32ELj2048ELj137ELj32Eii21rocsparse_complex_numIdEEEvT5_PKS3_S5_NS_24const_host_device_scalarIT6_EEPKT4_S5_PKS7_SB_S5_SD_S8_SB_S5_SD_SB_S5_PS7_21rocsparse_index_base_SF_SF_SF_bbb: ; @_ZN9rocsparseL41csrgemm_numeric_fill_block_per_row_kernelILj1024ELj32ELj2048ELj137ELj32Eii21rocsparse_complex_numIdEEEvT5_PKS3_S5_NS_24const_host_device_scalarIT6_EEPKT4_S5_PKS7_SB_S5_SD_S8_SB_S5_SD_SB_S5_PS7_21rocsparse_index_base_SF_SF_SF_bbb
; %bb.0:
	s_clause 0x3
	s_load_b32 s3, s[0:1], 0xa8
	s_load_b128 s[4:7], s[0:1], 0x18
	s_load_b128 s[12:15], s[0:1], 0x58
	;; [unrolled: 1-line block ×3, first 2 shown]
	v_mov_b64_e32 v[6:7], 0
	v_mov_b64_e32 v[10:11], 0
	;; [unrolled: 1-line block ×3, first 2 shown]
	v_mbcnt_lo_u32_b32 v22, -1, 0
	s_wait_kmcnt 0x0
	s_bitcmp1_b32 s3, 0
	v_mov_b64_e32 v[2:3], s[4:5]
	s_cselect_b32 s25, -1, 0
	s_bitcmp1_b32 s3, 16
	v_mov_b64_e32 v[4:5], s[12:13]
	s_cselect_b32 s2, -1, 0
	s_clause 0x1
	scratch_store_b64 off, v[2:3], off offset:16
	scratch_store_b64 off, v[4:5], off offset:24
	s_xor_b32 s22, s2, -1
	s_bitcmp0_b32 s3, 0
	v_cndmask_b32_e64 v1, 0, 1, s22
	s_delay_alu instid0(VALU_DEP_1)
	v_cmp_ne_u32_e32 vcc_lo, 1, v1
	s_cbranch_scc1 .LBB68_3
; %bb.1:
	s_wait_xcnt 0x1
	v_dual_mov_b32 v2, 16 :: v_dual_lshlrev_b32 v3, 20, v22
	v_mov_b64_e32 v[12:13], s[6:7]
	s_and_b32 vcc_lo, exec_lo, vcc_lo
	s_delay_alu instid0(VALU_DEP_2) | instskip(NEXT) | instid1(VALU_DEP_1)
	v_add_nc_u64_e32 v[2:3], src_flat_scratch_base_lo, v[2:3]
	v_cndmask_b32_e64 v3, s5, v3, s2
	s_delay_alu instid0(VALU_DEP_2)
	v_cndmask_b32_e64 v2, s4, v2, s2
	flat_load_b64 v[10:11], v[2:3]
	s_cbranch_vccnz .LBB68_3
; %bb.2:
	v_mov_b32_e32 v1, 0
	flat_load_b64 v[12:13], v1, s[4:5] offset:8
.LBB68_3:
	s_clause 0x4
	s_load_b64 s[34:35], s[0:1], 0x90
	s_load_b128 s[4:7], s[0:1], 0x70
	s_load_b128 s[8:11], s[0:1], 0x48
	;; [unrolled: 1-line block ×3, first 2 shown]
	s_load_b64 s[20:21], s[0:1], 0x30
	v_mov_b64_e32 v[8:9], 0
	s_bitcmp1_b32 s3, 8
	s_cselect_b32 s24, -1, 0
	s_bfe_u32 s3, s3, 0x10008
	s_delay_alu instid0(SALU_CYCLE_1)
	s_cmp_eq_u32 s3, 0
	s_cbranch_scc1 .LBB68_6
; %bb.4:
	v_dual_mov_b32 v2, 24 :: v_dual_lshlrev_b32 v3, 20, v22
	v_mov_b64_e32 v[6:7], s[14:15]
	s_and_not1_b32 vcc_lo, exec_lo, s22
	s_delay_alu instid0(VALU_DEP_2) | instskip(NEXT) | instid1(VALU_DEP_1)
	v_add_nc_u64_e32 v[2:3], src_flat_scratch_base_lo, v[2:3]
	v_cndmask_b32_e64 v3, s13, v3, s2
	s_delay_alu instid0(VALU_DEP_2)
	v_cndmask_b32_e64 v2, s12, v2, s2
	flat_load_b64 v[8:9], v[2:3]
	s_cbranch_vccnz .LBB68_6
; %bb.5:
	v_mov_b32_e32 v1, 0
	flat_load_b64 v[6:7], v1, s[12:13] offset:8
.LBB68_6:
	s_clause 0x4
	s_load_b32 s33, s[0:1], 0x0
	s_load_b64 s[22:23], s[0:1], 0x28
	s_load_b64 s[40:41], s[0:1], 0x80
	;; [unrolled: 1-line block ×3, first 2 shown]
	s_load_b128 s[12:15], s[0:1], 0x38
	v_lshl_add_u32 v20, v0, 2, 0
	v_lshlrev_b32_e32 v4, 4, v0
	s_wait_xcnt 0x0
	s_mov_b32 s0, 0
	v_or_b32_e32 v1, 0xfffffc00, v0
	s_mov_b32 s1, s0
	v_mov_b32_e32 v14, v20
	v_add3_u32 v21, v4, 0, 0x2000
	s_mov_b32 s26, s0
	s_mov_b32 s27, s0
	v_mov_b64_e32 v[2:3], s[0:1]
	v_mov_b64_e32 v[4:5], s[26:27]
	v_dual_mov_b32 v15, v1 :: v_dual_mov_b32 v17, v21
	s_wait_kmcnt 0x0
	v_mov_b32_e32 v16, s33
.LBB68_7:                               ; =>This Inner Loop Header: Depth=1
	s_delay_alu instid0(VALU_DEP_2)
	v_add_co_u32 v15, s1, 0x400, v15
	s_xor_b32 s1, s1, -1
	ds_store_b32 v14, v16
	ds_store_2addr_b64 v17, v[2:3], v[4:5] offset1:1
	v_add_nc_u32_e32 v17, 0x4000, v17
	v_add_nc_u32_e32 v14, 0x1000, v14
	s_and_b32 s1, exec_lo, s1
	s_delay_alu instid0(SALU_CYCLE_1) | instskip(NEXT) | instid1(SALU_CYCLE_1)
	s_or_b32 s0, s1, s0
	s_and_not1_b32 exec_lo, exec_lo, s0
	s_cbranch_execnz .LBB68_7
; %bb.8:
	s_or_b32 exec_lo, exec_lo, s0
	s_wait_storecnt 0x0
	s_wait_loadcnt_dscnt 0x0
	s_barrier_signal -1
	s_barrier_wait -1
	s_load_b32 s0, s[16:17], 0x0
	s_bfe_u32 s1, ttmp6, 0x4000c
	s_wait_xcnt 0x0
	s_and_b32 s16, ttmp6, 15
	s_add_co_i32 s1, s1, 1
	s_getreg_b32 s17, hwreg(HW_REG_IB_STS2, 6, 4)
	s_mul_i32 s1, ttmp9, s1
	v_lshrrev_b32_e32 v23, 5, v0
	s_add_co_i32 s16, s16, s1
	s_cmp_eq_u32 s17, 0
	s_cselect_b32 s1, ttmp9, s16
	s_and_b32 vcc_lo, exec_lo, s25
	s_wait_kmcnt 0x0
	s_add_co_i32 s0, s0, s1
	s_load_b32 s42, s[18:19], s0 offset:0x0 scale_offset
	s_cbranch_vccz .LBB68_26
; %bb.9:
	s_wait_kmcnt 0x0
	s_ashr_i32 s43, s42, 31
	v_subrev_nc_u32_e32 v2, s36, v23
	s_lshl_b64 s[0:1], s[42:43], 2
	s_delay_alu instid0(SALU_CYCLE_1)
	s_add_nc_u64 s[0:1], s[22:23], s[0:1]
	s_load_b64 s[16:17], s[0:1], 0x0
	s_wait_xcnt 0x0
	s_mov_b32 s1, exec_lo
	s_wait_kmcnt 0x0
	v_add_nc_u32_e32 v14, s16, v2
	s_sub_co_i32 s0, s17, s36
	s_delay_alu instid0(VALU_DEP_1) | instid1(SALU_CYCLE_1)
	v_cmpx_gt_i32_e64 s0, v14
	s_cbranch_execz .LBB68_25
; %bb.10:
	v_and_b32_e32 v2, 31, v0
	s_mov_b32 s16, 0
	s_delay_alu instid0(VALU_DEP_1)
	v_subrev_nc_u32_e32 v24, s37, v2
	s_branch .LBB68_12
.LBB68_11:                              ;   in Loop: Header=BB68_12 Depth=1
	s_or_b32 exec_lo, exec_lo, s17
	v_add_nc_u32_e32 v14, 32, v14
	s_delay_alu instid0(VALU_DEP_1) | instskip(SKIP_1) | instid1(SALU_CYCLE_1)
	v_cmp_le_i32_e32 vcc_lo, s0, v14
	s_or_b32 s16, vcc_lo, s16
	s_and_not1_b32 exec_lo, exec_lo, s16
	s_cbranch_execz .LBB68_25
.LBB68_12:                              ; =>This Loop Header: Depth=1
                                        ;     Child Loop BB68_16 Depth 2
                                        ;       Child Loop BB68_19 Depth 3
	global_load_b32 v2, v14, s[20:21] scale_offset
	s_mov_b32 s17, exec_lo
	s_wait_loadcnt 0x0
	v_subrev_nc_u32_e32 v2, s36, v2
	s_delay_alu instid0(VALU_DEP_1) | instskip(NEXT) | instid1(VALU_DEP_1)
	v_ashrrev_i32_e32 v3, 31, v2
	v_lshl_add_u64 v[2:3], v[2:3], 2, s[14:15]
	global_load_b64 v[2:3], v[2:3], off
	s_wait_loadcnt 0x0
	v_subrev_nc_u32_e32 v25, s37, v3
	v_add_nc_u32_e32 v26, v2, v24
	s_wait_xcnt 0x0
	s_delay_alu instid0(VALU_DEP_1)
	v_cmpx_lt_i32_e64 v26, v25
	s_cbranch_execz .LBB68_11
; %bb.13:                               ;   in Loop: Header=BB68_12 Depth=1
	v_ashrrev_i32_e32 v15, 31, v14
	s_mov_b32 s18, 0
	s_delay_alu instid0(VALU_DEP_1) | instskip(SKIP_4) | instid1(VALU_DEP_2)
	v_lshl_add_u64 v[2:3], v[14:15], 4, s[12:13]
	global_load_b128 v[2:5], v[2:3], off
	s_wait_loadcnt 0x0
	v_mul_f64_e64 v[16:17], v[4:5], -v[12:13]
	v_mul_f64_e32 v[18:19], v[10:11], v[4:5]
	v_fmac_f64_e32 v[16:17], v[10:11], v[2:3]
	s_delay_alu instid0(VALU_DEP_2)
	v_fmac_f64_e32 v[18:19], v[12:13], v[2:3]
	s_branch .LBB68_16
.LBB68_14:                              ;   in Loop: Header=BB68_16 Depth=2
	s_or_b32 exec_lo, exec_lo, s22
.LBB68_15:                              ;   in Loop: Header=BB68_16 Depth=2
	s_delay_alu instid0(SALU_CYCLE_1) | instskip(SKIP_3) | instid1(VALU_DEP_1)
	s_or_b32 exec_lo, exec_lo, s19
	s_wait_loadcnt 0x0
	v_mul_f64_e64 v[28:29], v[4:5], -v[18:19]
	v_dual_mul_f64 v[4:5], v[16:17], v[4:5] :: v_dual_add_nc_u32 v26, 32, v26
	v_cmp_ge_i32_e32 vcc_lo, v26, v25
	s_or_b32 s18, vcc_lo, s18
	s_delay_alu instid0(VALU_DEP_3) | instskip(NEXT) | instid1(VALU_DEP_3)
	v_fmac_f64_e32 v[28:29], v[16:17], v[2:3]
	v_fmac_f64_e32 v[4:5], v[18:19], v[2:3]
	v_lshl_add_u32 v2, v15, 4, 0
	ds_add_f64 v2, v[28:29] offset:8192
	ds_add_f64 v2, v[4:5] offset:8200
	s_and_not1_b32 exec_lo, exec_lo, s18
	s_cbranch_execz .LBB68_11
.LBB68_16:                              ;   Parent Loop BB68_12 Depth=1
                                        ; =>  This Loop Header: Depth=2
                                        ;       Child Loop BB68_19 Depth 3
	s_clause 0x1
	global_load_b32 v15, v26, s[8:9] scale_offset
	global_load_b128 v[2:5], v26, s[10:11] scale_offset
	s_mov_b32 s19, exec_lo
	s_wait_loadcnt 0x1
	v_subrev_nc_u32_e32 v27, s37, v15
	s_delay_alu instid0(VALU_DEP_1) | instskip(NEXT) | instid1(VALU_DEP_1)
	v_mul_lo_u32 v15, 0x89, v27
	v_and_b32_e32 v15, 0x7ff, v15
	s_delay_alu instid0(VALU_DEP_1)
	v_lshl_add_u32 v28, v15, 2, 0
	ds_load_b32 v29, v28
	s_wait_dscnt 0x0
	s_wait_xcnt 0x0
	v_cmpx_ne_u32_e64 v29, v27
	s_cbranch_execz .LBB68_15
; %bb.17:                               ;   in Loop: Header=BB68_16 Depth=2
	s_mov_b32 s22, 0
	s_branch .LBB68_19
.LBB68_18:                              ;   in Loop: Header=BB68_19 Depth=3
	s_or_b32 exec_lo, exec_lo, s26
	s_delay_alu instid0(SALU_CYCLE_1) | instskip(NEXT) | instid1(SALU_CYCLE_1)
	s_and_b32 s23, exec_lo, s25
	s_or_b32 s22, s23, s22
	s_delay_alu instid0(SALU_CYCLE_1)
	s_and_not1_b32 exec_lo, exec_lo, s22
	s_cbranch_execz .LBB68_14
.LBB68_19:                              ;   Parent Loop BB68_12 Depth=1
                                        ;     Parent Loop BB68_16 Depth=2
                                        ; =>    This Inner Loop Header: Depth=3
	s_mov_b32 s23, 0
	s_mov_b32 s25, exec_lo
	v_cmpx_ne_u32_e64 s33, v29
	s_xor_b32 s25, exec_lo, s25
	s_cbranch_execz .LBB68_21
; %bb.20:                               ;   in Loop: Header=BB68_19 Depth=3
	v_add_nc_u32_e32 v15, 1, v15
	s_mov_b32 s23, exec_lo
                                        ; implicit-def: $vgpr28
	s_delay_alu instid0(VALU_DEP_1)
	v_and_b32_e32 v15, 0x7ff, v15
	s_and_not1_saveexec_b32 s25, s25
	s_cbranch_execz .LBB68_23
	s_branch .LBB68_22
.LBB68_21:                              ;   in Loop: Header=BB68_19 Depth=3
	s_and_not1_saveexec_b32 s25, s25
	s_cbranch_execz .LBB68_23
.LBB68_22:                              ;   in Loop: Header=BB68_19 Depth=3
	v_mov_b32_e32 v29, s33
	s_and_not1_b32 s23, s23, exec_lo
	ds_cmpstore_rtn_b32 v28, v28, v27, v29
	s_wait_dscnt 0x0
	v_cmp_ne_u32_e32 vcc_lo, s33, v28
	s_and_b32 s26, vcc_lo, exec_lo
	s_delay_alu instid0(SALU_CYCLE_1)
	s_or_b32 s23, s23, s26
.LBB68_23:                              ;   in Loop: Header=BB68_19 Depth=3
	s_or_b32 exec_lo, exec_lo, s25
	s_mov_b32 s25, -1
                                        ; implicit-def: $vgpr28
                                        ; implicit-def: $vgpr29
	s_and_saveexec_b32 s26, s23
	s_cbranch_execz .LBB68_18
; %bb.24:                               ;   in Loop: Header=BB68_19 Depth=3
	v_lshl_add_u32 v28, v15, 2, 0
	ds_load_b32 v29, v28
	s_wait_dscnt 0x0
	v_cmp_eq_u32_e32 vcc_lo, v29, v27
	s_or_not1_b32 s25, vcc_lo, exec_lo
	s_branch .LBB68_18
.LBB68_25:
	s_or_b32 exec_lo, exec_lo, s1
.LBB68_26:
	s_delay_alu instid0(SALU_CYCLE_1)
	s_and_not1_b32 vcc_lo, exec_lo, s24
	s_cbranch_vccnz .LBB68_41
; %bb.27:
	s_wait_kmcnt 0x0
	s_ashr_i32 s43, s42, 31
	v_subrev_nc_u32_e32 v2, s39, v0
	s_lshl_b64 s[0:1], s[42:43], 2
	s_delay_alu instid0(SALU_CYCLE_1)
	s_add_nc_u64 s[0:1], s[2:3], s[0:1]
	s_load_b64 s[2:3], s[0:1], 0x0
	s_wait_xcnt 0x0
	s_mov_b32 s1, exec_lo
	s_wait_kmcnt 0x0
	v_add_nc_u32_e32 v10, s2, v2
	s_sub_co_i32 s0, s3, s39
	s_delay_alu instid0(VALU_DEP_1) | instid1(SALU_CYCLE_1)
	v_cmpx_gt_i32_e64 s0, v10
	s_cbranch_execz .LBB68_40
; %bb.28:
	s_mov_b32 s2, 0
	s_branch .LBB68_31
.LBB68_29:                              ;   in Loop: Header=BB68_31 Depth=1
	s_or_b32 exec_lo, exec_lo, s8
.LBB68_30:                              ;   in Loop: Header=BB68_31 Depth=1
	s_delay_alu instid0(SALU_CYCLE_1) | instskip(SKIP_4) | instid1(VALU_DEP_1)
	s_or_b32 exec_lo, exec_lo, s3
	s_wait_loadcnt 0x0
	v_mul_f64_e64 v[12:13], v[4:5], -v[6:7]
	v_mul_f64_e32 v[4:5], v[8:9], v[4:5]
	v_add_nc_u32_e32 v10, 0x400, v10
	v_cmp_le_i32_e32 vcc_lo, s0, v10
	s_or_b32 s2, vcc_lo, s2
	s_delay_alu instid0(VALU_DEP_4) | instskip(NEXT) | instid1(VALU_DEP_4)
	v_fmac_f64_e32 v[12:13], v[8:9], v[2:3]
	v_fmac_f64_e32 v[4:5], v[6:7], v[2:3]
	v_lshl_add_u32 v2, v11, 4, 0
	ds_add_f64 v2, v[12:13] offset:8192
	ds_add_f64 v2, v[4:5] offset:8200
	s_and_not1_b32 exec_lo, exec_lo, s2
	s_cbranch_execz .LBB68_40
.LBB68_31:                              ; =>This Loop Header: Depth=1
                                        ;     Child Loop BB68_34 Depth 2
	s_clause 0x1
	global_load_b32 v11, v10, s[4:5] scale_offset
	global_load_b128 v[2:5], v10, s[6:7] scale_offset
	s_mov_b32 s3, exec_lo
	s_wait_loadcnt 0x1
	v_subrev_nc_u32_e32 v12, s39, v11
	s_delay_alu instid0(VALU_DEP_1) | instskip(NEXT) | instid1(VALU_DEP_1)
	v_mul_lo_u32 v11, 0x89, v12
	v_and_b32_e32 v11, 0x7ff, v11
	s_delay_alu instid0(VALU_DEP_1)
	v_lshl_add_u32 v13, v11, 2, 0
	ds_load_b32 v14, v13
	s_wait_dscnt 0x0
	s_wait_xcnt 0x0
	v_cmpx_ne_u32_e64 v14, v12
	s_cbranch_execz .LBB68_30
; %bb.32:                               ;   in Loop: Header=BB68_31 Depth=1
	s_mov_b32 s8, 0
	s_branch .LBB68_34
.LBB68_33:                              ;   in Loop: Header=BB68_34 Depth=2
	s_or_b32 exec_lo, exec_lo, s11
	s_delay_alu instid0(SALU_CYCLE_1) | instskip(NEXT) | instid1(SALU_CYCLE_1)
	s_and_b32 s9, exec_lo, s10
	s_or_b32 s8, s9, s8
	s_delay_alu instid0(SALU_CYCLE_1)
	s_and_not1_b32 exec_lo, exec_lo, s8
	s_cbranch_execz .LBB68_29
.LBB68_34:                              ;   Parent Loop BB68_31 Depth=1
                                        ; =>  This Inner Loop Header: Depth=2
	s_mov_b32 s9, 0
	s_mov_b32 s10, exec_lo
	v_cmpx_ne_u32_e64 s33, v14
	s_xor_b32 s10, exec_lo, s10
	s_cbranch_execz .LBB68_36
; %bb.35:                               ;   in Loop: Header=BB68_34 Depth=2
	v_add_nc_u32_e32 v11, 1, v11
	s_mov_b32 s9, exec_lo
                                        ; implicit-def: $vgpr13
	s_delay_alu instid0(VALU_DEP_1)
	v_and_b32_e32 v11, 0x7ff, v11
	s_and_not1_saveexec_b32 s10, s10
	s_cbranch_execz .LBB68_38
	s_branch .LBB68_37
.LBB68_36:                              ;   in Loop: Header=BB68_34 Depth=2
	s_and_not1_saveexec_b32 s10, s10
	s_cbranch_execz .LBB68_38
.LBB68_37:                              ;   in Loop: Header=BB68_34 Depth=2
	v_mov_b32_e32 v14, s33
	s_and_not1_b32 s9, s9, exec_lo
	ds_cmpstore_rtn_b32 v13, v13, v12, v14
	s_wait_dscnt 0x0
	v_cmp_ne_u32_e32 vcc_lo, s33, v13
	s_and_b32 s11, vcc_lo, exec_lo
	s_delay_alu instid0(SALU_CYCLE_1)
	s_or_b32 s9, s9, s11
.LBB68_38:                              ;   in Loop: Header=BB68_34 Depth=2
	s_or_b32 exec_lo, exec_lo, s10
	s_mov_b32 s10, -1
                                        ; implicit-def: $vgpr13
                                        ; implicit-def: $vgpr14
	s_and_saveexec_b32 s11, s9
	s_cbranch_execz .LBB68_33
; %bb.39:                               ;   in Loop: Header=BB68_34 Depth=2
	v_lshl_add_u32 v13, v11, 2, 0
	ds_load_b32 v14, v13
	s_wait_dscnt 0x0
	v_cmp_eq_u32_e32 vcc_lo, v14, v12
	s_or_not1_b32 s10, vcc_lo, exec_lo
	s_branch .LBB68_33
.LBB68_40:
	s_or_b32 exec_lo, exec_lo, s1
.LBB68_41:
	v_dual_mov_b32 v3, 0 :: v_dual_bitop2_b32 v2, 31, v22 bitop3:0x14
	v_lshl_add_u32 v4, v23, 2, 0
	s_wait_xcnt 0x0
	v_cmp_lt_u32_e64 s0, 31, v0
	v_cmp_lt_u32_e64 s1, 63, v0
	v_lshrrev_b32_e64 v2, v2, -1
	v_cmp_lt_u32_e64 s2, 0x5f, v0
	v_cmp_lt_u32_e64 s3, 0x7f, v0
	;; [unrolled: 1-line block ×29, first 2 shown]
	v_mov_b32_e32 v5, 0
	s_mov_b32 s36, 0
	s_wait_dscnt 0x0
	v_cmp_eq_u32_e32 vcc_lo, 0x3ff, v0
	s_barrier_signal -1
	s_barrier_wait -1
	s_branch .LBB68_43
.LBB68_42:                              ;   in Loop: Header=BB68_43 Depth=1
	s_or_b32 exec_lo, exec_lo, s31
	s_wait_dscnt 0x0
	s_barrier_signal -1
	s_barrier_wait -1
	ds_load_b32 v6, v3 offset:41084
	v_add_co_u32 v1, s31, 0x400, v1
	s_xor_b32 s31, s31, -1
	v_add_nc_u32_e32 v21, 0x4000, v21
	v_add_nc_u32_e32 v20, 0x1000, v20
	s_and_b32 s31, exec_lo, s31
	s_delay_alu instid0(SALU_CYCLE_1)
	s_or_b32 s36, s31, s36
	s_wait_dscnt 0x0
	v_add_nc_u32_e32 v5, v6, v5
	s_and_not1_b32 exec_lo, exec_lo, s36
	s_cbranch_execz .LBB68_109
.LBB68_43:                              ; =>This Inner Loop Header: Depth=1
	ds_load_b32 v6, v20
	ds_load_2addr_b64 v[8:11], v21 offset1:1
	s_wait_dscnt 0x1
	v_cmp_gt_i32_e64 s31, s33, v6
	s_wait_dscnt 0x0
	scratch_store_b128 off, v[8:11], off
	s_wait_storecnt 0x0
	s_barrier_signal -1
	s_barrier_wait -1
	s_bcnt1_i32_b32 s37, s31
	s_wait_xcnt 0x0
	v_dual_mov_b32 v8, s37 :: v_dual_bitop2_b32 v7, s31, v2 bitop3:0x40
	s_delay_alu instid0(VALU_DEP_1)
	v_bcnt_u32_b32 v7, v7, 0
	ds_store_b32 v4, v8 offset:40960
	s_wait_dscnt 0x0
	s_barrier_signal -1
	s_barrier_wait -1
	s_and_saveexec_b32 s37, s0
	s_cbranch_execz .LBB68_76
; %bb.44:                               ;   in Loop: Header=BB68_43 Depth=1
	ds_load_b32 v8, v3 offset:40960
	s_wait_dscnt 0x0
	v_add_nc_u32_e32 v7, v8, v7
	s_or_b32 exec_lo, exec_lo, s37
	s_and_saveexec_b32 s37, s1
	s_cbranch_execnz .LBB68_77
.LBB68_45:                              ;   in Loop: Header=BB68_43 Depth=1
	s_or_b32 exec_lo, exec_lo, s37
	s_and_saveexec_b32 s37, s2
	s_cbranch_execz .LBB68_78
.LBB68_46:                              ;   in Loop: Header=BB68_43 Depth=1
	ds_load_b32 v8, v3 offset:40968
	s_wait_dscnt 0x0
	v_add_nc_u32_e32 v7, v8, v7
	s_or_b32 exec_lo, exec_lo, s37
	s_and_saveexec_b32 s37, s3
	s_cbranch_execnz .LBB68_79
.LBB68_47:                              ;   in Loop: Header=BB68_43 Depth=1
	s_or_b32 exec_lo, exec_lo, s37
	s_and_saveexec_b32 s37, s4
	s_cbranch_execz .LBB68_80
.LBB68_48:                              ;   in Loop: Header=BB68_43 Depth=1
	ds_load_b32 v8, v3 offset:40976
	s_wait_dscnt 0x0
	v_add_nc_u32_e32 v7, v8, v7
	s_or_b32 exec_lo, exec_lo, s37
	s_and_saveexec_b32 s37, s5
	s_cbranch_execnz .LBB68_81
.LBB68_49:                              ;   in Loop: Header=BB68_43 Depth=1
	s_or_b32 exec_lo, exec_lo, s37
	s_and_saveexec_b32 s37, s6
	s_cbranch_execz .LBB68_82
.LBB68_50:                              ;   in Loop: Header=BB68_43 Depth=1
	ds_load_b32 v8, v3 offset:40984
	s_wait_dscnt 0x0
	v_add_nc_u32_e32 v7, v8, v7
	s_or_b32 exec_lo, exec_lo, s37
	s_and_saveexec_b32 s37, s7
	s_cbranch_execnz .LBB68_83
.LBB68_51:                              ;   in Loop: Header=BB68_43 Depth=1
	s_or_b32 exec_lo, exec_lo, s37
	s_and_saveexec_b32 s37, s8
	s_cbranch_execz .LBB68_84
.LBB68_52:                              ;   in Loop: Header=BB68_43 Depth=1
	ds_load_b32 v8, v3 offset:40992
	s_wait_dscnt 0x0
	v_add_nc_u32_e32 v7, v8, v7
	s_or_b32 exec_lo, exec_lo, s37
	s_and_saveexec_b32 s37, s9
	s_cbranch_execnz .LBB68_85
.LBB68_53:                              ;   in Loop: Header=BB68_43 Depth=1
	s_or_b32 exec_lo, exec_lo, s37
	s_and_saveexec_b32 s37, s10
	s_cbranch_execz .LBB68_86
.LBB68_54:                              ;   in Loop: Header=BB68_43 Depth=1
	ds_load_b32 v8, v3 offset:41000
	s_wait_dscnt 0x0
	v_add_nc_u32_e32 v7, v8, v7
	s_or_b32 exec_lo, exec_lo, s37
	s_and_saveexec_b32 s37, s11
	s_cbranch_execnz .LBB68_87
.LBB68_55:                              ;   in Loop: Header=BB68_43 Depth=1
	s_or_b32 exec_lo, exec_lo, s37
	s_and_saveexec_b32 s37, s12
	s_cbranch_execz .LBB68_88
.LBB68_56:                              ;   in Loop: Header=BB68_43 Depth=1
	ds_load_b32 v8, v3 offset:41008
	s_wait_dscnt 0x0
	v_add_nc_u32_e32 v7, v8, v7
	s_or_b32 exec_lo, exec_lo, s37
	s_and_saveexec_b32 s37, s13
	s_cbranch_execnz .LBB68_89
.LBB68_57:                              ;   in Loop: Header=BB68_43 Depth=1
	s_or_b32 exec_lo, exec_lo, s37
	s_and_saveexec_b32 s37, s14
	s_cbranch_execz .LBB68_90
.LBB68_58:                              ;   in Loop: Header=BB68_43 Depth=1
	ds_load_b32 v8, v3 offset:41016
	s_wait_dscnt 0x0
	v_add_nc_u32_e32 v7, v8, v7
	s_or_b32 exec_lo, exec_lo, s37
	s_and_saveexec_b32 s37, s15
	s_cbranch_execnz .LBB68_91
.LBB68_59:                              ;   in Loop: Header=BB68_43 Depth=1
	s_or_b32 exec_lo, exec_lo, s37
	s_and_saveexec_b32 s37, s16
	s_cbranch_execz .LBB68_92
.LBB68_60:                              ;   in Loop: Header=BB68_43 Depth=1
	ds_load_b32 v8, v3 offset:41024
	s_wait_dscnt 0x0
	v_add_nc_u32_e32 v7, v8, v7
	s_or_b32 exec_lo, exec_lo, s37
	s_and_saveexec_b32 s37, s17
	s_cbranch_execnz .LBB68_93
.LBB68_61:                              ;   in Loop: Header=BB68_43 Depth=1
	s_or_b32 exec_lo, exec_lo, s37
	s_and_saveexec_b32 s37, s18
	s_cbranch_execz .LBB68_94
.LBB68_62:                              ;   in Loop: Header=BB68_43 Depth=1
	ds_load_b32 v8, v3 offset:41032
	s_wait_dscnt 0x0
	v_add_nc_u32_e32 v7, v8, v7
	s_or_b32 exec_lo, exec_lo, s37
	s_and_saveexec_b32 s37, s19
	s_cbranch_execnz .LBB68_95
.LBB68_63:                              ;   in Loop: Header=BB68_43 Depth=1
	s_or_b32 exec_lo, exec_lo, s37
	s_and_saveexec_b32 s37, s20
	s_cbranch_execz .LBB68_96
.LBB68_64:                              ;   in Loop: Header=BB68_43 Depth=1
	ds_load_b32 v8, v3 offset:41040
	s_wait_dscnt 0x0
	v_add_nc_u32_e32 v7, v8, v7
	s_or_b32 exec_lo, exec_lo, s37
	s_and_saveexec_b32 s37, s21
	s_cbranch_execnz .LBB68_97
.LBB68_65:                              ;   in Loop: Header=BB68_43 Depth=1
	s_or_b32 exec_lo, exec_lo, s37
	s_and_saveexec_b32 s37, s22
	s_cbranch_execz .LBB68_98
.LBB68_66:                              ;   in Loop: Header=BB68_43 Depth=1
	ds_load_b32 v8, v3 offset:41048
	s_wait_dscnt 0x0
	v_add_nc_u32_e32 v7, v8, v7
	s_or_b32 exec_lo, exec_lo, s37
	s_and_saveexec_b32 s37, s23
	s_cbranch_execnz .LBB68_99
.LBB68_67:                              ;   in Loop: Header=BB68_43 Depth=1
	s_or_b32 exec_lo, exec_lo, s37
	s_and_saveexec_b32 s37, s24
	s_cbranch_execz .LBB68_100
.LBB68_68:                              ;   in Loop: Header=BB68_43 Depth=1
	ds_load_b32 v8, v3 offset:41056
	s_wait_dscnt 0x0
	v_add_nc_u32_e32 v7, v8, v7
	s_or_b32 exec_lo, exec_lo, s37
	s_and_saveexec_b32 s37, s25
	s_cbranch_execnz .LBB68_101
.LBB68_69:                              ;   in Loop: Header=BB68_43 Depth=1
	s_or_b32 exec_lo, exec_lo, s37
	s_and_saveexec_b32 s37, s26
	s_cbranch_execz .LBB68_102
.LBB68_70:                              ;   in Loop: Header=BB68_43 Depth=1
	ds_load_b32 v8, v3 offset:41064
	s_wait_dscnt 0x0
	v_add_nc_u32_e32 v7, v8, v7
	s_or_b32 exec_lo, exec_lo, s37
	s_and_saveexec_b32 s37, s27
	s_cbranch_execnz .LBB68_103
.LBB68_71:                              ;   in Loop: Header=BB68_43 Depth=1
	s_or_b32 exec_lo, exec_lo, s37
	s_and_saveexec_b32 s37, s28
	s_cbranch_execz .LBB68_104
.LBB68_72:                              ;   in Loop: Header=BB68_43 Depth=1
	ds_load_b32 v8, v3 offset:41072
	s_wait_dscnt 0x0
	v_add_nc_u32_e32 v7, v8, v7
	s_or_b32 exec_lo, exec_lo, s37
	s_and_saveexec_b32 s37, s29
	s_cbranch_execnz .LBB68_105
.LBB68_73:                              ;   in Loop: Header=BB68_43 Depth=1
	s_or_b32 exec_lo, exec_lo, s37
	s_and_saveexec_b32 s37, s30
	s_cbranch_execz .LBB68_106
.LBB68_74:                              ;   in Loop: Header=BB68_43 Depth=1
	ds_load_b32 v8, v3 offset:41080
	s_wait_dscnt 0x0
	v_add_nc_u32_e32 v7, v8, v7
	s_or_b32 exec_lo, exec_lo, s37
	s_and_saveexec_b32 s37, s31
	s_cbranch_execnz .LBB68_107
.LBB68_75:                              ;   in Loop: Header=BB68_43 Depth=1
	s_or_b32 exec_lo, exec_lo, s37
	s_and_saveexec_b32 s31, vcc_lo
	s_cbranch_execz .LBB68_42
	s_branch .LBB68_108
.LBB68_76:                              ;   in Loop: Header=BB68_43 Depth=1
	s_or_b32 exec_lo, exec_lo, s37
	s_and_saveexec_b32 s37, s1
	s_cbranch_execz .LBB68_45
.LBB68_77:                              ;   in Loop: Header=BB68_43 Depth=1
	ds_load_b32 v8, v3 offset:40964
	s_wait_dscnt 0x0
	v_add_nc_u32_e32 v7, v8, v7
	s_or_b32 exec_lo, exec_lo, s37
	s_and_saveexec_b32 s37, s2
	s_cbranch_execnz .LBB68_46
.LBB68_78:                              ;   in Loop: Header=BB68_43 Depth=1
	s_or_b32 exec_lo, exec_lo, s37
	s_and_saveexec_b32 s37, s3
	s_cbranch_execz .LBB68_47
.LBB68_79:                              ;   in Loop: Header=BB68_43 Depth=1
	ds_load_b32 v8, v3 offset:40972
	s_wait_dscnt 0x0
	v_add_nc_u32_e32 v7, v8, v7
	s_or_b32 exec_lo, exec_lo, s37
	s_and_saveexec_b32 s37, s4
	s_cbranch_execnz .LBB68_48
.LBB68_80:                              ;   in Loop: Header=BB68_43 Depth=1
	s_or_b32 exec_lo, exec_lo, s37
	s_and_saveexec_b32 s37, s5
	s_cbranch_execz .LBB68_49
.LBB68_81:                              ;   in Loop: Header=BB68_43 Depth=1
	ds_load_b32 v8, v3 offset:40980
	s_wait_dscnt 0x0
	v_add_nc_u32_e32 v7, v8, v7
	s_or_b32 exec_lo, exec_lo, s37
	s_and_saveexec_b32 s37, s6
	s_cbranch_execnz .LBB68_50
.LBB68_82:                              ;   in Loop: Header=BB68_43 Depth=1
	s_or_b32 exec_lo, exec_lo, s37
	s_and_saveexec_b32 s37, s7
	s_cbranch_execz .LBB68_51
.LBB68_83:                              ;   in Loop: Header=BB68_43 Depth=1
	ds_load_b32 v8, v3 offset:40988
	s_wait_dscnt 0x0
	v_add_nc_u32_e32 v7, v8, v7
	s_or_b32 exec_lo, exec_lo, s37
	s_and_saveexec_b32 s37, s8
	s_cbranch_execnz .LBB68_52
.LBB68_84:                              ;   in Loop: Header=BB68_43 Depth=1
	s_or_b32 exec_lo, exec_lo, s37
	s_and_saveexec_b32 s37, s9
	s_cbranch_execz .LBB68_53
.LBB68_85:                              ;   in Loop: Header=BB68_43 Depth=1
	ds_load_b32 v8, v3 offset:40996
	s_wait_dscnt 0x0
	v_add_nc_u32_e32 v7, v8, v7
	s_or_b32 exec_lo, exec_lo, s37
	s_and_saveexec_b32 s37, s10
	s_cbranch_execnz .LBB68_54
.LBB68_86:                              ;   in Loop: Header=BB68_43 Depth=1
	s_or_b32 exec_lo, exec_lo, s37
	s_and_saveexec_b32 s37, s11
	s_cbranch_execz .LBB68_55
.LBB68_87:                              ;   in Loop: Header=BB68_43 Depth=1
	ds_load_b32 v8, v3 offset:41004
	s_wait_dscnt 0x0
	v_add_nc_u32_e32 v7, v8, v7
	s_or_b32 exec_lo, exec_lo, s37
	s_and_saveexec_b32 s37, s12
	s_cbranch_execnz .LBB68_56
.LBB68_88:                              ;   in Loop: Header=BB68_43 Depth=1
	s_or_b32 exec_lo, exec_lo, s37
	s_and_saveexec_b32 s37, s13
	s_cbranch_execz .LBB68_57
.LBB68_89:                              ;   in Loop: Header=BB68_43 Depth=1
	ds_load_b32 v8, v3 offset:41012
	s_wait_dscnt 0x0
	v_add_nc_u32_e32 v7, v8, v7
	s_or_b32 exec_lo, exec_lo, s37
	s_and_saveexec_b32 s37, s14
	s_cbranch_execnz .LBB68_58
.LBB68_90:                              ;   in Loop: Header=BB68_43 Depth=1
	s_or_b32 exec_lo, exec_lo, s37
	s_and_saveexec_b32 s37, s15
	s_cbranch_execz .LBB68_59
.LBB68_91:                              ;   in Loop: Header=BB68_43 Depth=1
	ds_load_b32 v8, v3 offset:41020
	s_wait_dscnt 0x0
	v_add_nc_u32_e32 v7, v8, v7
	s_or_b32 exec_lo, exec_lo, s37
	s_and_saveexec_b32 s37, s16
	s_cbranch_execnz .LBB68_60
.LBB68_92:                              ;   in Loop: Header=BB68_43 Depth=1
	s_or_b32 exec_lo, exec_lo, s37
	s_and_saveexec_b32 s37, s17
	s_cbranch_execz .LBB68_61
.LBB68_93:                              ;   in Loop: Header=BB68_43 Depth=1
	ds_load_b32 v8, v3 offset:41028
	s_wait_dscnt 0x0
	v_add_nc_u32_e32 v7, v8, v7
	s_or_b32 exec_lo, exec_lo, s37
	s_and_saveexec_b32 s37, s18
	s_cbranch_execnz .LBB68_62
.LBB68_94:                              ;   in Loop: Header=BB68_43 Depth=1
	s_or_b32 exec_lo, exec_lo, s37
	s_and_saveexec_b32 s37, s19
	s_cbranch_execz .LBB68_63
.LBB68_95:                              ;   in Loop: Header=BB68_43 Depth=1
	ds_load_b32 v8, v3 offset:41036
	s_wait_dscnt 0x0
	v_add_nc_u32_e32 v7, v8, v7
	s_or_b32 exec_lo, exec_lo, s37
	s_and_saveexec_b32 s37, s20
	s_cbranch_execnz .LBB68_64
.LBB68_96:                              ;   in Loop: Header=BB68_43 Depth=1
	s_or_b32 exec_lo, exec_lo, s37
	s_and_saveexec_b32 s37, s21
	s_cbranch_execz .LBB68_65
.LBB68_97:                              ;   in Loop: Header=BB68_43 Depth=1
	ds_load_b32 v8, v3 offset:41044
	s_wait_dscnt 0x0
	v_add_nc_u32_e32 v7, v8, v7
	s_or_b32 exec_lo, exec_lo, s37
	s_and_saveexec_b32 s37, s22
	s_cbranch_execnz .LBB68_66
.LBB68_98:                              ;   in Loop: Header=BB68_43 Depth=1
	s_or_b32 exec_lo, exec_lo, s37
	s_and_saveexec_b32 s37, s23
	s_cbranch_execz .LBB68_67
.LBB68_99:                              ;   in Loop: Header=BB68_43 Depth=1
	ds_load_b32 v8, v3 offset:41052
	s_wait_dscnt 0x0
	v_add_nc_u32_e32 v7, v8, v7
	s_or_b32 exec_lo, exec_lo, s37
	s_and_saveexec_b32 s37, s24
	s_cbranch_execnz .LBB68_68
.LBB68_100:                             ;   in Loop: Header=BB68_43 Depth=1
	s_or_b32 exec_lo, exec_lo, s37
	s_and_saveexec_b32 s37, s25
	s_cbranch_execz .LBB68_69
.LBB68_101:                             ;   in Loop: Header=BB68_43 Depth=1
	ds_load_b32 v8, v3 offset:41060
	s_wait_dscnt 0x0
	v_add_nc_u32_e32 v7, v8, v7
	s_or_b32 exec_lo, exec_lo, s37
	s_and_saveexec_b32 s37, s26
	s_cbranch_execnz .LBB68_70
.LBB68_102:                             ;   in Loop: Header=BB68_43 Depth=1
	s_or_b32 exec_lo, exec_lo, s37
	s_and_saveexec_b32 s37, s27
	s_cbranch_execz .LBB68_71
.LBB68_103:                             ;   in Loop: Header=BB68_43 Depth=1
	ds_load_b32 v8, v3 offset:41068
	s_wait_dscnt 0x0
	v_add_nc_u32_e32 v7, v8, v7
	s_or_b32 exec_lo, exec_lo, s37
	s_and_saveexec_b32 s37, s28
	s_cbranch_execnz .LBB68_72
.LBB68_104:                             ;   in Loop: Header=BB68_43 Depth=1
	s_or_b32 exec_lo, exec_lo, s37
	s_and_saveexec_b32 s37, s29
	s_cbranch_execz .LBB68_73
.LBB68_105:                             ;   in Loop: Header=BB68_43 Depth=1
	ds_load_b32 v8, v3 offset:41076
	s_wait_dscnt 0x0
	v_add_nc_u32_e32 v7, v8, v7
	s_or_b32 exec_lo, exec_lo, s37
	s_and_saveexec_b32 s37, s30
	s_cbranch_execnz .LBB68_74
.LBB68_106:                             ;   in Loop: Header=BB68_43 Depth=1
	s_or_b32 exec_lo, exec_lo, s37
	s_and_saveexec_b32 s37, s31
	s_cbranch_execz .LBB68_75
.LBB68_107:                             ;   in Loop: Header=BB68_43 Depth=1
	scratch_load_b128 v[8:11], off, off
	v_add3_u32 v12, v5, -1, v7
	v_add_lshl_u32 v13, v5, v7, 4
	s_delay_alu instid0(VALU_DEP_2) | instskip(NEXT) | instid1(VALU_DEP_2)
	v_lshl_add_u32 v12, v12, 2, 0
	v_add3_u32 v13, 0, v13, 0x1ff0
	ds_store_b32 v12, v6
	s_wait_loadcnt 0x0
	ds_store_2addr_b64 v13, v[8:9], v[10:11] offset1:1
	s_or_b32 exec_lo, exec_lo, s37
	s_and_saveexec_b32 s31, vcc_lo
	s_cbranch_execz .LBB68_42
.LBB68_108:                             ;   in Loop: Header=BB68_43 Depth=1
	ds_store_b32 v3, v7 offset:41084
	s_branch .LBB68_42
.LBB68_109:
	s_or_b32 exec_lo, exec_lo, s36
	s_wait_kmcnt 0x0
	s_ashr_i32 s43, s42, 31
	s_delay_alu instid0(SALU_CYCLE_1) | instskip(NEXT) | instid1(SALU_CYCLE_1)
	s_lshl_b64 s[0:1], s[42:43], 2
	s_add_nc_u64 s[2:3], s[40:41], s[0:1]
	s_load_b64 s[0:1], s[2:3], 0x0
	s_wait_kmcnt 0x0
	s_sub_co_i32 s4, s1, s0
	s_mov_b32 s1, exec_lo
	v_cmpx_gt_i32_e64 s4, v0
	s_cbranch_execz .LBB68_123
; %bb.110:
	v_sub_co_u32 v1, s1, s4, 2
	s_sub_co_i32 s2, s0, s38
	s_xor_b32 s6, s1, -1
	s_and_b32 s5, s4, -2
	v_readfirstlane_b32 s3, v1
	s_lshr_b32 s0, s3, 1
	s_mov_b32 s3, 0
	s_add_co_i32 s0, s0, 1
	s_mov_b32 s11, s3
	s_and_b32 s1, s0, 7
	s_and_b32 s7, s0, -8
	s_cmp_lg_u32 s1, 0
	v_cmp_lt_u32_e64 s0, 13, v1
	s_cselect_b32 s8, -1, 0
	s_cmp_lg_u32 s4, s5
	s_cselect_b32 s9, -1, 0
	s_lshl_b32 s10, s1, 3
	s_branch .LBB68_112
.LBB68_111:                             ;   in Loop: Header=BB68_112 Depth=1
	v_mul_lo_u32 v3, v0, 12
	v_add_nc_u32_e32 v0, 0x400, v0
	s_delay_alu instid0(VALU_DEP_1) | instskip(SKIP_1) | instid1(VALU_DEP_3)
	v_cmp_le_i32_e32 vcc_lo, s4, v0
	s_or_b32 s11, vcc_lo, s11
	v_add3_u32 v1, v1, v3, 0x2000
	s_wait_dscnt 0x0
	ds_load_2addr_b64 v[4:7], v1 offset1:1
	s_wait_dscnt 0x0
	global_store_b128 v2, v[4:7], s[34:35] scale_offset
	s_wait_xcnt 0x0
	s_and_not1_b32 exec_lo, exec_lo, s11
	s_cbranch_execz .LBB68_123
.LBB68_112:                             ; =>This Loop Header: Depth=1
                                        ;     Child Loop BB68_115 Depth 2
                                        ;     Child Loop BB68_118 Depth 2
	;; [unrolled: 1-line block ×3, first 2 shown]
	v_lshl_add_u32 v1, v0, 2, 0
	v_mov_b32_e32 v2, s2
	s_and_not1_b32 vcc_lo, exec_lo, s6
	s_mov_b32 s1, 0
	s_mov_b32 s12, -1
	ds_load_b32 v4, v1
	s_cbranch_vccnz .LBB68_120
; %bb.113:                              ;   in Loop: Header=BB68_112 Depth=1
	v_mov_b64_e32 v[2:3], s[2:3]
	s_and_not1_b32 vcc_lo, exec_lo, s0
	s_mov_b32 s12, 0
	s_cbranch_vccnz .LBB68_116
; %bb.114:                              ;   in Loop: Header=BB68_112 Depth=1
	v_dual_mov_b32 v2, s2 :: v_dual_mov_b32 v3, 0
	s_mov_b32 s13, 0
	s_mov_b32 s14, s7
.LBB68_115:                             ;   Parent Loop BB68_112 Depth=1
                                        ; =>  This Inner Loop Header: Depth=2
	v_mov_b32_e32 v5, s13
	s_add_co_i32 s14, s14, -8
	s_add_co_i32 s12, s12, 16
	s_add_co_i32 s13, s13, 64
	s_cmp_lg_u32 s14, 0
	ds_load_2addr_b32 v[6:7], v5 offset1:1
	ds_load_2addr_b32 v[8:9], v5 offset0:2 offset1:3
	ds_load_2addr_b32 v[10:11], v5 offset0:4 offset1:5
	;; [unrolled: 1-line block ×7, first 2 shown]
	s_wait_dscnt 0x7
	v_cmp_gt_i32_e32 vcc_lo, v4, v7
	s_wait_dscnt 0x5
	v_cmp_gt_i32_e64 s1, v4, v10
	v_cndmask_b32_e64 v5, 0, 1, vcc_lo
	v_cmp_gt_i32_e32 vcc_lo, v4, v6
	s_delay_alu instid0(VALU_DEP_3) | instskip(SKIP_3) | instid1(VALU_DEP_3)
	v_cndmask_b32_e64 v7, 0, 1, s1
	v_cmp_gt_i32_e64 s1, v4, v11
	v_cndmask_b32_e64 v6, 0, 1, vcc_lo
	v_cmp_gt_i32_e32 vcc_lo, v4, v8
	v_cndmask_b32_e64 v8, 0, 1, s1
	s_wait_dscnt 0x4
	v_cmp_gt_i32_e64 s1, v4, v13
	v_add_co_ci_u32_e64 v2, null, v2, v6, vcc_lo
	s_delay_alu instid0(VALU_DEP_2) | instskip(SKIP_3) | instid1(VALU_DEP_2)
	v_cndmask_b32_e64 v10, 0, 1, s1
	v_cmp_gt_i32_e64 s1, v4, v12
	s_wait_dscnt 0x2
	v_cmp_gt_i32_e32 vcc_lo, v4, v16
	v_cndmask_b32_e64 v11, 0, 1, s1
	v_cmp_gt_i32_e64 s1, v4, v14
	v_add_co_ci_u32_e64 v2, null, v2, v7, vcc_lo
	s_wait_dscnt 0x1
	v_cmp_gt_i32_e32 vcc_lo, v4, v18
	s_delay_alu instid0(VALU_DEP_3) | instskip(SKIP_4) | instid1(VALU_DEP_3)
	v_cndmask_b32_e64 v12, 0, 1, s1
	v_cmp_gt_i32_e64 s1, v4, v15
	v_add_co_ci_u32_e64 v2, null, v2, v11, vcc_lo
	s_wait_dscnt 0x0
	v_cmp_gt_i32_e32 vcc_lo, v4, v20
	v_cndmask_b32_e64 v13, 0, 1, s1
	v_cmp_gt_i32_e64 s1, v4, v9
	v_add_co_ci_u32_e64 v2, null, v2, v12, vcc_lo
	s_delay_alu instid0(VALU_DEP_2) | instskip(SKIP_1) | instid1(VALU_DEP_1)
	v_add_co_ci_u32_e64 v3, null, v3, v5, s1
	v_cmp_gt_i32_e64 s1, v4, v17
	v_add_co_ci_u32_e64 v3, null, v3, v8, s1
	v_cmp_gt_i32_e64 s1, v4, v19
	s_delay_alu instid0(VALU_DEP_1) | instskip(SKIP_1) | instid1(VALU_DEP_1)
	v_add_co_ci_u32_e64 v3, null, v3, v10, s1
	v_cmp_gt_i32_e64 s1, v4, v21
	v_add_co_ci_u32_e64 v3, null, v3, v13, s1
	s_cbranch_scc1 .LBB68_115
.LBB68_116:                             ;   in Loop: Header=BB68_112 Depth=1
	s_and_not1_b32 vcc_lo, exec_lo, s8
	s_cbranch_vccnz .LBB68_119
; %bb.117:                              ;   in Loop: Header=BB68_112 Depth=1
	s_lshl_b32 s1, s12, 2
	s_mov_b32 s12, s10
	s_add_co_i32 s1, s1, 0
.LBB68_118:                             ;   Parent Loop BB68_112 Depth=1
                                        ; =>  This Inner Loop Header: Depth=2
	s_delay_alu instid0(SALU_CYCLE_1)
	v_mov_b32_e32 v5, s1
	s_add_co_i32 s12, s12, -8
	s_add_co_i32 s1, s1, 8
	s_cmp_lg_u32 s12, 0
	ds_load_2addr_b32 v[6:7], v5 offset1:1
	s_wait_dscnt 0x0
	v_cmp_gt_i32_e32 vcc_lo, v4, v7
	v_add_co_ci_u32_e64 v3, null, 0, v3, vcc_lo
	v_cmp_gt_i32_e32 vcc_lo, v4, v6
	v_add_co_ci_u32_e64 v2, null, 0, v2, vcc_lo
	s_cbranch_scc1 .LBB68_118
.LBB68_119:                             ;   in Loop: Header=BB68_112 Depth=1
	s_delay_alu instid0(VALU_DEP_1)
	v_add_nc_u32_e32 v2, v2, v3
	s_mov_b32 s1, s5
	s_mov_b32 s12, s9
.LBB68_120:                             ;   in Loop: Header=BB68_112 Depth=1
	s_delay_alu instid0(SALU_CYCLE_1)
	s_and_b32 vcc_lo, exec_lo, s12
	s_cbranch_vccz .LBB68_111
; %bb.121:                              ;   in Loop: Header=BB68_112 Depth=1
	s_lshl_b32 s12, s1, 2
	s_delay_alu instid0(SALU_CYCLE_1)
	s_add_co_i32 s12, s12, 0
.LBB68_122:                             ;   Parent Loop BB68_112 Depth=1
                                        ; =>  This Inner Loop Header: Depth=2
	s_delay_alu instid0(SALU_CYCLE_1)
	v_mov_b32_e32 v3, s12
	s_add_co_i32 s1, s1, 1
	s_add_co_i32 s12, s12, 4
	s_cmp_ge_i32 s1, s4
	ds_load_b32 v3, v3
	s_wait_dscnt 0x0
	v_cmp_gt_i32_e32 vcc_lo, v4, v3
	v_add_co_ci_u32_e64 v2, null, 0, v2, vcc_lo
	s_cbranch_scc0 .LBB68_122
	s_branch .LBB68_111
.LBB68_123:
	s_endpgm
	.section	.rodata,"a",@progbits
	.p2align	6, 0x0
	.amdhsa_kernel _ZN9rocsparseL41csrgemm_numeric_fill_block_per_row_kernelILj1024ELj32ELj2048ELj137ELj32Eii21rocsparse_complex_numIdEEEvT5_PKS3_S5_NS_24const_host_device_scalarIT6_EEPKT4_S5_PKS7_SB_S5_SD_S8_SB_S5_SD_SB_S5_PS7_21rocsparse_index_base_SF_SF_SF_bbb
		.amdhsa_group_segment_fixed_size 0
		.amdhsa_private_segment_fixed_size 40
		.amdhsa_kernarg_size 172
		.amdhsa_user_sgpr_count 2
		.amdhsa_user_sgpr_dispatch_ptr 0
		.amdhsa_user_sgpr_queue_ptr 0
		.amdhsa_user_sgpr_kernarg_segment_ptr 1
		.amdhsa_user_sgpr_dispatch_id 0
		.amdhsa_user_sgpr_kernarg_preload_length 0
		.amdhsa_user_sgpr_kernarg_preload_offset 0
		.amdhsa_user_sgpr_private_segment_size 0
		.amdhsa_wavefront_size32 1
		.amdhsa_uses_dynamic_stack 0
		.amdhsa_enable_private_segment 1
		.amdhsa_system_sgpr_workgroup_id_x 1
		.amdhsa_system_sgpr_workgroup_id_y 0
		.amdhsa_system_sgpr_workgroup_id_z 0
		.amdhsa_system_sgpr_workgroup_info 0
		.amdhsa_system_vgpr_workitem_id 0
		.amdhsa_next_free_vgpr 30
		.amdhsa_next_free_sgpr 44
		.amdhsa_named_barrier_count 0
		.amdhsa_reserve_vcc 1
		.amdhsa_float_round_mode_32 0
		.amdhsa_float_round_mode_16_64 0
		.amdhsa_float_denorm_mode_32 3
		.amdhsa_float_denorm_mode_16_64 3
		.amdhsa_fp16_overflow 0
		.amdhsa_memory_ordered 1
		.amdhsa_forward_progress 1
		.amdhsa_inst_pref_size 36
		.amdhsa_round_robin_scheduling 0
		.amdhsa_exception_fp_ieee_invalid_op 0
		.amdhsa_exception_fp_denorm_src 0
		.amdhsa_exception_fp_ieee_div_zero 0
		.amdhsa_exception_fp_ieee_overflow 0
		.amdhsa_exception_fp_ieee_underflow 0
		.amdhsa_exception_fp_ieee_inexact 0
		.amdhsa_exception_int_div_zero 0
	.end_amdhsa_kernel
	.section	.text._ZN9rocsparseL41csrgemm_numeric_fill_block_per_row_kernelILj1024ELj32ELj2048ELj137ELj32Eii21rocsparse_complex_numIdEEEvT5_PKS3_S5_NS_24const_host_device_scalarIT6_EEPKT4_S5_PKS7_SB_S5_SD_S8_SB_S5_SD_SB_S5_PS7_21rocsparse_index_base_SF_SF_SF_bbb,"axG",@progbits,_ZN9rocsparseL41csrgemm_numeric_fill_block_per_row_kernelILj1024ELj32ELj2048ELj137ELj32Eii21rocsparse_complex_numIdEEEvT5_PKS3_S5_NS_24const_host_device_scalarIT6_EEPKT4_S5_PKS7_SB_S5_SD_S8_SB_S5_SD_SB_S5_PS7_21rocsparse_index_base_SF_SF_SF_bbb,comdat
.Lfunc_end68:
	.size	_ZN9rocsparseL41csrgemm_numeric_fill_block_per_row_kernelILj1024ELj32ELj2048ELj137ELj32Eii21rocsparse_complex_numIdEEEvT5_PKS3_S5_NS_24const_host_device_scalarIT6_EEPKT4_S5_PKS7_SB_S5_SD_S8_SB_S5_SD_SB_S5_PS7_21rocsparse_index_base_SF_SF_SF_bbb, .Lfunc_end68-_ZN9rocsparseL41csrgemm_numeric_fill_block_per_row_kernelILj1024ELj32ELj2048ELj137ELj32Eii21rocsparse_complex_numIdEEEvT5_PKS3_S5_NS_24const_host_device_scalarIT6_EEPKT4_S5_PKS7_SB_S5_SD_S8_SB_S5_SD_SB_S5_PS7_21rocsparse_index_base_SF_SF_SF_bbb
                                        ; -- End function
	.set _ZN9rocsparseL41csrgemm_numeric_fill_block_per_row_kernelILj1024ELj32ELj2048ELj137ELj32Eii21rocsparse_complex_numIdEEEvT5_PKS3_S5_NS_24const_host_device_scalarIT6_EEPKT4_S5_PKS7_SB_S5_SD_S8_SB_S5_SD_SB_S5_PS7_21rocsparse_index_base_SF_SF_SF_bbb.num_vgpr, 30
	.set _ZN9rocsparseL41csrgemm_numeric_fill_block_per_row_kernelILj1024ELj32ELj2048ELj137ELj32Eii21rocsparse_complex_numIdEEEvT5_PKS3_S5_NS_24const_host_device_scalarIT6_EEPKT4_S5_PKS7_SB_S5_SD_S8_SB_S5_SD_SB_S5_PS7_21rocsparse_index_base_SF_SF_SF_bbb.num_agpr, 0
	.set _ZN9rocsparseL41csrgemm_numeric_fill_block_per_row_kernelILj1024ELj32ELj2048ELj137ELj32Eii21rocsparse_complex_numIdEEEvT5_PKS3_S5_NS_24const_host_device_scalarIT6_EEPKT4_S5_PKS7_SB_S5_SD_S8_SB_S5_SD_SB_S5_PS7_21rocsparse_index_base_SF_SF_SF_bbb.numbered_sgpr, 44
	.set _ZN9rocsparseL41csrgemm_numeric_fill_block_per_row_kernelILj1024ELj32ELj2048ELj137ELj32Eii21rocsparse_complex_numIdEEEvT5_PKS3_S5_NS_24const_host_device_scalarIT6_EEPKT4_S5_PKS7_SB_S5_SD_S8_SB_S5_SD_SB_S5_PS7_21rocsparse_index_base_SF_SF_SF_bbb.num_named_barrier, 0
	.set _ZN9rocsparseL41csrgemm_numeric_fill_block_per_row_kernelILj1024ELj32ELj2048ELj137ELj32Eii21rocsparse_complex_numIdEEEvT5_PKS3_S5_NS_24const_host_device_scalarIT6_EEPKT4_S5_PKS7_SB_S5_SD_S8_SB_S5_SD_SB_S5_PS7_21rocsparse_index_base_SF_SF_SF_bbb.private_seg_size, 40
	.set _ZN9rocsparseL41csrgemm_numeric_fill_block_per_row_kernelILj1024ELj32ELj2048ELj137ELj32Eii21rocsparse_complex_numIdEEEvT5_PKS3_S5_NS_24const_host_device_scalarIT6_EEPKT4_S5_PKS7_SB_S5_SD_S8_SB_S5_SD_SB_S5_PS7_21rocsparse_index_base_SF_SF_SF_bbb.uses_vcc, 1
	.set _ZN9rocsparseL41csrgemm_numeric_fill_block_per_row_kernelILj1024ELj32ELj2048ELj137ELj32Eii21rocsparse_complex_numIdEEEvT5_PKS3_S5_NS_24const_host_device_scalarIT6_EEPKT4_S5_PKS7_SB_S5_SD_S8_SB_S5_SD_SB_S5_PS7_21rocsparse_index_base_SF_SF_SF_bbb.uses_flat_scratch, 1
	.set _ZN9rocsparseL41csrgemm_numeric_fill_block_per_row_kernelILj1024ELj32ELj2048ELj137ELj32Eii21rocsparse_complex_numIdEEEvT5_PKS3_S5_NS_24const_host_device_scalarIT6_EEPKT4_S5_PKS7_SB_S5_SD_S8_SB_S5_SD_SB_S5_PS7_21rocsparse_index_base_SF_SF_SF_bbb.has_dyn_sized_stack, 0
	.set _ZN9rocsparseL41csrgemm_numeric_fill_block_per_row_kernelILj1024ELj32ELj2048ELj137ELj32Eii21rocsparse_complex_numIdEEEvT5_PKS3_S5_NS_24const_host_device_scalarIT6_EEPKT4_S5_PKS7_SB_S5_SD_S8_SB_S5_SD_SB_S5_PS7_21rocsparse_index_base_SF_SF_SF_bbb.has_recursion, 0
	.set _ZN9rocsparseL41csrgemm_numeric_fill_block_per_row_kernelILj1024ELj32ELj2048ELj137ELj32Eii21rocsparse_complex_numIdEEEvT5_PKS3_S5_NS_24const_host_device_scalarIT6_EEPKT4_S5_PKS7_SB_S5_SD_S8_SB_S5_SD_SB_S5_PS7_21rocsparse_index_base_SF_SF_SF_bbb.has_indirect_call, 0
	.section	.AMDGPU.csdata,"",@progbits
; Kernel info:
; codeLenInByte = 4584
; TotalNumSgprs: 46
; NumVgprs: 30
; ScratchSize: 40
; MemoryBound: 0
; FloatMode: 240
; IeeeMode: 1
; LDSByteSize: 0 bytes/workgroup (compile time only)
; SGPRBlocks: 0
; VGPRBlocks: 1
; NumSGPRsForWavesPerEU: 46
; NumVGPRsForWavesPerEU: 30
; NamedBarCnt: 0
; Occupancy: 16
; WaveLimiterHint : 1
; COMPUTE_PGM_RSRC2:SCRATCH_EN: 1
; COMPUTE_PGM_RSRC2:USER_SGPR: 2
; COMPUTE_PGM_RSRC2:TRAP_HANDLER: 0
; COMPUTE_PGM_RSRC2:TGID_X_EN: 1
; COMPUTE_PGM_RSRC2:TGID_Y_EN: 0
; COMPUTE_PGM_RSRC2:TGID_Z_EN: 0
; COMPUTE_PGM_RSRC2:TIDIG_COMP_CNT: 0
	.section	.text._ZN9rocsparseL41csrgemm_numeric_fill_block_per_row_kernelILj1024ELj32ELj2048ELj137ELj64Eii21rocsparse_complex_numIdEEEvT5_PKS3_S5_NS_24const_host_device_scalarIT6_EEPKT4_S5_PKS7_SB_S5_SD_S8_SB_S5_SD_SB_S5_PS7_21rocsparse_index_base_SF_SF_SF_bbb,"axG",@progbits,_ZN9rocsparseL41csrgemm_numeric_fill_block_per_row_kernelILj1024ELj32ELj2048ELj137ELj64Eii21rocsparse_complex_numIdEEEvT5_PKS3_S5_NS_24const_host_device_scalarIT6_EEPKT4_S5_PKS7_SB_S5_SD_S8_SB_S5_SD_SB_S5_PS7_21rocsparse_index_base_SF_SF_SF_bbb,comdat
	.globl	_ZN9rocsparseL41csrgemm_numeric_fill_block_per_row_kernelILj1024ELj32ELj2048ELj137ELj64Eii21rocsparse_complex_numIdEEEvT5_PKS3_S5_NS_24const_host_device_scalarIT6_EEPKT4_S5_PKS7_SB_S5_SD_S8_SB_S5_SD_SB_S5_PS7_21rocsparse_index_base_SF_SF_SF_bbb ; -- Begin function _ZN9rocsparseL41csrgemm_numeric_fill_block_per_row_kernelILj1024ELj32ELj2048ELj137ELj64Eii21rocsparse_complex_numIdEEEvT5_PKS3_S5_NS_24const_host_device_scalarIT6_EEPKT4_S5_PKS7_SB_S5_SD_S8_SB_S5_SD_SB_S5_PS7_21rocsparse_index_base_SF_SF_SF_bbb
	.p2align	8
	.type	_ZN9rocsparseL41csrgemm_numeric_fill_block_per_row_kernelILj1024ELj32ELj2048ELj137ELj64Eii21rocsparse_complex_numIdEEEvT5_PKS3_S5_NS_24const_host_device_scalarIT6_EEPKT4_S5_PKS7_SB_S5_SD_S8_SB_S5_SD_SB_S5_PS7_21rocsparse_index_base_SF_SF_SF_bbb,@function
_ZN9rocsparseL41csrgemm_numeric_fill_block_per_row_kernelILj1024ELj32ELj2048ELj137ELj64Eii21rocsparse_complex_numIdEEEvT5_PKS3_S5_NS_24const_host_device_scalarIT6_EEPKT4_S5_PKS7_SB_S5_SD_S8_SB_S5_SD_SB_S5_PS7_21rocsparse_index_base_SF_SF_SF_bbb: ; @_ZN9rocsparseL41csrgemm_numeric_fill_block_per_row_kernelILj1024ELj32ELj2048ELj137ELj64Eii21rocsparse_complex_numIdEEEvT5_PKS3_S5_NS_24const_host_device_scalarIT6_EEPKT4_S5_PKS7_SB_S5_SD_S8_SB_S5_SD_SB_S5_PS7_21rocsparse_index_base_SF_SF_SF_bbb
; %bb.0:
	s_clause 0x3
	s_load_b32 s3, s[0:1], 0xa8
	s_load_b128 s[4:7], s[0:1], 0x18
	s_load_b128 s[12:15], s[0:1], 0x58
	s_load_b128 s[16:19], s[0:1], 0x98
	v_mov_b64_e32 v[6:7], 0
	v_mov_b64_e32 v[10:11], 0
	;; [unrolled: 1-line block ×3, first 2 shown]
	v_mbcnt_lo_u32_b32 v22, -1, 0
	s_wait_kmcnt 0x0
	s_bitcmp1_b32 s3, 0
	v_mov_b64_e32 v[2:3], s[4:5]
	s_cselect_b32 s35, -1, 0
	s_bitcmp1_b32 s3, 16
	v_mov_b64_e32 v[4:5], s[12:13]
	s_cselect_b32 s2, -1, 0
	s_clause 0x1
	scratch_store_b64 off, v[2:3], off offset:16
	scratch_store_b64 off, v[4:5], off offset:24
	s_xor_b32 s26, s2, -1
	s_bitcmp0_b32 s3, 0
	v_cndmask_b32_e64 v1, 0, 1, s26
	s_delay_alu instid0(VALU_DEP_1)
	v_cmp_ne_u32_e32 vcc_lo, 1, v1
	s_cbranch_scc1 .LBB69_3
; %bb.1:
	s_wait_xcnt 0x1
	v_dual_mov_b32 v2, 16 :: v_dual_lshlrev_b32 v3, 20, v22
	v_mov_b64_e32 v[12:13], s[6:7]
	s_and_b32 vcc_lo, exec_lo, vcc_lo
	s_delay_alu instid0(VALU_DEP_2) | instskip(NEXT) | instid1(VALU_DEP_1)
	v_add_nc_u64_e32 v[2:3], src_flat_scratch_base_lo, v[2:3]
	v_cndmask_b32_e64 v3, s5, v3, s2
	s_delay_alu instid0(VALU_DEP_2)
	v_cndmask_b32_e64 v2, s4, v2, s2
	flat_load_b64 v[10:11], v[2:3]
	s_cbranch_vccnz .LBB69_3
; %bb.2:
	v_mov_b32_e32 v1, 0
	flat_load_b64 v[12:13], v1, s[4:5] offset:8
.LBB69_3:
	s_clause 0x4
	s_load_b64 s[24:25], s[0:1], 0x90
	s_load_b128 s[4:7], s[0:1], 0x70
	s_load_b128 s[8:11], s[0:1], 0x48
	;; [unrolled: 1-line block ×3, first 2 shown]
	s_load_b64 s[28:29], s[0:1], 0x30
	v_mov_b64_e32 v[8:9], 0
	s_bitcmp1_b32 s3, 8
	s_cselect_b32 s34, -1, 0
	s_bfe_u32 s3, s3, 0x10008
	s_delay_alu instid0(SALU_CYCLE_1)
	s_cmp_eq_u32 s3, 0
	s_cbranch_scc1 .LBB69_6
; %bb.4:
	v_dual_mov_b32 v2, 24 :: v_dual_lshlrev_b32 v3, 20, v22
	v_mov_b64_e32 v[6:7], s[14:15]
	s_and_not1_b32 vcc_lo, exec_lo, s26
	s_delay_alu instid0(VALU_DEP_2) | instskip(NEXT) | instid1(VALU_DEP_1)
	v_add_nc_u64_e32 v[2:3], src_flat_scratch_base_lo, v[2:3]
	v_cndmask_b32_e64 v3, s13, v3, s2
	s_delay_alu instid0(VALU_DEP_2)
	v_cndmask_b32_e64 v2, s12, v2, s2
	flat_load_b64 v[8:9], v[2:3]
	s_cbranch_vccnz .LBB69_6
; %bb.5:
	v_mov_b32_e32 v1, 0
	flat_load_b64 v[6:7], v1, s[12:13] offset:8
.LBB69_6:
	s_clause 0x4
	s_load_b32 s33, s[0:1], 0x0
	s_load_b64 s[30:31], s[0:1], 0x28
	s_load_b64 s[26:27], s[0:1], 0x80
	;; [unrolled: 1-line block ×3, first 2 shown]
	s_load_b128 s[12:15], s[0:1], 0x38
	v_lshl_add_u32 v20, v0, 2, 0
	v_lshlrev_b32_e32 v4, 4, v0
	s_wait_xcnt 0x0
	s_mov_b32 s0, 0
	v_or_b32_e32 v1, 0xfffffc00, v0
	s_mov_b32 s1, s0
	v_mov_b32_e32 v14, v20
	v_add3_u32 v21, v4, 0, 0x2000
	s_mov_b32 s36, s0
	s_mov_b32 s37, s0
	v_mov_b64_e32 v[2:3], s[0:1]
	v_mov_b64_e32 v[4:5], s[36:37]
	v_dual_mov_b32 v15, v1 :: v_dual_mov_b32 v17, v21
	s_wait_kmcnt 0x0
	v_mov_b32_e32 v16, s33
.LBB69_7:                               ; =>This Inner Loop Header: Depth=1
	s_delay_alu instid0(VALU_DEP_2)
	v_add_co_u32 v15, s1, 0x400, v15
	s_xor_b32 s1, s1, -1
	ds_store_b32 v14, v16
	ds_store_2addr_b64 v17, v[2:3], v[4:5] offset1:1
	v_add_nc_u32_e32 v17, 0x4000, v17
	v_add_nc_u32_e32 v14, 0x1000, v14
	s_and_b32 s1, exec_lo, s1
	s_delay_alu instid0(SALU_CYCLE_1) | instskip(NEXT) | instid1(SALU_CYCLE_1)
	s_or_b32 s0, s1, s0
	s_and_not1_b32 exec_lo, exec_lo, s0
	s_cbranch_execnz .LBB69_7
; %bb.8:
	s_or_b32 exec_lo, exec_lo, s0
	s_wait_storecnt 0x0
	s_wait_loadcnt_dscnt 0x0
	s_barrier_signal -1
	s_barrier_wait -1
	s_load_b32 s0, s[20:21], 0x0
	s_bfe_u32 s1, ttmp6, 0x4000c
	s_wait_xcnt 0x0
	s_and_b32 s20, ttmp6, 15
	s_add_co_i32 s1, s1, 1
	s_getreg_b32 s21, hwreg(HW_REG_IB_STS2, 6, 4)
	s_mul_i32 s1, ttmp9, s1
	s_delay_alu instid0(SALU_CYCLE_1)
	s_add_co_i32 s20, s20, s1
	s_cmp_eq_u32 s21, 0
	s_cselect_b32 s1, ttmp9, s20
	s_and_b32 vcc_lo, exec_lo, s35
	s_wait_kmcnt 0x0
	s_add_co_i32 s0, s0, s1
	s_load_b32 s20, s[22:23], s0 offset:0x0 scale_offset
	s_cbranch_vccz .LBB69_26
; %bb.9:
	s_wait_kmcnt 0x0
	s_ashr_i32 s21, s20, 31
	v_lshrrev_b32_e32 v2, 5, v0
	s_lshl_b64 s[0:1], s[20:21], 2
	s_delay_alu instid0(SALU_CYCLE_1) | instskip(NEXT) | instid1(VALU_DEP_1)
	s_add_nc_u64 s[0:1], s[30:31], s[0:1]
	v_subrev_nc_u32_e32 v2, s16, v2
	s_load_b64 s[22:23], s[0:1], 0x0
	s_wait_xcnt 0x0
	s_mov_b32 s1, exec_lo
	s_wait_kmcnt 0x0
	v_add_nc_u32_e32 v14, s22, v2
	s_sub_co_i32 s0, s23, s16
	s_delay_alu instid0(VALU_DEP_1) | instid1(SALU_CYCLE_1)
	v_cmpx_gt_i32_e64 s0, v14
	s_cbranch_execz .LBB69_25
; %bb.10:
	v_and_b32_e32 v2, 31, v0
	s_mov_b32 s21, 0
	s_delay_alu instid0(VALU_DEP_1)
	v_subrev_nc_u32_e32 v23, s17, v2
	s_branch .LBB69_12
.LBB69_11:                              ;   in Loop: Header=BB69_12 Depth=1
	s_or_b32 exec_lo, exec_lo, s22
	v_add_nc_u32_e32 v14, 32, v14
	s_delay_alu instid0(VALU_DEP_1) | instskip(SKIP_1) | instid1(SALU_CYCLE_1)
	v_cmp_le_i32_e32 vcc_lo, s0, v14
	s_or_b32 s21, vcc_lo, s21
	s_and_not1_b32 exec_lo, exec_lo, s21
	s_cbranch_execz .LBB69_25
.LBB69_12:                              ; =>This Loop Header: Depth=1
                                        ;     Child Loop BB69_16 Depth 2
                                        ;       Child Loop BB69_19 Depth 3
	global_load_b32 v2, v14, s[28:29] scale_offset
	s_mov_b32 s22, exec_lo
	s_wait_loadcnt 0x0
	v_subrev_nc_u32_e32 v2, s16, v2
	s_delay_alu instid0(VALU_DEP_1) | instskip(NEXT) | instid1(VALU_DEP_1)
	v_ashrrev_i32_e32 v3, 31, v2
	v_lshl_add_u64 v[2:3], v[2:3], 2, s[14:15]
	global_load_b64 v[2:3], v[2:3], off
	s_wait_loadcnt 0x0
	v_subrev_nc_u32_e32 v24, s17, v3
	v_add_nc_u32_e32 v25, v2, v23
	s_wait_xcnt 0x0
	s_delay_alu instid0(VALU_DEP_1)
	v_cmpx_lt_i32_e64 v25, v24
	s_cbranch_execz .LBB69_11
; %bb.13:                               ;   in Loop: Header=BB69_12 Depth=1
	v_ashrrev_i32_e32 v15, 31, v14
	s_mov_b32 s23, 0
	s_delay_alu instid0(VALU_DEP_1) | instskip(SKIP_4) | instid1(VALU_DEP_2)
	v_lshl_add_u64 v[2:3], v[14:15], 4, s[12:13]
	global_load_b128 v[2:5], v[2:3], off
	s_wait_loadcnt 0x0
	v_mul_f64_e64 v[16:17], v[4:5], -v[12:13]
	v_mul_f64_e32 v[18:19], v[10:11], v[4:5]
	v_fmac_f64_e32 v[16:17], v[10:11], v[2:3]
	s_delay_alu instid0(VALU_DEP_2)
	v_fmac_f64_e32 v[18:19], v[12:13], v[2:3]
	s_branch .LBB69_16
.LBB69_14:                              ;   in Loop: Header=BB69_16 Depth=2
	s_or_b32 exec_lo, exec_lo, s31
.LBB69_15:                              ;   in Loop: Header=BB69_16 Depth=2
	s_delay_alu instid0(SALU_CYCLE_1) | instskip(SKIP_3) | instid1(VALU_DEP_2)
	s_or_b32 exec_lo, exec_lo, s30
	s_wait_loadcnt 0x0
	v_dual_mul_f64 v[26:27], v[4:5], -v[18:19] :: v_dual_add_nc_u32 v25, 32, v25
	v_mul_f64_e32 v[4:5], v[16:17], v[4:5]
	v_cmp_ge_i32_e32 vcc_lo, v25, v24
	s_or_b32 s23, vcc_lo, s23
	s_delay_alu instid0(VALU_DEP_3) | instskip(NEXT) | instid1(VALU_DEP_3)
	v_fmac_f64_e32 v[26:27], v[16:17], v[2:3]
	v_fmac_f64_e32 v[4:5], v[18:19], v[2:3]
	v_lshl_add_u32 v2, v15, 4, 0
	ds_add_f64 v2, v[26:27] offset:8192
	ds_add_f64 v2, v[4:5] offset:8200
	s_and_not1_b32 exec_lo, exec_lo, s23
	s_cbranch_execz .LBB69_11
.LBB69_16:                              ;   Parent Loop BB69_12 Depth=1
                                        ; =>  This Loop Header: Depth=2
                                        ;       Child Loop BB69_19 Depth 3
	s_clause 0x1
	global_load_b32 v15, v25, s[8:9] scale_offset
	global_load_b128 v[2:5], v25, s[10:11] scale_offset
	s_mov_b32 s30, exec_lo
	s_wait_loadcnt 0x1
	v_subrev_nc_u32_e32 v26, s17, v15
	s_delay_alu instid0(VALU_DEP_1) | instskip(NEXT) | instid1(VALU_DEP_1)
	v_mul_lo_u32 v15, 0x89, v26
	v_and_b32_e32 v15, 0x7ff, v15
	s_delay_alu instid0(VALU_DEP_1)
	v_lshl_add_u32 v27, v15, 2, 0
	ds_load_b32 v28, v27
	s_wait_dscnt 0x0
	s_wait_xcnt 0x0
	v_cmpx_ne_u32_e64 v28, v26
	s_cbranch_execz .LBB69_15
; %bb.17:                               ;   in Loop: Header=BB69_16 Depth=2
	s_mov_b32 s31, 0
	s_branch .LBB69_19
.LBB69_18:                              ;   in Loop: Header=BB69_19 Depth=3
	s_or_b32 exec_lo, exec_lo, s37
	s_delay_alu instid0(SALU_CYCLE_1) | instskip(NEXT) | instid1(SALU_CYCLE_1)
	s_and_b32 s35, exec_lo, s36
	s_or_b32 s31, s35, s31
	s_delay_alu instid0(SALU_CYCLE_1)
	s_and_not1_b32 exec_lo, exec_lo, s31
	s_cbranch_execz .LBB69_14
.LBB69_19:                              ;   Parent Loop BB69_12 Depth=1
                                        ;     Parent Loop BB69_16 Depth=2
                                        ; =>    This Inner Loop Header: Depth=3
	s_mov_b32 s35, 0
	s_mov_b32 s36, exec_lo
	v_cmpx_ne_u32_e64 s33, v28
	s_xor_b32 s36, exec_lo, s36
	s_cbranch_execz .LBB69_21
; %bb.20:                               ;   in Loop: Header=BB69_19 Depth=3
	v_add_nc_u32_e32 v15, 1, v15
	s_mov_b32 s35, exec_lo
                                        ; implicit-def: $vgpr27
	s_delay_alu instid0(VALU_DEP_1)
	v_and_b32_e32 v15, 0x7ff, v15
	s_and_not1_saveexec_b32 s36, s36
	s_cbranch_execz .LBB69_23
	s_branch .LBB69_22
.LBB69_21:                              ;   in Loop: Header=BB69_19 Depth=3
	s_and_not1_saveexec_b32 s36, s36
	s_cbranch_execz .LBB69_23
.LBB69_22:                              ;   in Loop: Header=BB69_19 Depth=3
	v_mov_b32_e32 v28, s33
	s_and_not1_b32 s35, s35, exec_lo
	ds_cmpstore_rtn_b32 v27, v27, v26, v28
	s_wait_dscnt 0x0
	v_cmp_ne_u32_e32 vcc_lo, s33, v27
	s_and_b32 s37, vcc_lo, exec_lo
	s_delay_alu instid0(SALU_CYCLE_1)
	s_or_b32 s35, s35, s37
.LBB69_23:                              ;   in Loop: Header=BB69_19 Depth=3
	s_or_b32 exec_lo, exec_lo, s36
	s_mov_b32 s36, -1
                                        ; implicit-def: $vgpr27
                                        ; implicit-def: $vgpr28
	s_and_saveexec_b32 s37, s35
	s_cbranch_execz .LBB69_18
; %bb.24:                               ;   in Loop: Header=BB69_19 Depth=3
	v_lshl_add_u32 v27, v15, 2, 0
	ds_load_b32 v28, v27
	s_wait_dscnt 0x0
	v_cmp_eq_u32_e32 vcc_lo, v28, v26
	s_or_not1_b32 s36, vcc_lo, exec_lo
	s_branch .LBB69_18
.LBB69_25:
	s_or_b32 exec_lo, exec_lo, s1
.LBB69_26:
	s_delay_alu instid0(SALU_CYCLE_1)
	s_and_not1_b32 vcc_lo, exec_lo, s34
	s_cbranch_vccnz .LBB69_41
; %bb.27:
	s_wait_kmcnt 0x0
	s_ashr_i32 s21, s20, 31
	v_subrev_nc_u32_e32 v2, s19, v0
	s_lshl_b64 s[0:1], s[20:21], 2
	s_delay_alu instid0(SALU_CYCLE_1)
	s_add_nc_u64 s[0:1], s[2:3], s[0:1]
	s_load_b64 s[2:3], s[0:1], 0x0
	s_wait_xcnt 0x0
	s_mov_b32 s1, exec_lo
	s_wait_kmcnt 0x0
	v_add_nc_u32_e32 v10, s2, v2
	s_sub_co_i32 s0, s3, s19
	s_delay_alu instid0(VALU_DEP_1) | instid1(SALU_CYCLE_1)
	v_cmpx_gt_i32_e64 s0, v10
	s_cbranch_execz .LBB69_40
; %bb.28:
	s_mov_b32 s2, 0
	s_branch .LBB69_31
.LBB69_29:                              ;   in Loop: Header=BB69_31 Depth=1
	s_or_b32 exec_lo, exec_lo, s8
.LBB69_30:                              ;   in Loop: Header=BB69_31 Depth=1
	s_delay_alu instid0(SALU_CYCLE_1) | instskip(SKIP_4) | instid1(VALU_DEP_1)
	s_or_b32 exec_lo, exec_lo, s3
	s_wait_loadcnt 0x0
	v_mul_f64_e64 v[12:13], v[4:5], -v[6:7]
	v_mul_f64_e32 v[4:5], v[8:9], v[4:5]
	v_add_nc_u32_e32 v10, 0x400, v10
	v_cmp_le_i32_e32 vcc_lo, s0, v10
	s_or_b32 s2, vcc_lo, s2
	s_delay_alu instid0(VALU_DEP_4) | instskip(NEXT) | instid1(VALU_DEP_4)
	v_fmac_f64_e32 v[12:13], v[8:9], v[2:3]
	v_fmac_f64_e32 v[4:5], v[6:7], v[2:3]
	v_lshl_add_u32 v2, v11, 4, 0
	ds_add_f64 v2, v[12:13] offset:8192
	ds_add_f64 v2, v[4:5] offset:8200
	s_and_not1_b32 exec_lo, exec_lo, s2
	s_cbranch_execz .LBB69_40
.LBB69_31:                              ; =>This Loop Header: Depth=1
                                        ;     Child Loop BB69_34 Depth 2
	s_clause 0x1
	global_load_b32 v11, v10, s[4:5] scale_offset
	global_load_b128 v[2:5], v10, s[6:7] scale_offset
	s_mov_b32 s3, exec_lo
	s_wait_loadcnt 0x1
	v_subrev_nc_u32_e32 v12, s19, v11
	s_delay_alu instid0(VALU_DEP_1) | instskip(NEXT) | instid1(VALU_DEP_1)
	v_mul_lo_u32 v11, 0x89, v12
	v_and_b32_e32 v11, 0x7ff, v11
	s_delay_alu instid0(VALU_DEP_1)
	v_lshl_add_u32 v13, v11, 2, 0
	ds_load_b32 v14, v13
	s_wait_dscnt 0x0
	s_wait_xcnt 0x0
	v_cmpx_ne_u32_e64 v14, v12
	s_cbranch_execz .LBB69_30
; %bb.32:                               ;   in Loop: Header=BB69_31 Depth=1
	s_mov_b32 s8, 0
	s_branch .LBB69_34
.LBB69_33:                              ;   in Loop: Header=BB69_34 Depth=2
	s_or_b32 exec_lo, exec_lo, s11
	s_delay_alu instid0(SALU_CYCLE_1) | instskip(NEXT) | instid1(SALU_CYCLE_1)
	s_and_b32 s9, exec_lo, s10
	s_or_b32 s8, s9, s8
	s_delay_alu instid0(SALU_CYCLE_1)
	s_and_not1_b32 exec_lo, exec_lo, s8
	s_cbranch_execz .LBB69_29
.LBB69_34:                              ;   Parent Loop BB69_31 Depth=1
                                        ; =>  This Inner Loop Header: Depth=2
	s_mov_b32 s9, 0
	s_mov_b32 s10, exec_lo
	v_cmpx_ne_u32_e64 s33, v14
	s_xor_b32 s10, exec_lo, s10
	s_cbranch_execz .LBB69_36
; %bb.35:                               ;   in Loop: Header=BB69_34 Depth=2
	v_add_nc_u32_e32 v11, 1, v11
	s_mov_b32 s9, exec_lo
                                        ; implicit-def: $vgpr13
	s_delay_alu instid0(VALU_DEP_1)
	v_and_b32_e32 v11, 0x7ff, v11
	s_and_not1_saveexec_b32 s10, s10
	s_cbranch_execz .LBB69_38
	s_branch .LBB69_37
.LBB69_36:                              ;   in Loop: Header=BB69_34 Depth=2
	s_and_not1_saveexec_b32 s10, s10
	s_cbranch_execz .LBB69_38
.LBB69_37:                              ;   in Loop: Header=BB69_34 Depth=2
	v_mov_b32_e32 v14, s33
	s_and_not1_b32 s9, s9, exec_lo
	ds_cmpstore_rtn_b32 v13, v13, v12, v14
	s_wait_dscnt 0x0
	v_cmp_ne_u32_e32 vcc_lo, s33, v13
	s_and_b32 s11, vcc_lo, exec_lo
	s_delay_alu instid0(SALU_CYCLE_1)
	s_or_b32 s9, s9, s11
.LBB69_38:                              ;   in Loop: Header=BB69_34 Depth=2
	s_or_b32 exec_lo, exec_lo, s10
	s_mov_b32 s10, -1
                                        ; implicit-def: $vgpr13
                                        ; implicit-def: $vgpr14
	s_and_saveexec_b32 s11, s9
	s_cbranch_execz .LBB69_33
; %bb.39:                               ;   in Loop: Header=BB69_34 Depth=2
	v_lshl_add_u32 v13, v11, 2, 0
	ds_load_b32 v14, v13
	s_wait_dscnt 0x0
	v_cmp_eq_u32_e32 vcc_lo, v14, v12
	s_or_not1_b32 s10, vcc_lo, exec_lo
	s_branch .LBB69_33
.LBB69_40:
	s_or_b32 exec_lo, exec_lo, s1
.LBB69_41:
	v_dual_lshrrev_b32 v2, 4, v0 :: v_dual_bitop2_b32 v4, 31, v22 bitop3:0x14
	v_mov_b32_e32 v3, 0
	s_wait_xcnt 0x0
	v_cmp_lt_u32_e64 s0, 63, v0
	v_cmp_lt_u32_e64 s1, 0x7f, v0
	v_and_b32_e32 v5, 60, v2
	v_cmp_lt_u32_e64 s2, 0xbf, v0
	v_lshrrev_b32_e64 v2, v4, -1
	v_cmp_lt_u32_e64 s3, 0xff, v0
	v_cmp_lt_u32_e64 s4, 0x13f, v0
	v_dual_mov_b32 v5, 0 :: v_dual_add_nc_u32 v4, 0, v5
	v_cmp_lt_u32_e64 s5, 0x17f, v0
	v_cmp_lt_u32_e64 s6, 0x1bf, v0
	;; [unrolled: 1-line block ×10, first 2 shown]
	s_mov_b32 s16, 0
	s_wait_dscnt 0x0
	v_cmp_eq_u32_e32 vcc_lo, 0x3ff, v0
	s_barrier_signal -1
	s_barrier_wait -1
	s_branch .LBB69_43
.LBB69_42:                              ;   in Loop: Header=BB69_43 Depth=1
	s_or_b32 exec_lo, exec_lo, s15
	s_wait_dscnt 0x0
	s_barrier_signal -1
	s_barrier_wait -1
	ds_load_b32 v6, v3 offset:41020
	v_add_co_u32 v1, s15, 0x400, v1
	s_xor_b32 s15, s15, -1
	v_add_nc_u32_e32 v21, 0x4000, v21
	v_add_nc_u32_e32 v20, 0x1000, v20
	s_and_b32 s15, exec_lo, s15
	s_delay_alu instid0(SALU_CYCLE_1)
	s_or_b32 s16, s15, s16
	s_wait_dscnt 0x0
	v_add_nc_u32_e32 v5, v6, v5
	s_and_not1_b32 exec_lo, exec_lo, s16
	s_cbranch_execz .LBB69_77
.LBB69_43:                              ; =>This Inner Loop Header: Depth=1
	ds_load_b32 v6, v20
	ds_load_2addr_b64 v[8:11], v21 offset1:1
	s_wait_dscnt 0x1
	v_cmp_gt_i32_e64 s15, s33, v6
	s_wait_dscnt 0x0
	scratch_store_b128 off, v[8:11], off
	s_wait_storecnt 0x0
	s_barrier_signal -1
	s_barrier_wait -1
	s_bcnt1_i32_b32 s17, s15
	s_wait_xcnt 0x0
	v_dual_mov_b32 v8, s17 :: v_dual_bitop2_b32 v7, s15, v2 bitop3:0x40
	s_delay_alu instid0(VALU_DEP_1)
	v_bcnt_u32_b32 v7, v7, 0
	ds_store_b32 v4, v8 offset:40960
	s_wait_dscnt 0x0
	s_barrier_signal -1
	s_barrier_wait -1
	s_and_saveexec_b32 s17, s0
	s_cbranch_execz .LBB69_60
; %bb.44:                               ;   in Loop: Header=BB69_43 Depth=1
	ds_load_b32 v8, v3 offset:40960
	s_wait_dscnt 0x0
	v_add_nc_u32_e32 v7, v8, v7
	s_or_b32 exec_lo, exec_lo, s17
	s_and_saveexec_b32 s17, s1
	s_cbranch_execnz .LBB69_61
.LBB69_45:                              ;   in Loop: Header=BB69_43 Depth=1
	s_or_b32 exec_lo, exec_lo, s17
	s_and_saveexec_b32 s17, s2
	s_cbranch_execz .LBB69_62
.LBB69_46:                              ;   in Loop: Header=BB69_43 Depth=1
	ds_load_b32 v8, v3 offset:40968
	s_wait_dscnt 0x0
	v_add_nc_u32_e32 v7, v8, v7
	s_or_b32 exec_lo, exec_lo, s17
	s_and_saveexec_b32 s17, s3
	s_cbranch_execnz .LBB69_63
.LBB69_47:                              ;   in Loop: Header=BB69_43 Depth=1
	s_or_b32 exec_lo, exec_lo, s17
	s_and_saveexec_b32 s17, s4
	s_cbranch_execz .LBB69_64
.LBB69_48:                              ;   in Loop: Header=BB69_43 Depth=1
	ds_load_b32 v8, v3 offset:40976
	s_wait_dscnt 0x0
	v_add_nc_u32_e32 v7, v8, v7
	s_or_b32 exec_lo, exec_lo, s17
	s_and_saveexec_b32 s17, s5
	s_cbranch_execnz .LBB69_65
.LBB69_49:                              ;   in Loop: Header=BB69_43 Depth=1
	s_or_b32 exec_lo, exec_lo, s17
	s_and_saveexec_b32 s17, s6
	s_cbranch_execz .LBB69_66
.LBB69_50:                              ;   in Loop: Header=BB69_43 Depth=1
	ds_load_b32 v8, v3 offset:40984
	s_wait_dscnt 0x0
	v_add_nc_u32_e32 v7, v8, v7
	s_or_b32 exec_lo, exec_lo, s17
	s_and_saveexec_b32 s17, s7
	s_cbranch_execnz .LBB69_67
.LBB69_51:                              ;   in Loop: Header=BB69_43 Depth=1
	s_or_b32 exec_lo, exec_lo, s17
	s_and_saveexec_b32 s17, s8
	s_cbranch_execz .LBB69_68
.LBB69_52:                              ;   in Loop: Header=BB69_43 Depth=1
	ds_load_b32 v8, v3 offset:40992
	s_wait_dscnt 0x0
	v_add_nc_u32_e32 v7, v8, v7
	s_or_b32 exec_lo, exec_lo, s17
	s_and_saveexec_b32 s17, s9
	s_cbranch_execnz .LBB69_69
.LBB69_53:                              ;   in Loop: Header=BB69_43 Depth=1
	s_or_b32 exec_lo, exec_lo, s17
	s_and_saveexec_b32 s17, s10
	s_cbranch_execz .LBB69_70
.LBB69_54:                              ;   in Loop: Header=BB69_43 Depth=1
	ds_load_b32 v8, v3 offset:41000
	s_wait_dscnt 0x0
	v_add_nc_u32_e32 v7, v8, v7
	s_or_b32 exec_lo, exec_lo, s17
	s_and_saveexec_b32 s17, s11
	s_cbranch_execnz .LBB69_71
.LBB69_55:                              ;   in Loop: Header=BB69_43 Depth=1
	s_or_b32 exec_lo, exec_lo, s17
	s_and_saveexec_b32 s17, s12
	s_cbranch_execz .LBB69_72
.LBB69_56:                              ;   in Loop: Header=BB69_43 Depth=1
	ds_load_b32 v8, v3 offset:41008
	s_wait_dscnt 0x0
	v_add_nc_u32_e32 v7, v8, v7
	s_or_b32 exec_lo, exec_lo, s17
	s_and_saveexec_b32 s17, s13
	s_cbranch_execnz .LBB69_73
.LBB69_57:                              ;   in Loop: Header=BB69_43 Depth=1
	s_or_b32 exec_lo, exec_lo, s17
	s_and_saveexec_b32 s17, s14
	s_cbranch_execz .LBB69_74
.LBB69_58:                              ;   in Loop: Header=BB69_43 Depth=1
	ds_load_b32 v8, v3 offset:41016
	s_wait_dscnt 0x0
	v_add_nc_u32_e32 v7, v8, v7
	s_or_b32 exec_lo, exec_lo, s17
	s_and_saveexec_b32 s17, s15
	s_cbranch_execnz .LBB69_75
.LBB69_59:                              ;   in Loop: Header=BB69_43 Depth=1
	s_or_b32 exec_lo, exec_lo, s17
	s_and_saveexec_b32 s15, vcc_lo
	s_cbranch_execz .LBB69_42
	s_branch .LBB69_76
.LBB69_60:                              ;   in Loop: Header=BB69_43 Depth=1
	s_or_b32 exec_lo, exec_lo, s17
	s_and_saveexec_b32 s17, s1
	s_cbranch_execz .LBB69_45
.LBB69_61:                              ;   in Loop: Header=BB69_43 Depth=1
	ds_load_b32 v8, v3 offset:40964
	s_wait_dscnt 0x0
	v_add_nc_u32_e32 v7, v8, v7
	s_or_b32 exec_lo, exec_lo, s17
	s_and_saveexec_b32 s17, s2
	s_cbranch_execnz .LBB69_46
.LBB69_62:                              ;   in Loop: Header=BB69_43 Depth=1
	s_or_b32 exec_lo, exec_lo, s17
	s_and_saveexec_b32 s17, s3
	s_cbranch_execz .LBB69_47
.LBB69_63:                              ;   in Loop: Header=BB69_43 Depth=1
	ds_load_b32 v8, v3 offset:40972
	s_wait_dscnt 0x0
	v_add_nc_u32_e32 v7, v8, v7
	s_or_b32 exec_lo, exec_lo, s17
	s_and_saveexec_b32 s17, s4
	s_cbranch_execnz .LBB69_48
.LBB69_64:                              ;   in Loop: Header=BB69_43 Depth=1
	s_or_b32 exec_lo, exec_lo, s17
	s_and_saveexec_b32 s17, s5
	s_cbranch_execz .LBB69_49
.LBB69_65:                              ;   in Loop: Header=BB69_43 Depth=1
	ds_load_b32 v8, v3 offset:40980
	s_wait_dscnt 0x0
	v_add_nc_u32_e32 v7, v8, v7
	s_or_b32 exec_lo, exec_lo, s17
	s_and_saveexec_b32 s17, s6
	s_cbranch_execnz .LBB69_50
.LBB69_66:                              ;   in Loop: Header=BB69_43 Depth=1
	s_or_b32 exec_lo, exec_lo, s17
	s_and_saveexec_b32 s17, s7
	s_cbranch_execz .LBB69_51
.LBB69_67:                              ;   in Loop: Header=BB69_43 Depth=1
	ds_load_b32 v8, v3 offset:40988
	s_wait_dscnt 0x0
	v_add_nc_u32_e32 v7, v8, v7
	s_or_b32 exec_lo, exec_lo, s17
	s_and_saveexec_b32 s17, s8
	s_cbranch_execnz .LBB69_52
.LBB69_68:                              ;   in Loop: Header=BB69_43 Depth=1
	s_or_b32 exec_lo, exec_lo, s17
	s_and_saveexec_b32 s17, s9
	s_cbranch_execz .LBB69_53
.LBB69_69:                              ;   in Loop: Header=BB69_43 Depth=1
	ds_load_b32 v8, v3 offset:40996
	s_wait_dscnt 0x0
	v_add_nc_u32_e32 v7, v8, v7
	s_or_b32 exec_lo, exec_lo, s17
	s_and_saveexec_b32 s17, s10
	s_cbranch_execnz .LBB69_54
.LBB69_70:                              ;   in Loop: Header=BB69_43 Depth=1
	s_or_b32 exec_lo, exec_lo, s17
	s_and_saveexec_b32 s17, s11
	s_cbranch_execz .LBB69_55
.LBB69_71:                              ;   in Loop: Header=BB69_43 Depth=1
	ds_load_b32 v8, v3 offset:41004
	s_wait_dscnt 0x0
	v_add_nc_u32_e32 v7, v8, v7
	s_or_b32 exec_lo, exec_lo, s17
	s_and_saveexec_b32 s17, s12
	s_cbranch_execnz .LBB69_56
.LBB69_72:                              ;   in Loop: Header=BB69_43 Depth=1
	s_or_b32 exec_lo, exec_lo, s17
	s_and_saveexec_b32 s17, s13
	s_cbranch_execz .LBB69_57
.LBB69_73:                              ;   in Loop: Header=BB69_43 Depth=1
	ds_load_b32 v8, v3 offset:41012
	s_wait_dscnt 0x0
	v_add_nc_u32_e32 v7, v8, v7
	s_or_b32 exec_lo, exec_lo, s17
	s_and_saveexec_b32 s17, s14
	s_cbranch_execnz .LBB69_58
.LBB69_74:                              ;   in Loop: Header=BB69_43 Depth=1
	s_or_b32 exec_lo, exec_lo, s17
	s_and_saveexec_b32 s17, s15
	s_cbranch_execz .LBB69_59
.LBB69_75:                              ;   in Loop: Header=BB69_43 Depth=1
	scratch_load_b128 v[8:11], off, off
	v_add3_u32 v12, v5, -1, v7
	v_add_lshl_u32 v13, v5, v7, 4
	s_delay_alu instid0(VALU_DEP_2) | instskip(NEXT) | instid1(VALU_DEP_2)
	v_lshl_add_u32 v12, v12, 2, 0
	v_add3_u32 v13, 0, v13, 0x1ff0
	ds_store_b32 v12, v6
	s_wait_loadcnt 0x0
	ds_store_2addr_b64 v13, v[8:9], v[10:11] offset1:1
	s_or_b32 exec_lo, exec_lo, s17
	s_and_saveexec_b32 s15, vcc_lo
	s_cbranch_execz .LBB69_42
.LBB69_76:                              ;   in Loop: Header=BB69_43 Depth=1
	ds_store_b32 v3, v7 offset:41020
	s_branch .LBB69_42
.LBB69_77:
	s_or_b32 exec_lo, exec_lo, s16
	s_wait_kmcnt 0x0
	s_ashr_i32 s21, s20, 31
	s_delay_alu instid0(SALU_CYCLE_1) | instskip(NEXT) | instid1(SALU_CYCLE_1)
	s_lshl_b64 s[0:1], s[20:21], 2
	s_add_nc_u64 s[2:3], s[26:27], s[0:1]
	s_load_b64 s[0:1], s[2:3], 0x0
	s_wait_kmcnt 0x0
	s_sub_co_i32 s4, s1, s0
	s_mov_b32 s1, exec_lo
	v_cmpx_gt_i32_e64 s4, v0
	s_cbranch_execz .LBB69_91
; %bb.78:
	v_sub_co_u32 v1, s1, s4, 2
	s_sub_co_i32 s2, s0, s18
	s_xor_b32 s6, s1, -1
	s_and_b32 s5, s4, -2
	v_readfirstlane_b32 s3, v1
	s_lshr_b32 s0, s3, 1
	s_mov_b32 s3, 0
	s_add_co_i32 s0, s0, 1
	s_mov_b32 s11, s3
	s_and_b32 s1, s0, 7
	s_and_b32 s7, s0, -8
	s_cmp_lg_u32 s1, 0
	v_cmp_lt_u32_e64 s0, 13, v1
	s_cselect_b32 s8, -1, 0
	s_cmp_lg_u32 s4, s5
	s_cselect_b32 s9, -1, 0
	s_lshl_b32 s10, s1, 3
	s_branch .LBB69_80
.LBB69_79:                              ;   in Loop: Header=BB69_80 Depth=1
	v_mul_lo_u32 v3, v0, 12
	v_add_nc_u32_e32 v0, 0x400, v0
	s_delay_alu instid0(VALU_DEP_1) | instskip(SKIP_1) | instid1(VALU_DEP_3)
	v_cmp_le_i32_e32 vcc_lo, s4, v0
	s_or_b32 s11, vcc_lo, s11
	v_add3_u32 v1, v1, v3, 0x2000
	s_wait_dscnt 0x0
	ds_load_2addr_b64 v[4:7], v1 offset1:1
	s_wait_dscnt 0x0
	global_store_b128 v2, v[4:7], s[24:25] scale_offset
	s_wait_xcnt 0x0
	s_and_not1_b32 exec_lo, exec_lo, s11
	s_cbranch_execz .LBB69_91
.LBB69_80:                              ; =>This Loop Header: Depth=1
                                        ;     Child Loop BB69_83 Depth 2
                                        ;     Child Loop BB69_86 Depth 2
	;; [unrolled: 1-line block ×3, first 2 shown]
	v_lshl_add_u32 v1, v0, 2, 0
	v_mov_b32_e32 v2, s2
	s_and_not1_b32 vcc_lo, exec_lo, s6
	s_mov_b32 s1, 0
	s_mov_b32 s12, -1
	ds_load_b32 v4, v1
	s_cbranch_vccnz .LBB69_88
; %bb.81:                               ;   in Loop: Header=BB69_80 Depth=1
	v_mov_b64_e32 v[2:3], s[2:3]
	s_and_not1_b32 vcc_lo, exec_lo, s0
	s_mov_b32 s12, 0
	s_cbranch_vccnz .LBB69_84
; %bb.82:                               ;   in Loop: Header=BB69_80 Depth=1
	v_dual_mov_b32 v2, s2 :: v_dual_mov_b32 v3, 0
	s_mov_b32 s13, 0
	s_mov_b32 s14, s7
.LBB69_83:                              ;   Parent Loop BB69_80 Depth=1
                                        ; =>  This Inner Loop Header: Depth=2
	v_mov_b32_e32 v5, s13
	s_add_co_i32 s14, s14, -8
	s_add_co_i32 s12, s12, 16
	s_add_co_i32 s13, s13, 64
	s_cmp_lg_u32 s14, 0
	ds_load_2addr_b32 v[6:7], v5 offset1:1
	ds_load_2addr_b32 v[8:9], v5 offset0:2 offset1:3
	ds_load_2addr_b32 v[10:11], v5 offset0:4 offset1:5
	;; [unrolled: 1-line block ×7, first 2 shown]
	s_wait_dscnt 0x7
	v_cmp_gt_i32_e32 vcc_lo, v4, v7
	s_wait_dscnt 0x5
	v_cmp_gt_i32_e64 s1, v4, v10
	v_cndmask_b32_e64 v5, 0, 1, vcc_lo
	v_cmp_gt_i32_e32 vcc_lo, v4, v6
	s_delay_alu instid0(VALU_DEP_3) | instskip(SKIP_3) | instid1(VALU_DEP_3)
	v_cndmask_b32_e64 v7, 0, 1, s1
	v_cmp_gt_i32_e64 s1, v4, v11
	v_cndmask_b32_e64 v6, 0, 1, vcc_lo
	v_cmp_gt_i32_e32 vcc_lo, v4, v8
	v_cndmask_b32_e64 v8, 0, 1, s1
	s_wait_dscnt 0x4
	v_cmp_gt_i32_e64 s1, v4, v13
	v_add_co_ci_u32_e64 v2, null, v2, v6, vcc_lo
	s_delay_alu instid0(VALU_DEP_2) | instskip(SKIP_3) | instid1(VALU_DEP_2)
	v_cndmask_b32_e64 v10, 0, 1, s1
	v_cmp_gt_i32_e64 s1, v4, v12
	s_wait_dscnt 0x2
	v_cmp_gt_i32_e32 vcc_lo, v4, v16
	v_cndmask_b32_e64 v11, 0, 1, s1
	v_cmp_gt_i32_e64 s1, v4, v14
	v_add_co_ci_u32_e64 v2, null, v2, v7, vcc_lo
	s_wait_dscnt 0x1
	v_cmp_gt_i32_e32 vcc_lo, v4, v18
	s_delay_alu instid0(VALU_DEP_3) | instskip(SKIP_4) | instid1(VALU_DEP_3)
	v_cndmask_b32_e64 v12, 0, 1, s1
	v_cmp_gt_i32_e64 s1, v4, v15
	v_add_co_ci_u32_e64 v2, null, v2, v11, vcc_lo
	s_wait_dscnt 0x0
	v_cmp_gt_i32_e32 vcc_lo, v4, v20
	v_cndmask_b32_e64 v13, 0, 1, s1
	v_cmp_gt_i32_e64 s1, v4, v9
	v_add_co_ci_u32_e64 v2, null, v2, v12, vcc_lo
	s_delay_alu instid0(VALU_DEP_2) | instskip(SKIP_1) | instid1(VALU_DEP_1)
	v_add_co_ci_u32_e64 v3, null, v3, v5, s1
	v_cmp_gt_i32_e64 s1, v4, v17
	v_add_co_ci_u32_e64 v3, null, v3, v8, s1
	v_cmp_gt_i32_e64 s1, v4, v19
	s_delay_alu instid0(VALU_DEP_1) | instskip(SKIP_1) | instid1(VALU_DEP_1)
	v_add_co_ci_u32_e64 v3, null, v3, v10, s1
	v_cmp_gt_i32_e64 s1, v4, v21
	v_add_co_ci_u32_e64 v3, null, v3, v13, s1
	s_cbranch_scc1 .LBB69_83
.LBB69_84:                              ;   in Loop: Header=BB69_80 Depth=1
	s_and_not1_b32 vcc_lo, exec_lo, s8
	s_cbranch_vccnz .LBB69_87
; %bb.85:                               ;   in Loop: Header=BB69_80 Depth=1
	s_lshl_b32 s1, s12, 2
	s_mov_b32 s12, s10
	s_add_co_i32 s1, s1, 0
.LBB69_86:                              ;   Parent Loop BB69_80 Depth=1
                                        ; =>  This Inner Loop Header: Depth=2
	s_delay_alu instid0(SALU_CYCLE_1)
	v_mov_b32_e32 v5, s1
	s_add_co_i32 s12, s12, -8
	s_add_co_i32 s1, s1, 8
	s_cmp_lg_u32 s12, 0
	ds_load_2addr_b32 v[6:7], v5 offset1:1
	s_wait_dscnt 0x0
	v_cmp_gt_i32_e32 vcc_lo, v4, v7
	v_add_co_ci_u32_e64 v3, null, 0, v3, vcc_lo
	v_cmp_gt_i32_e32 vcc_lo, v4, v6
	v_add_co_ci_u32_e64 v2, null, 0, v2, vcc_lo
	s_cbranch_scc1 .LBB69_86
.LBB69_87:                              ;   in Loop: Header=BB69_80 Depth=1
	s_delay_alu instid0(VALU_DEP_1)
	v_add_nc_u32_e32 v2, v2, v3
	s_mov_b32 s1, s5
	s_mov_b32 s12, s9
.LBB69_88:                              ;   in Loop: Header=BB69_80 Depth=1
	s_delay_alu instid0(SALU_CYCLE_1)
	s_and_b32 vcc_lo, exec_lo, s12
	s_cbranch_vccz .LBB69_79
; %bb.89:                               ;   in Loop: Header=BB69_80 Depth=1
	s_lshl_b32 s12, s1, 2
	s_delay_alu instid0(SALU_CYCLE_1)
	s_add_co_i32 s12, s12, 0
.LBB69_90:                              ;   Parent Loop BB69_80 Depth=1
                                        ; =>  This Inner Loop Header: Depth=2
	s_delay_alu instid0(SALU_CYCLE_1)
	v_mov_b32_e32 v3, s12
	s_add_co_i32 s1, s1, 1
	s_add_co_i32 s12, s12, 4
	s_cmp_ge_i32 s1, s4
	ds_load_b32 v3, v3
	s_wait_dscnt 0x0
	v_cmp_gt_i32_e32 vcc_lo, v4, v3
	v_add_co_ci_u32_e64 v2, null, 0, v2, vcc_lo
	s_cbranch_scc0 .LBB69_90
	s_branch .LBB69_79
.LBB69_91:
	s_endpgm
	.section	.rodata,"a",@progbits
	.p2align	6, 0x0
	.amdhsa_kernel _ZN9rocsparseL41csrgemm_numeric_fill_block_per_row_kernelILj1024ELj32ELj2048ELj137ELj64Eii21rocsparse_complex_numIdEEEvT5_PKS3_S5_NS_24const_host_device_scalarIT6_EEPKT4_S5_PKS7_SB_S5_SD_S8_SB_S5_SD_SB_S5_PS7_21rocsparse_index_base_SF_SF_SF_bbb
		.amdhsa_group_segment_fixed_size 0
		.amdhsa_private_segment_fixed_size 40
		.amdhsa_kernarg_size 172
		.amdhsa_user_sgpr_count 2
		.amdhsa_user_sgpr_dispatch_ptr 0
		.amdhsa_user_sgpr_queue_ptr 0
		.amdhsa_user_sgpr_kernarg_segment_ptr 1
		.amdhsa_user_sgpr_dispatch_id 0
		.amdhsa_user_sgpr_kernarg_preload_length 0
		.amdhsa_user_sgpr_kernarg_preload_offset 0
		.amdhsa_user_sgpr_private_segment_size 0
		.amdhsa_wavefront_size32 1
		.amdhsa_uses_dynamic_stack 0
		.amdhsa_enable_private_segment 1
		.amdhsa_system_sgpr_workgroup_id_x 1
		.amdhsa_system_sgpr_workgroup_id_y 0
		.amdhsa_system_sgpr_workgroup_id_z 0
		.amdhsa_system_sgpr_workgroup_info 0
		.amdhsa_system_vgpr_workitem_id 0
		.amdhsa_next_free_vgpr 29
		.amdhsa_next_free_sgpr 38
		.amdhsa_named_barrier_count 0
		.amdhsa_reserve_vcc 1
		.amdhsa_float_round_mode_32 0
		.amdhsa_float_round_mode_16_64 0
		.amdhsa_float_denorm_mode_32 3
		.amdhsa_float_denorm_mode_16_64 3
		.amdhsa_fp16_overflow 0
		.amdhsa_memory_ordered 1
		.amdhsa_forward_progress 1
		.amdhsa_inst_pref_size 30
		.amdhsa_round_robin_scheduling 0
		.amdhsa_exception_fp_ieee_invalid_op 0
		.amdhsa_exception_fp_denorm_src 0
		.amdhsa_exception_fp_ieee_div_zero 0
		.amdhsa_exception_fp_ieee_overflow 0
		.amdhsa_exception_fp_ieee_underflow 0
		.amdhsa_exception_fp_ieee_inexact 0
		.amdhsa_exception_int_div_zero 0
	.end_amdhsa_kernel
	.section	.text._ZN9rocsparseL41csrgemm_numeric_fill_block_per_row_kernelILj1024ELj32ELj2048ELj137ELj64Eii21rocsparse_complex_numIdEEEvT5_PKS3_S5_NS_24const_host_device_scalarIT6_EEPKT4_S5_PKS7_SB_S5_SD_S8_SB_S5_SD_SB_S5_PS7_21rocsparse_index_base_SF_SF_SF_bbb,"axG",@progbits,_ZN9rocsparseL41csrgemm_numeric_fill_block_per_row_kernelILj1024ELj32ELj2048ELj137ELj64Eii21rocsparse_complex_numIdEEEvT5_PKS3_S5_NS_24const_host_device_scalarIT6_EEPKT4_S5_PKS7_SB_S5_SD_S8_SB_S5_SD_SB_S5_PS7_21rocsparse_index_base_SF_SF_SF_bbb,comdat
.Lfunc_end69:
	.size	_ZN9rocsparseL41csrgemm_numeric_fill_block_per_row_kernelILj1024ELj32ELj2048ELj137ELj64Eii21rocsparse_complex_numIdEEEvT5_PKS3_S5_NS_24const_host_device_scalarIT6_EEPKT4_S5_PKS7_SB_S5_SD_S8_SB_S5_SD_SB_S5_PS7_21rocsparse_index_base_SF_SF_SF_bbb, .Lfunc_end69-_ZN9rocsparseL41csrgemm_numeric_fill_block_per_row_kernelILj1024ELj32ELj2048ELj137ELj64Eii21rocsparse_complex_numIdEEEvT5_PKS3_S5_NS_24const_host_device_scalarIT6_EEPKT4_S5_PKS7_SB_S5_SD_S8_SB_S5_SD_SB_S5_PS7_21rocsparse_index_base_SF_SF_SF_bbb
                                        ; -- End function
	.set _ZN9rocsparseL41csrgemm_numeric_fill_block_per_row_kernelILj1024ELj32ELj2048ELj137ELj64Eii21rocsparse_complex_numIdEEEvT5_PKS3_S5_NS_24const_host_device_scalarIT6_EEPKT4_S5_PKS7_SB_S5_SD_S8_SB_S5_SD_SB_S5_PS7_21rocsparse_index_base_SF_SF_SF_bbb.num_vgpr, 29
	.set _ZN9rocsparseL41csrgemm_numeric_fill_block_per_row_kernelILj1024ELj32ELj2048ELj137ELj64Eii21rocsparse_complex_numIdEEEvT5_PKS3_S5_NS_24const_host_device_scalarIT6_EEPKT4_S5_PKS7_SB_S5_SD_S8_SB_S5_SD_SB_S5_PS7_21rocsparse_index_base_SF_SF_SF_bbb.num_agpr, 0
	.set _ZN9rocsparseL41csrgemm_numeric_fill_block_per_row_kernelILj1024ELj32ELj2048ELj137ELj64Eii21rocsparse_complex_numIdEEEvT5_PKS3_S5_NS_24const_host_device_scalarIT6_EEPKT4_S5_PKS7_SB_S5_SD_S8_SB_S5_SD_SB_S5_PS7_21rocsparse_index_base_SF_SF_SF_bbb.numbered_sgpr, 38
	.set _ZN9rocsparseL41csrgemm_numeric_fill_block_per_row_kernelILj1024ELj32ELj2048ELj137ELj64Eii21rocsparse_complex_numIdEEEvT5_PKS3_S5_NS_24const_host_device_scalarIT6_EEPKT4_S5_PKS7_SB_S5_SD_S8_SB_S5_SD_SB_S5_PS7_21rocsparse_index_base_SF_SF_SF_bbb.num_named_barrier, 0
	.set _ZN9rocsparseL41csrgemm_numeric_fill_block_per_row_kernelILj1024ELj32ELj2048ELj137ELj64Eii21rocsparse_complex_numIdEEEvT5_PKS3_S5_NS_24const_host_device_scalarIT6_EEPKT4_S5_PKS7_SB_S5_SD_S8_SB_S5_SD_SB_S5_PS7_21rocsparse_index_base_SF_SF_SF_bbb.private_seg_size, 40
	.set _ZN9rocsparseL41csrgemm_numeric_fill_block_per_row_kernelILj1024ELj32ELj2048ELj137ELj64Eii21rocsparse_complex_numIdEEEvT5_PKS3_S5_NS_24const_host_device_scalarIT6_EEPKT4_S5_PKS7_SB_S5_SD_S8_SB_S5_SD_SB_S5_PS7_21rocsparse_index_base_SF_SF_SF_bbb.uses_vcc, 1
	.set _ZN9rocsparseL41csrgemm_numeric_fill_block_per_row_kernelILj1024ELj32ELj2048ELj137ELj64Eii21rocsparse_complex_numIdEEEvT5_PKS3_S5_NS_24const_host_device_scalarIT6_EEPKT4_S5_PKS7_SB_S5_SD_S8_SB_S5_SD_SB_S5_PS7_21rocsparse_index_base_SF_SF_SF_bbb.uses_flat_scratch, 1
	.set _ZN9rocsparseL41csrgemm_numeric_fill_block_per_row_kernelILj1024ELj32ELj2048ELj137ELj64Eii21rocsparse_complex_numIdEEEvT5_PKS3_S5_NS_24const_host_device_scalarIT6_EEPKT4_S5_PKS7_SB_S5_SD_S8_SB_S5_SD_SB_S5_PS7_21rocsparse_index_base_SF_SF_SF_bbb.has_dyn_sized_stack, 0
	.set _ZN9rocsparseL41csrgemm_numeric_fill_block_per_row_kernelILj1024ELj32ELj2048ELj137ELj64Eii21rocsparse_complex_numIdEEEvT5_PKS3_S5_NS_24const_host_device_scalarIT6_EEPKT4_S5_PKS7_SB_S5_SD_S8_SB_S5_SD_SB_S5_PS7_21rocsparse_index_base_SF_SF_SF_bbb.has_recursion, 0
	.set _ZN9rocsparseL41csrgemm_numeric_fill_block_per_row_kernelILj1024ELj32ELj2048ELj137ELj64Eii21rocsparse_complex_numIdEEEvT5_PKS3_S5_NS_24const_host_device_scalarIT6_EEPKT4_S5_PKS7_SB_S5_SD_S8_SB_S5_SD_SB_S5_PS7_21rocsparse_index_base_SF_SF_SF_bbb.has_indirect_call, 0
	.section	.AMDGPU.csdata,"",@progbits
; Kernel info:
; codeLenInByte = 3760
; TotalNumSgprs: 40
; NumVgprs: 29
; ScratchSize: 40
; MemoryBound: 0
; FloatMode: 240
; IeeeMode: 1
; LDSByteSize: 0 bytes/workgroup (compile time only)
; SGPRBlocks: 0
; VGPRBlocks: 1
; NumSGPRsForWavesPerEU: 40
; NumVGPRsForWavesPerEU: 29
; NamedBarCnt: 0
; Occupancy: 16
; WaveLimiterHint : 1
; COMPUTE_PGM_RSRC2:SCRATCH_EN: 1
; COMPUTE_PGM_RSRC2:USER_SGPR: 2
; COMPUTE_PGM_RSRC2:TRAP_HANDLER: 0
; COMPUTE_PGM_RSRC2:TGID_X_EN: 1
; COMPUTE_PGM_RSRC2:TGID_Y_EN: 0
; COMPUTE_PGM_RSRC2:TGID_Z_EN: 0
; COMPUTE_PGM_RSRC2:TIDIG_COMP_CNT: 0
	.section	.text._ZN9rocsparseL41csrgemm_numeric_fill_block_per_row_kernelILj1024ELj64ELj4096ELj137ELj32Eii21rocsparse_complex_numIdEEEvT5_PKS3_S5_NS_24const_host_device_scalarIT6_EEPKT4_S5_PKS7_SB_S5_SD_S8_SB_S5_SD_SB_S5_PS7_21rocsparse_index_base_SF_SF_SF_bbb,"axG",@progbits,_ZN9rocsparseL41csrgemm_numeric_fill_block_per_row_kernelILj1024ELj64ELj4096ELj137ELj32Eii21rocsparse_complex_numIdEEEvT5_PKS3_S5_NS_24const_host_device_scalarIT6_EEPKT4_S5_PKS7_SB_S5_SD_S8_SB_S5_SD_SB_S5_PS7_21rocsparse_index_base_SF_SF_SF_bbb,comdat
	.globl	_ZN9rocsparseL41csrgemm_numeric_fill_block_per_row_kernelILj1024ELj64ELj4096ELj137ELj32Eii21rocsparse_complex_numIdEEEvT5_PKS3_S5_NS_24const_host_device_scalarIT6_EEPKT4_S5_PKS7_SB_S5_SD_S8_SB_S5_SD_SB_S5_PS7_21rocsparse_index_base_SF_SF_SF_bbb ; -- Begin function _ZN9rocsparseL41csrgemm_numeric_fill_block_per_row_kernelILj1024ELj64ELj4096ELj137ELj32Eii21rocsparse_complex_numIdEEEvT5_PKS3_S5_NS_24const_host_device_scalarIT6_EEPKT4_S5_PKS7_SB_S5_SD_S8_SB_S5_SD_SB_S5_PS7_21rocsparse_index_base_SF_SF_SF_bbb
	.p2align	8
	.type	_ZN9rocsparseL41csrgemm_numeric_fill_block_per_row_kernelILj1024ELj64ELj4096ELj137ELj32Eii21rocsparse_complex_numIdEEEvT5_PKS3_S5_NS_24const_host_device_scalarIT6_EEPKT4_S5_PKS7_SB_S5_SD_S8_SB_S5_SD_SB_S5_PS7_21rocsparse_index_base_SF_SF_SF_bbb,@function
_ZN9rocsparseL41csrgemm_numeric_fill_block_per_row_kernelILj1024ELj64ELj4096ELj137ELj32Eii21rocsparse_complex_numIdEEEvT5_PKS3_S5_NS_24const_host_device_scalarIT6_EEPKT4_S5_PKS7_SB_S5_SD_S8_SB_S5_SD_SB_S5_PS7_21rocsparse_index_base_SF_SF_SF_bbb: ; @_ZN9rocsparseL41csrgemm_numeric_fill_block_per_row_kernelILj1024ELj64ELj4096ELj137ELj32Eii21rocsparse_complex_numIdEEEvT5_PKS3_S5_NS_24const_host_device_scalarIT6_EEPKT4_S5_PKS7_SB_S5_SD_S8_SB_S5_SD_SB_S5_PS7_21rocsparse_index_base_SF_SF_SF_bbb
; %bb.0:
	s_clause 0x3
	s_load_b32 s3, s[0:1], 0xa8
	s_load_b128 s[4:7], s[0:1], 0x18
	s_load_b128 s[12:15], s[0:1], 0x58
	;; [unrolled: 1-line block ×3, first 2 shown]
	v_mov_b64_e32 v[6:7], 0
	v_mov_b64_e32 v[10:11], 0
	;; [unrolled: 1-line block ×3, first 2 shown]
	v_mbcnt_lo_u32_b32 v22, -1, 0
	s_wait_kmcnt 0x0
	s_bitcmp1_b32 s3, 0
	v_mov_b64_e32 v[2:3], s[4:5]
	s_cselect_b32 s25, -1, 0
	s_bitcmp1_b32 s3, 16
	v_mov_b64_e32 v[4:5], s[12:13]
	s_cselect_b32 s2, -1, 0
	s_clause 0x1
	scratch_store_b64 off, v[2:3], off offset:16
	scratch_store_b64 off, v[4:5], off offset:24
	s_xor_b32 s22, s2, -1
	s_bitcmp0_b32 s3, 0
	v_cndmask_b32_e64 v1, 0, 1, s22
	s_delay_alu instid0(VALU_DEP_1)
	v_cmp_ne_u32_e32 vcc_lo, 1, v1
	s_cbranch_scc1 .LBB70_3
; %bb.1:
	s_wait_xcnt 0x1
	v_dual_mov_b32 v2, 16 :: v_dual_lshlrev_b32 v3, 20, v22
	v_mov_b64_e32 v[12:13], s[6:7]
	s_and_b32 vcc_lo, exec_lo, vcc_lo
	s_delay_alu instid0(VALU_DEP_2) | instskip(NEXT) | instid1(VALU_DEP_1)
	v_add_nc_u64_e32 v[2:3], src_flat_scratch_base_lo, v[2:3]
	v_cndmask_b32_e64 v3, s5, v3, s2
	s_delay_alu instid0(VALU_DEP_2)
	v_cndmask_b32_e64 v2, s4, v2, s2
	flat_load_b64 v[10:11], v[2:3]
	s_cbranch_vccnz .LBB70_3
; %bb.2:
	v_mov_b32_e32 v1, 0
	flat_load_b64 v[12:13], v1, s[4:5] offset:8
.LBB70_3:
	s_clause 0x4
	s_load_b64 s[34:35], s[0:1], 0x90
	s_load_b128 s[4:7], s[0:1], 0x70
	s_load_b128 s[8:11], s[0:1], 0x48
	;; [unrolled: 1-line block ×3, first 2 shown]
	s_load_b64 s[20:21], s[0:1], 0x30
	v_mov_b64_e32 v[8:9], 0
	s_bitcmp1_b32 s3, 8
	s_cselect_b32 s24, -1, 0
	s_bfe_u32 s3, s3, 0x10008
	s_delay_alu instid0(SALU_CYCLE_1)
	s_cmp_eq_u32 s3, 0
	s_cbranch_scc1 .LBB70_6
; %bb.4:
	v_dual_mov_b32 v2, 24 :: v_dual_lshlrev_b32 v3, 20, v22
	v_mov_b64_e32 v[6:7], s[14:15]
	s_and_not1_b32 vcc_lo, exec_lo, s22
	s_delay_alu instid0(VALU_DEP_2) | instskip(NEXT) | instid1(VALU_DEP_1)
	v_add_nc_u64_e32 v[2:3], src_flat_scratch_base_lo, v[2:3]
	v_cndmask_b32_e64 v3, s13, v3, s2
	s_delay_alu instid0(VALU_DEP_2)
	v_cndmask_b32_e64 v2, s12, v2, s2
	flat_load_b64 v[8:9], v[2:3]
	s_cbranch_vccnz .LBB70_6
; %bb.5:
	v_mov_b32_e32 v1, 0
	flat_load_b64 v[6:7], v1, s[12:13] offset:8
.LBB70_6:
	s_clause 0x4
	s_load_b32 s33, s[0:1], 0x0
	s_load_b64 s[22:23], s[0:1], 0x28
	s_load_b64 s[40:41], s[0:1], 0x80
	;; [unrolled: 1-line block ×3, first 2 shown]
	s_load_b128 s[12:15], s[0:1], 0x38
	v_lshl_add_u32 v20, v0, 2, 0
	v_lshlrev_b32_e32 v4, 4, v0
	s_wait_xcnt 0x0
	s_mov_b32 s0, 0
	v_or_b32_e32 v1, 0xfffffc00, v0
	s_mov_b32 s1, s0
	v_mov_b32_e32 v14, v20
	v_add3_u32 v21, v4, 0, 0x4000
	s_mov_b32 s26, s0
	s_mov_b32 s27, s0
	v_mov_b64_e32 v[2:3], s[0:1]
	v_mov_b64_e32 v[4:5], s[26:27]
	v_dual_mov_b32 v15, v1 :: v_dual_mov_b32 v17, v21
	s_wait_kmcnt 0x0
	v_mov_b32_e32 v16, s33
.LBB70_7:                               ; =>This Inner Loop Header: Depth=1
	s_delay_alu instid0(VALU_DEP_2)
	v_add_nc_u32_e32 v15, 0x400, v15
	ds_store_b32 v14, v16
	ds_store_2addr_b64 v17, v[2:3], v[4:5] offset1:1
	v_add_nc_u32_e32 v17, 0x4000, v17
	v_add_nc_u32_e32 v14, 0x1000, v14
	v_cmp_lt_u32_e32 vcc_lo, 0xbff, v15
	s_or_b32 s0, vcc_lo, s0
	s_delay_alu instid0(SALU_CYCLE_1)
	s_and_not1_b32 exec_lo, exec_lo, s0
	s_cbranch_execnz .LBB70_7
; %bb.8:
	s_or_b32 exec_lo, exec_lo, s0
	s_wait_storecnt 0x0
	s_wait_loadcnt_dscnt 0x0
	s_barrier_signal -1
	s_barrier_wait -1
	s_load_b32 s0, s[16:17], 0x0
	s_bfe_u32 s1, ttmp6, 0x4000c
	s_wait_xcnt 0x0
	s_and_b32 s16, ttmp6, 15
	s_add_co_i32 s1, s1, 1
	s_getreg_b32 s17, hwreg(HW_REG_IB_STS2, 6, 4)
	s_mul_i32 s1, ttmp9, s1
	s_delay_alu instid0(SALU_CYCLE_1)
	s_add_co_i32 s16, s16, s1
	s_cmp_eq_u32 s17, 0
	s_cselect_b32 s1, ttmp9, s16
	s_and_b32 vcc_lo, exec_lo, s25
	s_wait_kmcnt 0x0
	s_add_co_i32 s0, s0, s1
	s_load_b32 s42, s[18:19], s0 offset:0x0 scale_offset
	s_cbranch_vccz .LBB70_26
; %bb.9:
	s_wait_kmcnt 0x0
	s_ashr_i32 s43, s42, 31
	v_lshrrev_b32_e32 v2, 6, v0
	s_lshl_b64 s[0:1], s[42:43], 2
	s_delay_alu instid0(SALU_CYCLE_1) | instskip(NEXT) | instid1(VALU_DEP_1)
	s_add_nc_u64 s[0:1], s[22:23], s[0:1]
	v_subrev_nc_u32_e32 v2, s36, v2
	s_load_b64 s[16:17], s[0:1], 0x0
	s_wait_xcnt 0x0
	s_mov_b32 s1, exec_lo
	s_wait_kmcnt 0x0
	v_add_nc_u32_e32 v14, s16, v2
	s_sub_co_i32 s0, s17, s36
	s_delay_alu instid0(VALU_DEP_1) | instid1(SALU_CYCLE_1)
	v_cmpx_gt_i32_e64 s0, v14
	s_cbranch_execz .LBB70_25
; %bb.10:
	v_and_b32_e32 v2, 63, v0
	s_mov_b32 s16, 0
	s_delay_alu instid0(VALU_DEP_1)
	v_subrev_nc_u32_e32 v23, s37, v2
	s_branch .LBB70_12
.LBB70_11:                              ;   in Loop: Header=BB70_12 Depth=1
	s_or_b32 exec_lo, exec_lo, s17
	v_add_nc_u32_e32 v14, 16, v14
	s_delay_alu instid0(VALU_DEP_1) | instskip(SKIP_1) | instid1(SALU_CYCLE_1)
	v_cmp_le_i32_e32 vcc_lo, s0, v14
	s_or_b32 s16, vcc_lo, s16
	s_and_not1_b32 exec_lo, exec_lo, s16
	s_cbranch_execz .LBB70_25
.LBB70_12:                              ; =>This Loop Header: Depth=1
                                        ;     Child Loop BB70_16 Depth 2
                                        ;       Child Loop BB70_19 Depth 3
	global_load_b32 v2, v14, s[20:21] scale_offset
	s_mov_b32 s17, exec_lo
	s_wait_loadcnt 0x0
	v_subrev_nc_u32_e32 v2, s36, v2
	s_delay_alu instid0(VALU_DEP_1) | instskip(NEXT) | instid1(VALU_DEP_1)
	v_ashrrev_i32_e32 v3, 31, v2
	v_lshl_add_u64 v[2:3], v[2:3], 2, s[14:15]
	global_load_b64 v[2:3], v[2:3], off
	s_wait_loadcnt 0x0
	v_subrev_nc_u32_e32 v24, s37, v3
	v_add_nc_u32_e32 v25, v2, v23
	s_wait_xcnt 0x0
	s_delay_alu instid0(VALU_DEP_1)
	v_cmpx_lt_i32_e64 v25, v24
	s_cbranch_execz .LBB70_11
; %bb.13:                               ;   in Loop: Header=BB70_12 Depth=1
	v_ashrrev_i32_e32 v15, 31, v14
	s_mov_b32 s18, 0
	s_delay_alu instid0(VALU_DEP_1) | instskip(SKIP_4) | instid1(VALU_DEP_2)
	v_lshl_add_u64 v[2:3], v[14:15], 4, s[12:13]
	global_load_b128 v[2:5], v[2:3], off
	s_wait_loadcnt 0x0
	v_mul_f64_e64 v[16:17], v[4:5], -v[12:13]
	v_mul_f64_e32 v[18:19], v[10:11], v[4:5]
	v_fmac_f64_e32 v[16:17], v[10:11], v[2:3]
	s_delay_alu instid0(VALU_DEP_2)
	v_fmac_f64_e32 v[18:19], v[12:13], v[2:3]
	s_branch .LBB70_16
.LBB70_14:                              ;   in Loop: Header=BB70_16 Depth=2
	s_or_b32 exec_lo, exec_lo, s22
.LBB70_15:                              ;   in Loop: Header=BB70_16 Depth=2
	s_delay_alu instid0(SALU_CYCLE_1) | instskip(SKIP_3) | instid1(VALU_DEP_2)
	s_or_b32 exec_lo, exec_lo, s19
	s_wait_loadcnt 0x0
	v_dual_mul_f64 v[26:27], v[4:5], -v[18:19] :: v_dual_add_nc_u32 v25, 64, v25
	v_mul_f64_e32 v[4:5], v[16:17], v[4:5]
	v_cmp_ge_i32_e32 vcc_lo, v25, v24
	s_or_b32 s18, vcc_lo, s18
	s_delay_alu instid0(VALU_DEP_3) | instskip(NEXT) | instid1(VALU_DEP_3)
	v_fmac_f64_e32 v[26:27], v[16:17], v[2:3]
	v_fmac_f64_e32 v[4:5], v[18:19], v[2:3]
	v_lshl_add_u32 v2, v15, 4, 0
	ds_add_f64 v2, v[26:27] offset:16384
	ds_add_f64 v2, v[4:5] offset:16392
	s_and_not1_b32 exec_lo, exec_lo, s18
	s_cbranch_execz .LBB70_11
.LBB70_16:                              ;   Parent Loop BB70_12 Depth=1
                                        ; =>  This Loop Header: Depth=2
                                        ;       Child Loop BB70_19 Depth 3
	s_clause 0x1
	global_load_b32 v15, v25, s[8:9] scale_offset
	global_load_b128 v[2:5], v25, s[10:11] scale_offset
	s_mov_b32 s19, exec_lo
	s_wait_loadcnt 0x1
	v_subrev_nc_u32_e32 v26, s37, v15
	s_delay_alu instid0(VALU_DEP_1) | instskip(NEXT) | instid1(VALU_DEP_1)
	v_mul_lo_u32 v15, 0x89, v26
	v_and_b32_e32 v15, 0xfff, v15
	s_delay_alu instid0(VALU_DEP_1)
	v_lshl_add_u32 v27, v15, 2, 0
	ds_load_b32 v28, v27
	s_wait_dscnt 0x0
	s_wait_xcnt 0x0
	v_cmpx_ne_u32_e64 v28, v26
	s_cbranch_execz .LBB70_15
; %bb.17:                               ;   in Loop: Header=BB70_16 Depth=2
	s_mov_b32 s22, 0
	s_branch .LBB70_19
.LBB70_18:                              ;   in Loop: Header=BB70_19 Depth=3
	s_or_b32 exec_lo, exec_lo, s26
	s_delay_alu instid0(SALU_CYCLE_1) | instskip(NEXT) | instid1(SALU_CYCLE_1)
	s_and_b32 s23, exec_lo, s25
	s_or_b32 s22, s23, s22
	s_delay_alu instid0(SALU_CYCLE_1)
	s_and_not1_b32 exec_lo, exec_lo, s22
	s_cbranch_execz .LBB70_14
.LBB70_19:                              ;   Parent Loop BB70_12 Depth=1
                                        ;     Parent Loop BB70_16 Depth=2
                                        ; =>    This Inner Loop Header: Depth=3
	s_mov_b32 s23, 0
	s_mov_b32 s25, exec_lo
	v_cmpx_ne_u32_e64 s33, v28
	s_xor_b32 s25, exec_lo, s25
	s_cbranch_execz .LBB70_21
; %bb.20:                               ;   in Loop: Header=BB70_19 Depth=3
	v_add_nc_u32_e32 v15, 1, v15
	s_mov_b32 s23, exec_lo
                                        ; implicit-def: $vgpr27
	s_delay_alu instid0(VALU_DEP_1)
	v_and_b32_e32 v15, 0xfff, v15
	s_and_not1_saveexec_b32 s25, s25
	s_cbranch_execz .LBB70_23
	s_branch .LBB70_22
.LBB70_21:                              ;   in Loop: Header=BB70_19 Depth=3
	s_and_not1_saveexec_b32 s25, s25
	s_cbranch_execz .LBB70_23
.LBB70_22:                              ;   in Loop: Header=BB70_19 Depth=3
	v_mov_b32_e32 v28, s33
	s_and_not1_b32 s23, s23, exec_lo
	ds_cmpstore_rtn_b32 v27, v27, v26, v28
	s_wait_dscnt 0x0
	v_cmp_ne_u32_e32 vcc_lo, s33, v27
	s_and_b32 s26, vcc_lo, exec_lo
	s_delay_alu instid0(SALU_CYCLE_1)
	s_or_b32 s23, s23, s26
.LBB70_23:                              ;   in Loop: Header=BB70_19 Depth=3
	s_or_b32 exec_lo, exec_lo, s25
	s_mov_b32 s25, -1
                                        ; implicit-def: $vgpr27
                                        ; implicit-def: $vgpr28
	s_and_saveexec_b32 s26, s23
	s_cbranch_execz .LBB70_18
; %bb.24:                               ;   in Loop: Header=BB70_19 Depth=3
	v_lshl_add_u32 v27, v15, 2, 0
	ds_load_b32 v28, v27
	s_wait_dscnt 0x0
	v_cmp_eq_u32_e32 vcc_lo, v28, v26
	s_or_not1_b32 s25, vcc_lo, exec_lo
	s_branch .LBB70_18
.LBB70_25:
	s_or_b32 exec_lo, exec_lo, s1
.LBB70_26:
	s_delay_alu instid0(SALU_CYCLE_1)
	s_and_not1_b32 vcc_lo, exec_lo, s24
	s_cbranch_vccnz .LBB70_41
; %bb.27:
	s_wait_kmcnt 0x0
	s_ashr_i32 s43, s42, 31
	v_subrev_nc_u32_e32 v2, s39, v0
	s_lshl_b64 s[0:1], s[42:43], 2
	s_delay_alu instid0(SALU_CYCLE_1)
	s_add_nc_u64 s[0:1], s[2:3], s[0:1]
	s_load_b64 s[2:3], s[0:1], 0x0
	s_wait_xcnt 0x0
	s_mov_b32 s1, exec_lo
	s_wait_kmcnt 0x0
	v_add_nc_u32_e32 v10, s2, v2
	s_sub_co_i32 s0, s3, s39
	s_delay_alu instid0(VALU_DEP_1) | instid1(SALU_CYCLE_1)
	v_cmpx_gt_i32_e64 s0, v10
	s_cbranch_execz .LBB70_40
; %bb.28:
	s_mov_b32 s2, 0
	s_branch .LBB70_31
.LBB70_29:                              ;   in Loop: Header=BB70_31 Depth=1
	s_or_b32 exec_lo, exec_lo, s8
.LBB70_30:                              ;   in Loop: Header=BB70_31 Depth=1
	s_delay_alu instid0(SALU_CYCLE_1) | instskip(SKIP_4) | instid1(VALU_DEP_1)
	s_or_b32 exec_lo, exec_lo, s3
	s_wait_loadcnt 0x0
	v_mul_f64_e64 v[12:13], v[4:5], -v[6:7]
	v_mul_f64_e32 v[4:5], v[8:9], v[4:5]
	v_add_nc_u32_e32 v10, 0x400, v10
	v_cmp_le_i32_e32 vcc_lo, s0, v10
	s_or_b32 s2, vcc_lo, s2
	s_delay_alu instid0(VALU_DEP_4) | instskip(NEXT) | instid1(VALU_DEP_4)
	v_fmac_f64_e32 v[12:13], v[8:9], v[2:3]
	v_fmac_f64_e32 v[4:5], v[6:7], v[2:3]
	v_lshl_add_u32 v2, v11, 4, 0
	ds_add_f64 v2, v[12:13] offset:16384
	ds_add_f64 v2, v[4:5] offset:16392
	s_and_not1_b32 exec_lo, exec_lo, s2
	s_cbranch_execz .LBB70_40
.LBB70_31:                              ; =>This Loop Header: Depth=1
                                        ;     Child Loop BB70_34 Depth 2
	s_clause 0x1
	global_load_b32 v11, v10, s[4:5] scale_offset
	global_load_b128 v[2:5], v10, s[6:7] scale_offset
	s_mov_b32 s3, exec_lo
	s_wait_loadcnt 0x1
	v_subrev_nc_u32_e32 v12, s39, v11
	s_delay_alu instid0(VALU_DEP_1) | instskip(NEXT) | instid1(VALU_DEP_1)
	v_mul_lo_u32 v11, 0x89, v12
	v_and_b32_e32 v11, 0xfff, v11
	s_delay_alu instid0(VALU_DEP_1)
	v_lshl_add_u32 v13, v11, 2, 0
	ds_load_b32 v14, v13
	s_wait_dscnt 0x0
	s_wait_xcnt 0x0
	v_cmpx_ne_u32_e64 v14, v12
	s_cbranch_execz .LBB70_30
; %bb.32:                               ;   in Loop: Header=BB70_31 Depth=1
	s_mov_b32 s8, 0
	s_branch .LBB70_34
.LBB70_33:                              ;   in Loop: Header=BB70_34 Depth=2
	s_or_b32 exec_lo, exec_lo, s11
	s_delay_alu instid0(SALU_CYCLE_1) | instskip(NEXT) | instid1(SALU_CYCLE_1)
	s_and_b32 s9, exec_lo, s10
	s_or_b32 s8, s9, s8
	s_delay_alu instid0(SALU_CYCLE_1)
	s_and_not1_b32 exec_lo, exec_lo, s8
	s_cbranch_execz .LBB70_29
.LBB70_34:                              ;   Parent Loop BB70_31 Depth=1
                                        ; =>  This Inner Loop Header: Depth=2
	s_mov_b32 s9, 0
	s_mov_b32 s10, exec_lo
	v_cmpx_ne_u32_e64 s33, v14
	s_xor_b32 s10, exec_lo, s10
	s_cbranch_execz .LBB70_36
; %bb.35:                               ;   in Loop: Header=BB70_34 Depth=2
	v_add_nc_u32_e32 v11, 1, v11
	s_mov_b32 s9, exec_lo
                                        ; implicit-def: $vgpr13
	s_delay_alu instid0(VALU_DEP_1)
	v_and_b32_e32 v11, 0xfff, v11
	s_and_not1_saveexec_b32 s10, s10
	s_cbranch_execz .LBB70_38
	s_branch .LBB70_37
.LBB70_36:                              ;   in Loop: Header=BB70_34 Depth=2
	s_and_not1_saveexec_b32 s10, s10
	s_cbranch_execz .LBB70_38
.LBB70_37:                              ;   in Loop: Header=BB70_34 Depth=2
	v_mov_b32_e32 v14, s33
	s_and_not1_b32 s9, s9, exec_lo
	ds_cmpstore_rtn_b32 v13, v13, v12, v14
	s_wait_dscnt 0x0
	v_cmp_ne_u32_e32 vcc_lo, s33, v13
	s_and_b32 s11, vcc_lo, exec_lo
	s_delay_alu instid0(SALU_CYCLE_1)
	s_or_b32 s9, s9, s11
.LBB70_38:                              ;   in Loop: Header=BB70_34 Depth=2
	s_or_b32 exec_lo, exec_lo, s10
	s_mov_b32 s10, -1
                                        ; implicit-def: $vgpr13
                                        ; implicit-def: $vgpr14
	s_and_saveexec_b32 s11, s9
	s_cbranch_execz .LBB70_33
; %bb.39:                               ;   in Loop: Header=BB70_34 Depth=2
	v_lshl_add_u32 v13, v11, 2, 0
	ds_load_b32 v14, v13
	s_wait_dscnt 0x0
	v_cmp_eq_u32_e32 vcc_lo, v14, v12
	s_or_not1_b32 s10, vcc_lo, exec_lo
	s_branch .LBB70_33
.LBB70_40:
	s_or_b32 exec_lo, exec_lo, s1
.LBB70_41:
	v_dual_lshrrev_b32 v2, 3, v0 :: v_dual_bitop2_b32 v4, 31, v22 bitop3:0x14
	v_mov_b32_e32 v3, 0
	s_wait_xcnt 0x0
	v_cmp_lt_u32_e64 s0, 31, v0
	v_cmp_lt_u32_e64 s1, 63, v0
	v_and_b32_e32 v5, 0x7c, v2
	v_lshrrev_b32_e64 v2, v4, -1
	v_cmp_lt_u32_e64 s2, 0x5f, v0
	v_cmp_lt_u32_e64 s3, 0x7f, v0
	;; [unrolled: 1-line block ×3, first 2 shown]
	v_add3_u32 v4, 0x14000, 0, v5
	v_cmp_lt_u32_e64 s5, 0xbf, v0
	v_cmp_lt_u32_e64 s6, 0xdf, v0
	;; [unrolled: 1-line block ×26, first 2 shown]
	s_mov_b32 s36, 0
	s_add_co_i32 s37, 0, 0x14000
	s_add_co_i32 s39, 0, 0x14004
	;; [unrolled: 1-line block ×32, first 2 shown]
	s_wait_dscnt 0x0
	s_barrier_signal -1
	s_barrier_wait -1
	v_cmp_eq_u32_e32 vcc_lo, 0x3ff, v0
	s_branch .LBB70_43
.LBB70_42:                              ;   in Loop: Header=BB70_43 Depth=1
	s_or_b32 exec_lo, exec_lo, s31
	v_dual_mov_b32 v5, s72 :: v_dual_add_nc_u32 v20, 0x1000, v20
	s_wait_dscnt 0x0
	s_barrier_signal -1
	s_barrier_wait -1
	ds_load_b32 v5, v5
	v_add_nc_u32_e32 v1, 0x400, v1
	v_add_nc_u32_e32 v21, 0x4000, v21
	s_delay_alu instid0(VALU_DEP_2)
	v_cmp_lt_u32_e64 s31, 0xbff, v1
	s_or_b32 s36, s31, s36
	s_wait_dscnt 0x0
	v_add_nc_u32_e32 v3, v5, v3
	s_and_not1_b32 exec_lo, exec_lo, s36
	s_cbranch_execz .LBB70_109
.LBB70_43:                              ; =>This Inner Loop Header: Depth=1
	ds_load_b32 v5, v20
	ds_load_2addr_b64 v[6:9], v21 offset1:1
	s_wait_dscnt 0x1
	v_cmp_gt_i32_e64 s31, s33, v5
	s_wait_dscnt 0x0
	scratch_store_b128 off, v[6:9], off
	s_wait_storecnt 0x0
	s_barrier_signal -1
	s_barrier_wait -1
	s_bcnt1_i32_b32 s73, s31
	s_wait_xcnt 0x0
	v_dual_mov_b32 v7, s73 :: v_dual_bitop2_b32 v6, s31, v2 bitop3:0x40
	s_delay_alu instid0(VALU_DEP_1)
	v_bcnt_u32_b32 v6, v6, 0
	ds_store_b32 v4, v7
	s_wait_dscnt 0x0
	s_barrier_signal -1
	s_barrier_wait -1
	s_and_saveexec_b32 s73, s0
	s_cbranch_execz .LBB70_76
; %bb.44:                               ;   in Loop: Header=BB70_43 Depth=1
	v_mov_b32_e32 v7, s37
	ds_load_b32 v7, v7
	s_wait_dscnt 0x0
	v_add_nc_u32_e32 v6, v7, v6
	s_or_b32 exec_lo, exec_lo, s73
	s_and_saveexec_b32 s73, s1
	s_cbranch_execnz .LBB70_77
.LBB70_45:                              ;   in Loop: Header=BB70_43 Depth=1
	s_or_b32 exec_lo, exec_lo, s73
	s_and_saveexec_b32 s73, s2
	s_cbranch_execz .LBB70_78
.LBB70_46:                              ;   in Loop: Header=BB70_43 Depth=1
	v_mov_b32_e32 v7, s43
	ds_load_b32 v7, v7
	s_wait_dscnt 0x0
	v_add_nc_u32_e32 v6, v7, v6
	s_or_b32 exec_lo, exec_lo, s73
	s_and_saveexec_b32 s73, s3
	s_cbranch_execnz .LBB70_79
.LBB70_47:                              ;   in Loop: Header=BB70_43 Depth=1
	s_or_b32 exec_lo, exec_lo, s73
	s_and_saveexec_b32 s73, s4
	s_cbranch_execz .LBB70_80
.LBB70_48:                              ;   in Loop: Header=BB70_43 Depth=1
	v_mov_b32_e32 v7, s45
	ds_load_b32 v7, v7
	s_wait_dscnt 0x0
	v_add_nc_u32_e32 v6, v7, v6
	s_or_b32 exec_lo, exec_lo, s73
	s_and_saveexec_b32 s73, s5
	s_cbranch_execnz .LBB70_81
.LBB70_49:                              ;   in Loop: Header=BB70_43 Depth=1
	s_or_b32 exec_lo, exec_lo, s73
	s_and_saveexec_b32 s73, s6
	s_cbranch_execz .LBB70_82
.LBB70_50:                              ;   in Loop: Header=BB70_43 Depth=1
	v_mov_b32_e32 v7, s47
	ds_load_b32 v7, v7
	s_wait_dscnt 0x0
	v_add_nc_u32_e32 v6, v7, v6
	s_or_b32 exec_lo, exec_lo, s73
	s_and_saveexec_b32 s73, s7
	s_cbranch_execnz .LBB70_83
.LBB70_51:                              ;   in Loop: Header=BB70_43 Depth=1
	s_or_b32 exec_lo, exec_lo, s73
	s_and_saveexec_b32 s73, s8
	s_cbranch_execz .LBB70_84
.LBB70_52:                              ;   in Loop: Header=BB70_43 Depth=1
	v_mov_b32_e32 v7, s49
	ds_load_b32 v7, v7
	s_wait_dscnt 0x0
	v_add_nc_u32_e32 v6, v7, v6
	s_or_b32 exec_lo, exec_lo, s73
	s_and_saveexec_b32 s73, s9
	s_cbranch_execnz .LBB70_85
.LBB70_53:                              ;   in Loop: Header=BB70_43 Depth=1
	s_or_b32 exec_lo, exec_lo, s73
	s_and_saveexec_b32 s73, s10
	s_cbranch_execz .LBB70_86
.LBB70_54:                              ;   in Loop: Header=BB70_43 Depth=1
	v_mov_b32_e32 v7, s51
	ds_load_b32 v7, v7
	s_wait_dscnt 0x0
	v_add_nc_u32_e32 v6, v7, v6
	s_or_b32 exec_lo, exec_lo, s73
	s_and_saveexec_b32 s73, s11
	s_cbranch_execnz .LBB70_87
.LBB70_55:                              ;   in Loop: Header=BB70_43 Depth=1
	s_or_b32 exec_lo, exec_lo, s73
	s_and_saveexec_b32 s73, s12
	s_cbranch_execz .LBB70_88
.LBB70_56:                              ;   in Loop: Header=BB70_43 Depth=1
	v_mov_b32_e32 v7, s53
	ds_load_b32 v7, v7
	s_wait_dscnt 0x0
	v_add_nc_u32_e32 v6, v7, v6
	s_or_b32 exec_lo, exec_lo, s73
	s_and_saveexec_b32 s73, s13
	s_cbranch_execnz .LBB70_89
.LBB70_57:                              ;   in Loop: Header=BB70_43 Depth=1
	s_or_b32 exec_lo, exec_lo, s73
	s_and_saveexec_b32 s73, s14
	s_cbranch_execz .LBB70_90
.LBB70_58:                              ;   in Loop: Header=BB70_43 Depth=1
	v_mov_b32_e32 v7, s55
	ds_load_b32 v7, v7
	s_wait_dscnt 0x0
	v_add_nc_u32_e32 v6, v7, v6
	s_or_b32 exec_lo, exec_lo, s73
	s_and_saveexec_b32 s73, s15
	s_cbranch_execnz .LBB70_91
.LBB70_59:                              ;   in Loop: Header=BB70_43 Depth=1
	s_or_b32 exec_lo, exec_lo, s73
	s_and_saveexec_b32 s73, s16
	s_cbranch_execz .LBB70_92
.LBB70_60:                              ;   in Loop: Header=BB70_43 Depth=1
	v_mov_b32_e32 v7, s57
	ds_load_b32 v7, v7
	s_wait_dscnt 0x0
	v_add_nc_u32_e32 v6, v7, v6
	s_or_b32 exec_lo, exec_lo, s73
	s_and_saveexec_b32 s73, s17
	s_cbranch_execnz .LBB70_93
.LBB70_61:                              ;   in Loop: Header=BB70_43 Depth=1
	s_or_b32 exec_lo, exec_lo, s73
	s_and_saveexec_b32 s73, s18
	s_cbranch_execz .LBB70_94
.LBB70_62:                              ;   in Loop: Header=BB70_43 Depth=1
	v_mov_b32_e32 v7, s59
	ds_load_b32 v7, v7
	s_wait_dscnt 0x0
	v_add_nc_u32_e32 v6, v7, v6
	s_or_b32 exec_lo, exec_lo, s73
	s_and_saveexec_b32 s73, s19
	s_cbranch_execnz .LBB70_95
.LBB70_63:                              ;   in Loop: Header=BB70_43 Depth=1
	s_or_b32 exec_lo, exec_lo, s73
	s_and_saveexec_b32 s73, s20
	s_cbranch_execz .LBB70_96
.LBB70_64:                              ;   in Loop: Header=BB70_43 Depth=1
	v_mov_b32_e32 v7, s61
	ds_load_b32 v7, v7
	s_wait_dscnt 0x0
	v_add_nc_u32_e32 v6, v7, v6
	s_or_b32 exec_lo, exec_lo, s73
	s_and_saveexec_b32 s73, s21
	s_cbranch_execnz .LBB70_97
.LBB70_65:                              ;   in Loop: Header=BB70_43 Depth=1
	s_or_b32 exec_lo, exec_lo, s73
	s_and_saveexec_b32 s73, s22
	s_cbranch_execz .LBB70_98
.LBB70_66:                              ;   in Loop: Header=BB70_43 Depth=1
	v_mov_b32_e32 v7, s63
	ds_load_b32 v7, v7
	s_wait_dscnt 0x0
	v_add_nc_u32_e32 v6, v7, v6
	s_or_b32 exec_lo, exec_lo, s73
	s_and_saveexec_b32 s73, s23
	s_cbranch_execnz .LBB70_99
.LBB70_67:                              ;   in Loop: Header=BB70_43 Depth=1
	s_or_b32 exec_lo, exec_lo, s73
	s_and_saveexec_b32 s73, s24
	s_cbranch_execz .LBB70_100
.LBB70_68:                              ;   in Loop: Header=BB70_43 Depth=1
	v_mov_b32_e32 v7, s65
	ds_load_b32 v7, v7
	s_wait_dscnt 0x0
	v_add_nc_u32_e32 v6, v7, v6
	s_or_b32 exec_lo, exec_lo, s73
	s_and_saveexec_b32 s73, s25
	s_cbranch_execnz .LBB70_101
.LBB70_69:                              ;   in Loop: Header=BB70_43 Depth=1
	s_or_b32 exec_lo, exec_lo, s73
	s_and_saveexec_b32 s73, s26
	s_cbranch_execz .LBB70_102
.LBB70_70:                              ;   in Loop: Header=BB70_43 Depth=1
	v_mov_b32_e32 v7, s67
	ds_load_b32 v7, v7
	s_wait_dscnt 0x0
	v_add_nc_u32_e32 v6, v7, v6
	s_or_b32 exec_lo, exec_lo, s73
	s_and_saveexec_b32 s73, s27
	s_cbranch_execnz .LBB70_103
.LBB70_71:                              ;   in Loop: Header=BB70_43 Depth=1
	s_or_b32 exec_lo, exec_lo, s73
	s_and_saveexec_b32 s73, s28
	s_cbranch_execz .LBB70_104
.LBB70_72:                              ;   in Loop: Header=BB70_43 Depth=1
	v_mov_b32_e32 v7, s69
	ds_load_b32 v7, v7
	s_wait_dscnt 0x0
	v_add_nc_u32_e32 v6, v7, v6
	s_or_b32 exec_lo, exec_lo, s73
	s_and_saveexec_b32 s73, s29
	s_cbranch_execnz .LBB70_105
.LBB70_73:                              ;   in Loop: Header=BB70_43 Depth=1
	s_or_b32 exec_lo, exec_lo, s73
	s_and_saveexec_b32 s73, s30
	s_cbranch_execz .LBB70_106
.LBB70_74:                              ;   in Loop: Header=BB70_43 Depth=1
	v_mov_b32_e32 v7, s71
	ds_load_b32 v7, v7
	s_wait_dscnt 0x0
	v_add_nc_u32_e32 v6, v7, v6
	s_or_b32 exec_lo, exec_lo, s73
	s_and_saveexec_b32 s73, s31
	s_cbranch_execnz .LBB70_107
.LBB70_75:                              ;   in Loop: Header=BB70_43 Depth=1
	s_or_b32 exec_lo, exec_lo, s73
	s_and_saveexec_b32 s31, vcc_lo
	s_cbranch_execz .LBB70_42
	s_branch .LBB70_108
.LBB70_76:                              ;   in Loop: Header=BB70_43 Depth=1
	s_or_b32 exec_lo, exec_lo, s73
	s_and_saveexec_b32 s73, s1
	s_cbranch_execz .LBB70_45
.LBB70_77:                              ;   in Loop: Header=BB70_43 Depth=1
	v_mov_b32_e32 v7, s39
	ds_load_b32 v7, v7
	s_wait_dscnt 0x0
	v_add_nc_u32_e32 v6, v7, v6
	s_or_b32 exec_lo, exec_lo, s73
	s_and_saveexec_b32 s73, s2
	s_cbranch_execnz .LBB70_46
.LBB70_78:                              ;   in Loop: Header=BB70_43 Depth=1
	s_or_b32 exec_lo, exec_lo, s73
	s_and_saveexec_b32 s73, s3
	s_cbranch_execz .LBB70_47
.LBB70_79:                              ;   in Loop: Header=BB70_43 Depth=1
	v_mov_b32_e32 v7, s44
	ds_load_b32 v7, v7
	s_wait_dscnt 0x0
	v_add_nc_u32_e32 v6, v7, v6
	s_or_b32 exec_lo, exec_lo, s73
	s_and_saveexec_b32 s73, s4
	s_cbranch_execnz .LBB70_48
.LBB70_80:                              ;   in Loop: Header=BB70_43 Depth=1
	s_or_b32 exec_lo, exec_lo, s73
	s_and_saveexec_b32 s73, s5
	s_cbranch_execz .LBB70_49
.LBB70_81:                              ;   in Loop: Header=BB70_43 Depth=1
	v_mov_b32_e32 v7, s46
	ds_load_b32 v7, v7
	s_wait_dscnt 0x0
	v_add_nc_u32_e32 v6, v7, v6
	s_or_b32 exec_lo, exec_lo, s73
	s_and_saveexec_b32 s73, s6
	s_cbranch_execnz .LBB70_50
.LBB70_82:                              ;   in Loop: Header=BB70_43 Depth=1
	s_or_b32 exec_lo, exec_lo, s73
	s_and_saveexec_b32 s73, s7
	s_cbranch_execz .LBB70_51
.LBB70_83:                              ;   in Loop: Header=BB70_43 Depth=1
	v_mov_b32_e32 v7, s48
	ds_load_b32 v7, v7
	s_wait_dscnt 0x0
	v_add_nc_u32_e32 v6, v7, v6
	s_or_b32 exec_lo, exec_lo, s73
	s_and_saveexec_b32 s73, s8
	s_cbranch_execnz .LBB70_52
.LBB70_84:                              ;   in Loop: Header=BB70_43 Depth=1
	s_or_b32 exec_lo, exec_lo, s73
	s_and_saveexec_b32 s73, s9
	s_cbranch_execz .LBB70_53
.LBB70_85:                              ;   in Loop: Header=BB70_43 Depth=1
	v_mov_b32_e32 v7, s50
	ds_load_b32 v7, v7
	s_wait_dscnt 0x0
	v_add_nc_u32_e32 v6, v7, v6
	s_or_b32 exec_lo, exec_lo, s73
	s_and_saveexec_b32 s73, s10
	s_cbranch_execnz .LBB70_54
.LBB70_86:                              ;   in Loop: Header=BB70_43 Depth=1
	s_or_b32 exec_lo, exec_lo, s73
	s_and_saveexec_b32 s73, s11
	s_cbranch_execz .LBB70_55
.LBB70_87:                              ;   in Loop: Header=BB70_43 Depth=1
	v_mov_b32_e32 v7, s52
	ds_load_b32 v7, v7
	s_wait_dscnt 0x0
	v_add_nc_u32_e32 v6, v7, v6
	s_or_b32 exec_lo, exec_lo, s73
	s_and_saveexec_b32 s73, s12
	s_cbranch_execnz .LBB70_56
.LBB70_88:                              ;   in Loop: Header=BB70_43 Depth=1
	s_or_b32 exec_lo, exec_lo, s73
	s_and_saveexec_b32 s73, s13
	s_cbranch_execz .LBB70_57
.LBB70_89:                              ;   in Loop: Header=BB70_43 Depth=1
	v_mov_b32_e32 v7, s54
	ds_load_b32 v7, v7
	s_wait_dscnt 0x0
	v_add_nc_u32_e32 v6, v7, v6
	s_or_b32 exec_lo, exec_lo, s73
	s_and_saveexec_b32 s73, s14
	s_cbranch_execnz .LBB70_58
.LBB70_90:                              ;   in Loop: Header=BB70_43 Depth=1
	s_or_b32 exec_lo, exec_lo, s73
	s_and_saveexec_b32 s73, s15
	s_cbranch_execz .LBB70_59
.LBB70_91:                              ;   in Loop: Header=BB70_43 Depth=1
	v_mov_b32_e32 v7, s56
	ds_load_b32 v7, v7
	s_wait_dscnt 0x0
	v_add_nc_u32_e32 v6, v7, v6
	s_or_b32 exec_lo, exec_lo, s73
	s_and_saveexec_b32 s73, s16
	s_cbranch_execnz .LBB70_60
.LBB70_92:                              ;   in Loop: Header=BB70_43 Depth=1
	s_or_b32 exec_lo, exec_lo, s73
	s_and_saveexec_b32 s73, s17
	s_cbranch_execz .LBB70_61
.LBB70_93:                              ;   in Loop: Header=BB70_43 Depth=1
	v_mov_b32_e32 v7, s58
	ds_load_b32 v7, v7
	s_wait_dscnt 0x0
	v_add_nc_u32_e32 v6, v7, v6
	s_or_b32 exec_lo, exec_lo, s73
	s_and_saveexec_b32 s73, s18
	s_cbranch_execnz .LBB70_62
.LBB70_94:                              ;   in Loop: Header=BB70_43 Depth=1
	s_or_b32 exec_lo, exec_lo, s73
	s_and_saveexec_b32 s73, s19
	s_cbranch_execz .LBB70_63
.LBB70_95:                              ;   in Loop: Header=BB70_43 Depth=1
	v_mov_b32_e32 v7, s60
	ds_load_b32 v7, v7
	s_wait_dscnt 0x0
	v_add_nc_u32_e32 v6, v7, v6
	s_or_b32 exec_lo, exec_lo, s73
	s_and_saveexec_b32 s73, s20
	s_cbranch_execnz .LBB70_64
.LBB70_96:                              ;   in Loop: Header=BB70_43 Depth=1
	s_or_b32 exec_lo, exec_lo, s73
	s_and_saveexec_b32 s73, s21
	s_cbranch_execz .LBB70_65
.LBB70_97:                              ;   in Loop: Header=BB70_43 Depth=1
	v_mov_b32_e32 v7, s62
	ds_load_b32 v7, v7
	s_wait_dscnt 0x0
	v_add_nc_u32_e32 v6, v7, v6
	s_or_b32 exec_lo, exec_lo, s73
	s_and_saveexec_b32 s73, s22
	s_cbranch_execnz .LBB70_66
.LBB70_98:                              ;   in Loop: Header=BB70_43 Depth=1
	s_or_b32 exec_lo, exec_lo, s73
	s_and_saveexec_b32 s73, s23
	s_cbranch_execz .LBB70_67
.LBB70_99:                              ;   in Loop: Header=BB70_43 Depth=1
	v_mov_b32_e32 v7, s64
	ds_load_b32 v7, v7
	s_wait_dscnt 0x0
	v_add_nc_u32_e32 v6, v7, v6
	s_or_b32 exec_lo, exec_lo, s73
	s_and_saveexec_b32 s73, s24
	s_cbranch_execnz .LBB70_68
.LBB70_100:                             ;   in Loop: Header=BB70_43 Depth=1
	s_or_b32 exec_lo, exec_lo, s73
	s_and_saveexec_b32 s73, s25
	s_cbranch_execz .LBB70_69
.LBB70_101:                             ;   in Loop: Header=BB70_43 Depth=1
	v_mov_b32_e32 v7, s66
	ds_load_b32 v7, v7
	s_wait_dscnt 0x0
	v_add_nc_u32_e32 v6, v7, v6
	s_or_b32 exec_lo, exec_lo, s73
	s_and_saveexec_b32 s73, s26
	s_cbranch_execnz .LBB70_70
.LBB70_102:                             ;   in Loop: Header=BB70_43 Depth=1
	s_or_b32 exec_lo, exec_lo, s73
	s_and_saveexec_b32 s73, s27
	s_cbranch_execz .LBB70_71
.LBB70_103:                             ;   in Loop: Header=BB70_43 Depth=1
	v_mov_b32_e32 v7, s68
	ds_load_b32 v7, v7
	s_wait_dscnt 0x0
	v_add_nc_u32_e32 v6, v7, v6
	s_or_b32 exec_lo, exec_lo, s73
	s_and_saveexec_b32 s73, s28
	s_cbranch_execnz .LBB70_72
.LBB70_104:                             ;   in Loop: Header=BB70_43 Depth=1
	s_or_b32 exec_lo, exec_lo, s73
	s_and_saveexec_b32 s73, s29
	s_cbranch_execz .LBB70_73
.LBB70_105:                             ;   in Loop: Header=BB70_43 Depth=1
	v_mov_b32_e32 v7, s70
	ds_load_b32 v7, v7
	s_wait_dscnt 0x0
	v_add_nc_u32_e32 v6, v7, v6
	s_or_b32 exec_lo, exec_lo, s73
	s_and_saveexec_b32 s73, s30
	s_cbranch_execnz .LBB70_74
.LBB70_106:                             ;   in Loop: Header=BB70_43 Depth=1
	s_or_b32 exec_lo, exec_lo, s73
	s_and_saveexec_b32 s73, s31
	s_cbranch_execz .LBB70_75
.LBB70_107:                             ;   in Loop: Header=BB70_43 Depth=1
	scratch_load_b128 v[8:11], off, off
	v_add3_u32 v7, v3, -1, v6
	v_add_lshl_u32 v12, v3, v6, 4
	s_delay_alu instid0(VALU_DEP_2) | instskip(NEXT) | instid1(VALU_DEP_2)
	v_lshl_add_u32 v7, v7, 2, 0
	v_add3_u32 v12, 0, v12, 0x3ff0
	ds_store_b32 v7, v5
	s_wait_loadcnt 0x0
	ds_store_2addr_b64 v12, v[8:9], v[10:11] offset1:1
	s_or_b32 exec_lo, exec_lo, s73
	s_and_saveexec_b32 s31, vcc_lo
	s_cbranch_execz .LBB70_42
.LBB70_108:                             ;   in Loop: Header=BB70_43 Depth=1
	v_mov_b32_e32 v5, s72
	ds_store_b32 v5, v6
	s_branch .LBB70_42
.LBB70_109:
	s_or_b32 exec_lo, exec_lo, s36
	s_wait_kmcnt 0x0
	s_ashr_i32 s43, s42, 31
	s_delay_alu instid0(SALU_CYCLE_1) | instskip(NEXT) | instid1(SALU_CYCLE_1)
	s_lshl_b64 s[0:1], s[42:43], 2
	s_add_nc_u64 s[2:3], s[40:41], s[0:1]
	s_load_b64 s[0:1], s[2:3], 0x0
	s_wait_kmcnt 0x0
	s_sub_co_i32 s4, s1, s0
	s_mov_b32 s1, exec_lo
	v_cmpx_gt_i32_e64 s4, v0
	s_cbranch_execz .LBB70_123
; %bb.110:
	v_sub_co_u32 v1, s1, s4, 2
	s_sub_co_i32 s2, s0, s38
	s_xor_b32 s6, s1, -1
	s_and_b32 s5, s4, -2
	v_readfirstlane_b32 s3, v1
	s_lshr_b32 s0, s3, 1
	s_mov_b32 s3, 0
	s_add_co_i32 s0, s0, 1
	s_mov_b32 s11, s3
	s_and_b32 s1, s0, 7
	s_and_b32 s7, s0, -8
	s_cmp_lg_u32 s1, 0
	v_cmp_lt_u32_e64 s0, 13, v1
	s_cselect_b32 s8, -1, 0
	s_cmp_lg_u32 s4, s5
	s_cselect_b32 s9, -1, 0
	s_lshl_b32 s10, s1, 3
	s_branch .LBB70_112
.LBB70_111:                             ;   in Loop: Header=BB70_112 Depth=1
	v_mul_lo_u32 v3, v0, 12
	v_add_nc_u32_e32 v0, 0x400, v0
	s_delay_alu instid0(VALU_DEP_1) | instskip(SKIP_1) | instid1(VALU_DEP_3)
	v_cmp_le_i32_e32 vcc_lo, s4, v0
	s_or_b32 s11, vcc_lo, s11
	v_add3_u32 v1, v1, v3, 0x4000
	s_wait_dscnt 0x0
	ds_load_2addr_b64 v[4:7], v1 offset1:1
	s_wait_dscnt 0x0
	global_store_b128 v2, v[4:7], s[34:35] scale_offset
	s_wait_xcnt 0x0
	s_and_not1_b32 exec_lo, exec_lo, s11
	s_cbranch_execz .LBB70_123
.LBB70_112:                             ; =>This Loop Header: Depth=1
                                        ;     Child Loop BB70_115 Depth 2
                                        ;     Child Loop BB70_118 Depth 2
                                        ;     Child Loop BB70_122 Depth 2
	v_lshl_add_u32 v1, v0, 2, 0
	v_mov_b32_e32 v2, s2
	s_and_not1_b32 vcc_lo, exec_lo, s6
	s_mov_b32 s1, 0
	s_mov_b32 s12, -1
	ds_load_b32 v4, v1
	s_cbranch_vccnz .LBB70_120
; %bb.113:                              ;   in Loop: Header=BB70_112 Depth=1
	v_mov_b64_e32 v[2:3], s[2:3]
	s_and_not1_b32 vcc_lo, exec_lo, s0
	s_mov_b32 s12, 0
	s_cbranch_vccnz .LBB70_116
; %bb.114:                              ;   in Loop: Header=BB70_112 Depth=1
	v_dual_mov_b32 v2, s2 :: v_dual_mov_b32 v3, 0
	s_mov_b32 s13, 0
	s_mov_b32 s14, s7
.LBB70_115:                             ;   Parent Loop BB70_112 Depth=1
                                        ; =>  This Inner Loop Header: Depth=2
	v_mov_b32_e32 v5, s13
	s_add_co_i32 s14, s14, -8
	s_add_co_i32 s12, s12, 16
	s_add_co_i32 s13, s13, 64
	s_cmp_lg_u32 s14, 0
	ds_load_2addr_b32 v[6:7], v5 offset1:1
	ds_load_2addr_b32 v[8:9], v5 offset0:2 offset1:3
	ds_load_2addr_b32 v[10:11], v5 offset0:4 offset1:5
	;; [unrolled: 1-line block ×7, first 2 shown]
	s_wait_dscnt 0x7
	v_cmp_gt_i32_e32 vcc_lo, v4, v7
	s_wait_dscnt 0x5
	v_cmp_gt_i32_e64 s1, v4, v10
	v_cndmask_b32_e64 v5, 0, 1, vcc_lo
	v_cmp_gt_i32_e32 vcc_lo, v4, v6
	s_delay_alu instid0(VALU_DEP_3) | instskip(SKIP_3) | instid1(VALU_DEP_3)
	v_cndmask_b32_e64 v7, 0, 1, s1
	v_cmp_gt_i32_e64 s1, v4, v11
	v_cndmask_b32_e64 v6, 0, 1, vcc_lo
	v_cmp_gt_i32_e32 vcc_lo, v4, v8
	v_cndmask_b32_e64 v8, 0, 1, s1
	s_wait_dscnt 0x4
	v_cmp_gt_i32_e64 s1, v4, v13
	v_add_co_ci_u32_e64 v2, null, v2, v6, vcc_lo
	s_delay_alu instid0(VALU_DEP_2) | instskip(SKIP_3) | instid1(VALU_DEP_2)
	v_cndmask_b32_e64 v10, 0, 1, s1
	v_cmp_gt_i32_e64 s1, v4, v12
	s_wait_dscnt 0x2
	v_cmp_gt_i32_e32 vcc_lo, v4, v16
	v_cndmask_b32_e64 v11, 0, 1, s1
	v_cmp_gt_i32_e64 s1, v4, v14
	v_add_co_ci_u32_e64 v2, null, v2, v7, vcc_lo
	s_wait_dscnt 0x1
	v_cmp_gt_i32_e32 vcc_lo, v4, v18
	s_delay_alu instid0(VALU_DEP_3) | instskip(SKIP_4) | instid1(VALU_DEP_3)
	v_cndmask_b32_e64 v12, 0, 1, s1
	v_cmp_gt_i32_e64 s1, v4, v15
	v_add_co_ci_u32_e64 v2, null, v2, v11, vcc_lo
	s_wait_dscnt 0x0
	v_cmp_gt_i32_e32 vcc_lo, v4, v20
	v_cndmask_b32_e64 v13, 0, 1, s1
	v_cmp_gt_i32_e64 s1, v4, v9
	v_add_co_ci_u32_e64 v2, null, v2, v12, vcc_lo
	s_delay_alu instid0(VALU_DEP_2) | instskip(SKIP_1) | instid1(VALU_DEP_1)
	v_add_co_ci_u32_e64 v3, null, v3, v5, s1
	v_cmp_gt_i32_e64 s1, v4, v17
	v_add_co_ci_u32_e64 v3, null, v3, v8, s1
	v_cmp_gt_i32_e64 s1, v4, v19
	s_delay_alu instid0(VALU_DEP_1) | instskip(SKIP_1) | instid1(VALU_DEP_1)
	v_add_co_ci_u32_e64 v3, null, v3, v10, s1
	v_cmp_gt_i32_e64 s1, v4, v21
	v_add_co_ci_u32_e64 v3, null, v3, v13, s1
	s_cbranch_scc1 .LBB70_115
.LBB70_116:                             ;   in Loop: Header=BB70_112 Depth=1
	s_and_not1_b32 vcc_lo, exec_lo, s8
	s_cbranch_vccnz .LBB70_119
; %bb.117:                              ;   in Loop: Header=BB70_112 Depth=1
	s_lshl_b32 s1, s12, 2
	s_mov_b32 s12, s10
	s_add_co_i32 s1, s1, 0
.LBB70_118:                             ;   Parent Loop BB70_112 Depth=1
                                        ; =>  This Inner Loop Header: Depth=2
	s_delay_alu instid0(SALU_CYCLE_1)
	v_mov_b32_e32 v5, s1
	s_add_co_i32 s12, s12, -8
	s_add_co_i32 s1, s1, 8
	s_cmp_lg_u32 s12, 0
	ds_load_2addr_b32 v[6:7], v5 offset1:1
	s_wait_dscnt 0x0
	v_cmp_gt_i32_e32 vcc_lo, v4, v7
	v_add_co_ci_u32_e64 v3, null, 0, v3, vcc_lo
	v_cmp_gt_i32_e32 vcc_lo, v4, v6
	v_add_co_ci_u32_e64 v2, null, 0, v2, vcc_lo
	s_cbranch_scc1 .LBB70_118
.LBB70_119:                             ;   in Loop: Header=BB70_112 Depth=1
	s_delay_alu instid0(VALU_DEP_1)
	v_add_nc_u32_e32 v2, v2, v3
	s_mov_b32 s1, s5
	s_mov_b32 s12, s9
.LBB70_120:                             ;   in Loop: Header=BB70_112 Depth=1
	s_delay_alu instid0(SALU_CYCLE_1)
	s_and_b32 vcc_lo, exec_lo, s12
	s_cbranch_vccz .LBB70_111
; %bb.121:                              ;   in Loop: Header=BB70_112 Depth=1
	s_lshl_b32 s12, s1, 2
	s_delay_alu instid0(SALU_CYCLE_1)
	s_add_co_i32 s12, s12, 0
.LBB70_122:                             ;   Parent Loop BB70_112 Depth=1
                                        ; =>  This Inner Loop Header: Depth=2
	s_delay_alu instid0(SALU_CYCLE_1)
	v_mov_b32_e32 v3, s12
	s_add_co_i32 s1, s1, 1
	s_add_co_i32 s12, s12, 4
	s_cmp_ge_i32 s1, s4
	ds_load_b32 v3, v3
	s_wait_dscnt 0x0
	v_cmp_gt_i32_e32 vcc_lo, v4, v3
	v_add_co_ci_u32_e64 v2, null, 0, v2, vcc_lo
	s_cbranch_scc0 .LBB70_122
	s_branch .LBB70_111
.LBB70_123:
	s_endpgm
	.section	.rodata,"a",@progbits
	.p2align	6, 0x0
	.amdhsa_kernel _ZN9rocsparseL41csrgemm_numeric_fill_block_per_row_kernelILj1024ELj64ELj4096ELj137ELj32Eii21rocsparse_complex_numIdEEEvT5_PKS3_S5_NS_24const_host_device_scalarIT6_EEPKT4_S5_PKS7_SB_S5_SD_S8_SB_S5_SD_SB_S5_PS7_21rocsparse_index_base_SF_SF_SF_bbb
		.amdhsa_group_segment_fixed_size 0
		.amdhsa_private_segment_fixed_size 40
		.amdhsa_kernarg_size 172
		.amdhsa_user_sgpr_count 2
		.amdhsa_user_sgpr_dispatch_ptr 0
		.amdhsa_user_sgpr_queue_ptr 0
		.amdhsa_user_sgpr_kernarg_segment_ptr 1
		.amdhsa_user_sgpr_dispatch_id 0
		.amdhsa_user_sgpr_kernarg_preload_length 0
		.amdhsa_user_sgpr_kernarg_preload_offset 0
		.amdhsa_user_sgpr_private_segment_size 0
		.amdhsa_wavefront_size32 1
		.amdhsa_uses_dynamic_stack 0
		.amdhsa_enable_private_segment 1
		.amdhsa_system_sgpr_workgroup_id_x 1
		.amdhsa_system_sgpr_workgroup_id_y 0
		.amdhsa_system_sgpr_workgroup_id_z 0
		.amdhsa_system_sgpr_workgroup_info 0
		.amdhsa_system_vgpr_workitem_id 0
		.amdhsa_next_free_vgpr 29
		.amdhsa_next_free_sgpr 74
		.amdhsa_named_barrier_count 0
		.amdhsa_reserve_vcc 1
		.amdhsa_float_round_mode_32 0
		.amdhsa_float_round_mode_16_64 0
		.amdhsa_float_denorm_mode_32 3
		.amdhsa_float_denorm_mode_16_64 3
		.amdhsa_fp16_overflow 0
		.amdhsa_memory_ordered 1
		.amdhsa_forward_progress 1
		.amdhsa_inst_pref_size 39
		.amdhsa_round_robin_scheduling 0
		.amdhsa_exception_fp_ieee_invalid_op 0
		.amdhsa_exception_fp_denorm_src 0
		.amdhsa_exception_fp_ieee_div_zero 0
		.amdhsa_exception_fp_ieee_overflow 0
		.amdhsa_exception_fp_ieee_underflow 0
		.amdhsa_exception_fp_ieee_inexact 0
		.amdhsa_exception_int_div_zero 0
	.end_amdhsa_kernel
	.section	.text._ZN9rocsparseL41csrgemm_numeric_fill_block_per_row_kernelILj1024ELj64ELj4096ELj137ELj32Eii21rocsparse_complex_numIdEEEvT5_PKS3_S5_NS_24const_host_device_scalarIT6_EEPKT4_S5_PKS7_SB_S5_SD_S8_SB_S5_SD_SB_S5_PS7_21rocsparse_index_base_SF_SF_SF_bbb,"axG",@progbits,_ZN9rocsparseL41csrgemm_numeric_fill_block_per_row_kernelILj1024ELj64ELj4096ELj137ELj32Eii21rocsparse_complex_numIdEEEvT5_PKS3_S5_NS_24const_host_device_scalarIT6_EEPKT4_S5_PKS7_SB_S5_SD_S8_SB_S5_SD_SB_S5_PS7_21rocsparse_index_base_SF_SF_SF_bbb,comdat
.Lfunc_end70:
	.size	_ZN9rocsparseL41csrgemm_numeric_fill_block_per_row_kernelILj1024ELj64ELj4096ELj137ELj32Eii21rocsparse_complex_numIdEEEvT5_PKS3_S5_NS_24const_host_device_scalarIT6_EEPKT4_S5_PKS7_SB_S5_SD_S8_SB_S5_SD_SB_S5_PS7_21rocsparse_index_base_SF_SF_SF_bbb, .Lfunc_end70-_ZN9rocsparseL41csrgemm_numeric_fill_block_per_row_kernelILj1024ELj64ELj4096ELj137ELj32Eii21rocsparse_complex_numIdEEEvT5_PKS3_S5_NS_24const_host_device_scalarIT6_EEPKT4_S5_PKS7_SB_S5_SD_S8_SB_S5_SD_SB_S5_PS7_21rocsparse_index_base_SF_SF_SF_bbb
                                        ; -- End function
	.set _ZN9rocsparseL41csrgemm_numeric_fill_block_per_row_kernelILj1024ELj64ELj4096ELj137ELj32Eii21rocsparse_complex_numIdEEEvT5_PKS3_S5_NS_24const_host_device_scalarIT6_EEPKT4_S5_PKS7_SB_S5_SD_S8_SB_S5_SD_SB_S5_PS7_21rocsparse_index_base_SF_SF_SF_bbb.num_vgpr, 29
	.set _ZN9rocsparseL41csrgemm_numeric_fill_block_per_row_kernelILj1024ELj64ELj4096ELj137ELj32Eii21rocsparse_complex_numIdEEEvT5_PKS3_S5_NS_24const_host_device_scalarIT6_EEPKT4_S5_PKS7_SB_S5_SD_S8_SB_S5_SD_SB_S5_PS7_21rocsparse_index_base_SF_SF_SF_bbb.num_agpr, 0
	.set _ZN9rocsparseL41csrgemm_numeric_fill_block_per_row_kernelILj1024ELj64ELj4096ELj137ELj32Eii21rocsparse_complex_numIdEEEvT5_PKS3_S5_NS_24const_host_device_scalarIT6_EEPKT4_S5_PKS7_SB_S5_SD_S8_SB_S5_SD_SB_S5_PS7_21rocsparse_index_base_SF_SF_SF_bbb.numbered_sgpr, 74
	.set _ZN9rocsparseL41csrgemm_numeric_fill_block_per_row_kernelILj1024ELj64ELj4096ELj137ELj32Eii21rocsparse_complex_numIdEEEvT5_PKS3_S5_NS_24const_host_device_scalarIT6_EEPKT4_S5_PKS7_SB_S5_SD_S8_SB_S5_SD_SB_S5_PS7_21rocsparse_index_base_SF_SF_SF_bbb.num_named_barrier, 0
	.set _ZN9rocsparseL41csrgemm_numeric_fill_block_per_row_kernelILj1024ELj64ELj4096ELj137ELj32Eii21rocsparse_complex_numIdEEEvT5_PKS3_S5_NS_24const_host_device_scalarIT6_EEPKT4_S5_PKS7_SB_S5_SD_S8_SB_S5_SD_SB_S5_PS7_21rocsparse_index_base_SF_SF_SF_bbb.private_seg_size, 40
	.set _ZN9rocsparseL41csrgemm_numeric_fill_block_per_row_kernelILj1024ELj64ELj4096ELj137ELj32Eii21rocsparse_complex_numIdEEEvT5_PKS3_S5_NS_24const_host_device_scalarIT6_EEPKT4_S5_PKS7_SB_S5_SD_S8_SB_S5_SD_SB_S5_PS7_21rocsparse_index_base_SF_SF_SF_bbb.uses_vcc, 1
	.set _ZN9rocsparseL41csrgemm_numeric_fill_block_per_row_kernelILj1024ELj64ELj4096ELj137ELj32Eii21rocsparse_complex_numIdEEEvT5_PKS3_S5_NS_24const_host_device_scalarIT6_EEPKT4_S5_PKS7_SB_S5_SD_S8_SB_S5_SD_SB_S5_PS7_21rocsparse_index_base_SF_SF_SF_bbb.uses_flat_scratch, 1
	.set _ZN9rocsparseL41csrgemm_numeric_fill_block_per_row_kernelILj1024ELj64ELj4096ELj137ELj32Eii21rocsparse_complex_numIdEEEvT5_PKS3_S5_NS_24const_host_device_scalarIT6_EEPKT4_S5_PKS7_SB_S5_SD_S8_SB_S5_SD_SB_S5_PS7_21rocsparse_index_base_SF_SF_SF_bbb.has_dyn_sized_stack, 0
	.set _ZN9rocsparseL41csrgemm_numeric_fill_block_per_row_kernelILj1024ELj64ELj4096ELj137ELj32Eii21rocsparse_complex_numIdEEEvT5_PKS3_S5_NS_24const_host_device_scalarIT6_EEPKT4_S5_PKS7_SB_S5_SD_S8_SB_S5_SD_SB_S5_PS7_21rocsparse_index_base_SF_SF_SF_bbb.has_recursion, 0
	.set _ZN9rocsparseL41csrgemm_numeric_fill_block_per_row_kernelILj1024ELj64ELj4096ELj137ELj32Eii21rocsparse_complex_numIdEEEvT5_PKS3_S5_NS_24const_host_device_scalarIT6_EEPKT4_S5_PKS7_SB_S5_SD_S8_SB_S5_SD_SB_S5_PS7_21rocsparse_index_base_SF_SF_SF_bbb.has_indirect_call, 0
	.section	.AMDGPU.csdata,"",@progbits
; Kernel info:
; codeLenInByte = 4980
; TotalNumSgprs: 76
; NumVgprs: 29
; ScratchSize: 40
; MemoryBound: 0
; FloatMode: 240
; IeeeMode: 1
; LDSByteSize: 0 bytes/workgroup (compile time only)
; SGPRBlocks: 0
; VGPRBlocks: 1
; NumSGPRsForWavesPerEU: 76
; NumVGPRsForWavesPerEU: 29
; NamedBarCnt: 0
; Occupancy: 16
; WaveLimiterHint : 1
; COMPUTE_PGM_RSRC2:SCRATCH_EN: 1
; COMPUTE_PGM_RSRC2:USER_SGPR: 2
; COMPUTE_PGM_RSRC2:TRAP_HANDLER: 0
; COMPUTE_PGM_RSRC2:TGID_X_EN: 1
; COMPUTE_PGM_RSRC2:TGID_Y_EN: 0
; COMPUTE_PGM_RSRC2:TGID_Z_EN: 0
; COMPUTE_PGM_RSRC2:TIDIG_COMP_CNT: 0
	.section	.text._ZN9rocsparseL41csrgemm_numeric_fill_block_per_row_kernelILj1024ELj64ELj4096ELj137ELj64Eii21rocsparse_complex_numIdEEEvT5_PKS3_S5_NS_24const_host_device_scalarIT6_EEPKT4_S5_PKS7_SB_S5_SD_S8_SB_S5_SD_SB_S5_PS7_21rocsparse_index_base_SF_SF_SF_bbb,"axG",@progbits,_ZN9rocsparseL41csrgemm_numeric_fill_block_per_row_kernelILj1024ELj64ELj4096ELj137ELj64Eii21rocsparse_complex_numIdEEEvT5_PKS3_S5_NS_24const_host_device_scalarIT6_EEPKT4_S5_PKS7_SB_S5_SD_S8_SB_S5_SD_SB_S5_PS7_21rocsparse_index_base_SF_SF_SF_bbb,comdat
	.globl	_ZN9rocsparseL41csrgemm_numeric_fill_block_per_row_kernelILj1024ELj64ELj4096ELj137ELj64Eii21rocsparse_complex_numIdEEEvT5_PKS3_S5_NS_24const_host_device_scalarIT6_EEPKT4_S5_PKS7_SB_S5_SD_S8_SB_S5_SD_SB_S5_PS7_21rocsparse_index_base_SF_SF_SF_bbb ; -- Begin function _ZN9rocsparseL41csrgemm_numeric_fill_block_per_row_kernelILj1024ELj64ELj4096ELj137ELj64Eii21rocsparse_complex_numIdEEEvT5_PKS3_S5_NS_24const_host_device_scalarIT6_EEPKT4_S5_PKS7_SB_S5_SD_S8_SB_S5_SD_SB_S5_PS7_21rocsparse_index_base_SF_SF_SF_bbb
	.p2align	8
	.type	_ZN9rocsparseL41csrgemm_numeric_fill_block_per_row_kernelILj1024ELj64ELj4096ELj137ELj64Eii21rocsparse_complex_numIdEEEvT5_PKS3_S5_NS_24const_host_device_scalarIT6_EEPKT4_S5_PKS7_SB_S5_SD_S8_SB_S5_SD_SB_S5_PS7_21rocsparse_index_base_SF_SF_SF_bbb,@function
_ZN9rocsparseL41csrgemm_numeric_fill_block_per_row_kernelILj1024ELj64ELj4096ELj137ELj64Eii21rocsparse_complex_numIdEEEvT5_PKS3_S5_NS_24const_host_device_scalarIT6_EEPKT4_S5_PKS7_SB_S5_SD_S8_SB_S5_SD_SB_S5_PS7_21rocsparse_index_base_SF_SF_SF_bbb: ; @_ZN9rocsparseL41csrgemm_numeric_fill_block_per_row_kernelILj1024ELj64ELj4096ELj137ELj64Eii21rocsparse_complex_numIdEEEvT5_PKS3_S5_NS_24const_host_device_scalarIT6_EEPKT4_S5_PKS7_SB_S5_SD_S8_SB_S5_SD_SB_S5_PS7_21rocsparse_index_base_SF_SF_SF_bbb
; %bb.0:
	s_clause 0x3
	s_load_b32 s3, s[0:1], 0xa8
	s_load_b128 s[4:7], s[0:1], 0x18
	s_load_b128 s[12:15], s[0:1], 0x58
	s_load_b128 s[16:19], s[0:1], 0x98
	v_mov_b64_e32 v[6:7], 0
	v_mov_b64_e32 v[10:11], 0
	;; [unrolled: 1-line block ×3, first 2 shown]
	v_mbcnt_lo_u32_b32 v22, -1, 0
	s_wait_kmcnt 0x0
	s_bitcmp1_b32 s3, 0
	v_mov_b64_e32 v[2:3], s[4:5]
	s_cselect_b32 s35, -1, 0
	s_bitcmp1_b32 s3, 16
	v_mov_b64_e32 v[4:5], s[12:13]
	s_cselect_b32 s2, -1, 0
	s_clause 0x1
	scratch_store_b64 off, v[2:3], off offset:16
	scratch_store_b64 off, v[4:5], off offset:24
	s_xor_b32 s26, s2, -1
	s_bitcmp0_b32 s3, 0
	v_cndmask_b32_e64 v1, 0, 1, s26
	s_delay_alu instid0(VALU_DEP_1)
	v_cmp_ne_u32_e32 vcc_lo, 1, v1
	s_cbranch_scc1 .LBB71_3
; %bb.1:
	s_wait_xcnt 0x1
	v_dual_mov_b32 v2, 16 :: v_dual_lshlrev_b32 v3, 20, v22
	v_mov_b64_e32 v[12:13], s[6:7]
	s_and_b32 vcc_lo, exec_lo, vcc_lo
	s_delay_alu instid0(VALU_DEP_2) | instskip(NEXT) | instid1(VALU_DEP_1)
	v_add_nc_u64_e32 v[2:3], src_flat_scratch_base_lo, v[2:3]
	v_cndmask_b32_e64 v3, s5, v3, s2
	s_delay_alu instid0(VALU_DEP_2)
	v_cndmask_b32_e64 v2, s4, v2, s2
	flat_load_b64 v[10:11], v[2:3]
	s_cbranch_vccnz .LBB71_3
; %bb.2:
	v_mov_b32_e32 v1, 0
	flat_load_b64 v[12:13], v1, s[4:5] offset:8
.LBB71_3:
	s_clause 0x4
	s_load_b64 s[24:25], s[0:1], 0x90
	s_load_b128 s[4:7], s[0:1], 0x70
	s_load_b128 s[8:11], s[0:1], 0x48
	;; [unrolled: 1-line block ×3, first 2 shown]
	s_load_b64 s[28:29], s[0:1], 0x30
	v_mov_b64_e32 v[8:9], 0
	s_bitcmp1_b32 s3, 8
	s_cselect_b32 s34, -1, 0
	s_bfe_u32 s3, s3, 0x10008
	s_delay_alu instid0(SALU_CYCLE_1)
	s_cmp_eq_u32 s3, 0
	s_cbranch_scc1 .LBB71_6
; %bb.4:
	v_dual_mov_b32 v2, 24 :: v_dual_lshlrev_b32 v3, 20, v22
	v_mov_b64_e32 v[6:7], s[14:15]
	s_and_not1_b32 vcc_lo, exec_lo, s26
	s_delay_alu instid0(VALU_DEP_2) | instskip(NEXT) | instid1(VALU_DEP_1)
	v_add_nc_u64_e32 v[2:3], src_flat_scratch_base_lo, v[2:3]
	v_cndmask_b32_e64 v3, s13, v3, s2
	s_delay_alu instid0(VALU_DEP_2)
	v_cndmask_b32_e64 v2, s12, v2, s2
	flat_load_b64 v[8:9], v[2:3]
	s_cbranch_vccnz .LBB71_6
; %bb.5:
	v_mov_b32_e32 v1, 0
	flat_load_b64 v[6:7], v1, s[12:13] offset:8
.LBB71_6:
	s_clause 0x4
	s_load_b32 s33, s[0:1], 0x0
	s_load_b64 s[30:31], s[0:1], 0x28
	s_load_b64 s[26:27], s[0:1], 0x80
	;; [unrolled: 1-line block ×3, first 2 shown]
	s_load_b128 s[12:15], s[0:1], 0x38
	v_lshl_add_u32 v20, v0, 2, 0
	v_lshlrev_b32_e32 v4, 4, v0
	s_wait_xcnt 0x0
	s_mov_b32 s0, 0
	v_or_b32_e32 v1, 0xfffffc00, v0
	s_mov_b32 s1, s0
	v_mov_b32_e32 v14, v20
	v_add3_u32 v21, v4, 0, 0x4000
	s_mov_b32 s36, s0
	s_mov_b32 s37, s0
	v_mov_b64_e32 v[2:3], s[0:1]
	v_mov_b64_e32 v[4:5], s[36:37]
	v_dual_mov_b32 v15, v1 :: v_dual_mov_b32 v17, v21
	s_wait_kmcnt 0x0
	v_mov_b32_e32 v16, s33
.LBB71_7:                               ; =>This Inner Loop Header: Depth=1
	s_delay_alu instid0(VALU_DEP_2)
	v_add_nc_u32_e32 v15, 0x400, v15
	ds_store_b32 v14, v16
	ds_store_2addr_b64 v17, v[2:3], v[4:5] offset1:1
	v_add_nc_u32_e32 v17, 0x4000, v17
	v_add_nc_u32_e32 v14, 0x1000, v14
	v_cmp_lt_u32_e32 vcc_lo, 0xbff, v15
	s_or_b32 s0, vcc_lo, s0
	s_delay_alu instid0(SALU_CYCLE_1)
	s_and_not1_b32 exec_lo, exec_lo, s0
	s_cbranch_execnz .LBB71_7
; %bb.8:
	s_or_b32 exec_lo, exec_lo, s0
	s_wait_storecnt 0x0
	s_wait_loadcnt_dscnt 0x0
	s_barrier_signal -1
	s_barrier_wait -1
	s_load_b32 s0, s[20:21], 0x0
	s_bfe_u32 s1, ttmp6, 0x4000c
	s_wait_xcnt 0x0
	s_and_b32 s20, ttmp6, 15
	s_add_co_i32 s1, s1, 1
	s_getreg_b32 s21, hwreg(HW_REG_IB_STS2, 6, 4)
	s_mul_i32 s1, ttmp9, s1
	v_lshrrev_b32_e32 v23, 6, v0
	s_add_co_i32 s20, s20, s1
	s_cmp_eq_u32 s21, 0
	s_cselect_b32 s1, ttmp9, s20
	s_and_b32 vcc_lo, exec_lo, s35
	s_wait_kmcnt 0x0
	s_add_co_i32 s0, s0, s1
	s_load_b32 s20, s[22:23], s0 offset:0x0 scale_offset
	s_cbranch_vccz .LBB71_26
; %bb.9:
	s_wait_kmcnt 0x0
	s_ashr_i32 s21, s20, 31
	v_subrev_nc_u32_e32 v2, s16, v23
	s_lshl_b64 s[0:1], s[20:21], 2
	s_delay_alu instid0(SALU_CYCLE_1)
	s_add_nc_u64 s[0:1], s[30:31], s[0:1]
	s_load_b64 s[22:23], s[0:1], 0x0
	s_wait_xcnt 0x0
	s_mov_b32 s1, exec_lo
	s_wait_kmcnt 0x0
	v_add_nc_u32_e32 v14, s22, v2
	s_sub_co_i32 s0, s23, s16
	s_delay_alu instid0(VALU_DEP_1) | instid1(SALU_CYCLE_1)
	v_cmpx_gt_i32_e64 s0, v14
	s_cbranch_execz .LBB71_25
; %bb.10:
	v_and_b32_e32 v2, 63, v0
	s_mov_b32 s21, 0
	s_delay_alu instid0(VALU_DEP_1)
	v_subrev_nc_u32_e32 v24, s17, v2
	s_branch .LBB71_12
.LBB71_11:                              ;   in Loop: Header=BB71_12 Depth=1
	s_or_b32 exec_lo, exec_lo, s22
	v_add_nc_u32_e32 v14, 16, v14
	s_delay_alu instid0(VALU_DEP_1) | instskip(SKIP_1) | instid1(SALU_CYCLE_1)
	v_cmp_le_i32_e32 vcc_lo, s0, v14
	s_or_b32 s21, vcc_lo, s21
	s_and_not1_b32 exec_lo, exec_lo, s21
	s_cbranch_execz .LBB71_25
.LBB71_12:                              ; =>This Loop Header: Depth=1
                                        ;     Child Loop BB71_16 Depth 2
                                        ;       Child Loop BB71_19 Depth 3
	global_load_b32 v2, v14, s[28:29] scale_offset
	s_mov_b32 s22, exec_lo
	s_wait_loadcnt 0x0
	v_subrev_nc_u32_e32 v2, s16, v2
	s_delay_alu instid0(VALU_DEP_1) | instskip(NEXT) | instid1(VALU_DEP_1)
	v_ashrrev_i32_e32 v3, 31, v2
	v_lshl_add_u64 v[2:3], v[2:3], 2, s[14:15]
	global_load_b64 v[2:3], v[2:3], off
	s_wait_loadcnt 0x0
	v_subrev_nc_u32_e32 v25, s17, v3
	v_add_nc_u32_e32 v26, v2, v24
	s_wait_xcnt 0x0
	s_delay_alu instid0(VALU_DEP_1)
	v_cmpx_lt_i32_e64 v26, v25
	s_cbranch_execz .LBB71_11
; %bb.13:                               ;   in Loop: Header=BB71_12 Depth=1
	v_ashrrev_i32_e32 v15, 31, v14
	s_mov_b32 s23, 0
	s_delay_alu instid0(VALU_DEP_1) | instskip(SKIP_4) | instid1(VALU_DEP_2)
	v_lshl_add_u64 v[2:3], v[14:15], 4, s[12:13]
	global_load_b128 v[2:5], v[2:3], off
	s_wait_loadcnt 0x0
	v_mul_f64_e64 v[16:17], v[4:5], -v[12:13]
	v_mul_f64_e32 v[18:19], v[10:11], v[4:5]
	v_fmac_f64_e32 v[16:17], v[10:11], v[2:3]
	s_delay_alu instid0(VALU_DEP_2)
	v_fmac_f64_e32 v[18:19], v[12:13], v[2:3]
	s_branch .LBB71_16
.LBB71_14:                              ;   in Loop: Header=BB71_16 Depth=2
	s_or_b32 exec_lo, exec_lo, s31
.LBB71_15:                              ;   in Loop: Header=BB71_16 Depth=2
	s_delay_alu instid0(SALU_CYCLE_1) | instskip(SKIP_3) | instid1(VALU_DEP_1)
	s_or_b32 exec_lo, exec_lo, s30
	s_wait_loadcnt 0x0
	v_mul_f64_e64 v[28:29], v[4:5], -v[18:19]
	v_dual_mul_f64 v[4:5], v[16:17], v[4:5] :: v_dual_add_nc_u32 v26, 64, v26
	v_cmp_ge_i32_e32 vcc_lo, v26, v25
	s_or_b32 s23, vcc_lo, s23
	s_delay_alu instid0(VALU_DEP_3) | instskip(NEXT) | instid1(VALU_DEP_3)
	v_fmac_f64_e32 v[28:29], v[16:17], v[2:3]
	v_fmac_f64_e32 v[4:5], v[18:19], v[2:3]
	v_lshl_add_u32 v2, v15, 4, 0
	ds_add_f64 v2, v[28:29] offset:16384
	ds_add_f64 v2, v[4:5] offset:16392
	s_and_not1_b32 exec_lo, exec_lo, s23
	s_cbranch_execz .LBB71_11
.LBB71_16:                              ;   Parent Loop BB71_12 Depth=1
                                        ; =>  This Loop Header: Depth=2
                                        ;       Child Loop BB71_19 Depth 3
	s_clause 0x1
	global_load_b32 v15, v26, s[8:9] scale_offset
	global_load_b128 v[2:5], v26, s[10:11] scale_offset
	s_mov_b32 s30, exec_lo
	s_wait_loadcnt 0x1
	v_subrev_nc_u32_e32 v27, s17, v15
	s_delay_alu instid0(VALU_DEP_1) | instskip(NEXT) | instid1(VALU_DEP_1)
	v_mul_lo_u32 v15, 0x89, v27
	v_and_b32_e32 v15, 0xfff, v15
	s_delay_alu instid0(VALU_DEP_1)
	v_lshl_add_u32 v28, v15, 2, 0
	ds_load_b32 v29, v28
	s_wait_dscnt 0x0
	s_wait_xcnt 0x0
	v_cmpx_ne_u32_e64 v29, v27
	s_cbranch_execz .LBB71_15
; %bb.17:                               ;   in Loop: Header=BB71_16 Depth=2
	s_mov_b32 s31, 0
	s_branch .LBB71_19
.LBB71_18:                              ;   in Loop: Header=BB71_19 Depth=3
	s_or_b32 exec_lo, exec_lo, s37
	s_delay_alu instid0(SALU_CYCLE_1) | instskip(NEXT) | instid1(SALU_CYCLE_1)
	s_and_b32 s35, exec_lo, s36
	s_or_b32 s31, s35, s31
	s_delay_alu instid0(SALU_CYCLE_1)
	s_and_not1_b32 exec_lo, exec_lo, s31
	s_cbranch_execz .LBB71_14
.LBB71_19:                              ;   Parent Loop BB71_12 Depth=1
                                        ;     Parent Loop BB71_16 Depth=2
                                        ; =>    This Inner Loop Header: Depth=3
	s_mov_b32 s35, 0
	s_mov_b32 s36, exec_lo
	v_cmpx_ne_u32_e64 s33, v29
	s_xor_b32 s36, exec_lo, s36
	s_cbranch_execz .LBB71_21
; %bb.20:                               ;   in Loop: Header=BB71_19 Depth=3
	v_add_nc_u32_e32 v15, 1, v15
	s_mov_b32 s35, exec_lo
                                        ; implicit-def: $vgpr28
	s_delay_alu instid0(VALU_DEP_1)
	v_and_b32_e32 v15, 0xfff, v15
	s_and_not1_saveexec_b32 s36, s36
	s_cbranch_execz .LBB71_23
	s_branch .LBB71_22
.LBB71_21:                              ;   in Loop: Header=BB71_19 Depth=3
	s_and_not1_saveexec_b32 s36, s36
	s_cbranch_execz .LBB71_23
.LBB71_22:                              ;   in Loop: Header=BB71_19 Depth=3
	v_mov_b32_e32 v29, s33
	s_and_not1_b32 s35, s35, exec_lo
	ds_cmpstore_rtn_b32 v28, v28, v27, v29
	s_wait_dscnt 0x0
	v_cmp_ne_u32_e32 vcc_lo, s33, v28
	s_and_b32 s37, vcc_lo, exec_lo
	s_delay_alu instid0(SALU_CYCLE_1)
	s_or_b32 s35, s35, s37
.LBB71_23:                              ;   in Loop: Header=BB71_19 Depth=3
	s_or_b32 exec_lo, exec_lo, s36
	s_mov_b32 s36, -1
                                        ; implicit-def: $vgpr28
                                        ; implicit-def: $vgpr29
	s_and_saveexec_b32 s37, s35
	s_cbranch_execz .LBB71_18
; %bb.24:                               ;   in Loop: Header=BB71_19 Depth=3
	v_lshl_add_u32 v28, v15, 2, 0
	ds_load_b32 v29, v28
	s_wait_dscnt 0x0
	v_cmp_eq_u32_e32 vcc_lo, v29, v27
	s_or_not1_b32 s36, vcc_lo, exec_lo
	s_branch .LBB71_18
.LBB71_25:
	s_or_b32 exec_lo, exec_lo, s1
.LBB71_26:
	s_delay_alu instid0(SALU_CYCLE_1)
	s_and_not1_b32 vcc_lo, exec_lo, s34
	s_cbranch_vccnz .LBB71_41
; %bb.27:
	s_wait_kmcnt 0x0
	s_ashr_i32 s21, s20, 31
	v_subrev_nc_u32_e32 v2, s19, v0
	s_lshl_b64 s[0:1], s[20:21], 2
	s_delay_alu instid0(SALU_CYCLE_1)
	s_add_nc_u64 s[0:1], s[2:3], s[0:1]
	s_load_b64 s[2:3], s[0:1], 0x0
	s_wait_xcnt 0x0
	s_mov_b32 s1, exec_lo
	s_wait_kmcnt 0x0
	v_add_nc_u32_e32 v10, s2, v2
	s_sub_co_i32 s0, s3, s19
	s_delay_alu instid0(VALU_DEP_1) | instid1(SALU_CYCLE_1)
	v_cmpx_gt_i32_e64 s0, v10
	s_cbranch_execz .LBB71_40
; %bb.28:
	s_mov_b32 s2, 0
	s_branch .LBB71_31
.LBB71_29:                              ;   in Loop: Header=BB71_31 Depth=1
	s_or_b32 exec_lo, exec_lo, s8
.LBB71_30:                              ;   in Loop: Header=BB71_31 Depth=1
	s_delay_alu instid0(SALU_CYCLE_1) | instskip(SKIP_4) | instid1(VALU_DEP_1)
	s_or_b32 exec_lo, exec_lo, s3
	s_wait_loadcnt 0x0
	v_mul_f64_e64 v[12:13], v[4:5], -v[6:7]
	v_mul_f64_e32 v[4:5], v[8:9], v[4:5]
	v_add_nc_u32_e32 v10, 0x400, v10
	v_cmp_le_i32_e32 vcc_lo, s0, v10
	s_or_b32 s2, vcc_lo, s2
	s_delay_alu instid0(VALU_DEP_4) | instskip(NEXT) | instid1(VALU_DEP_4)
	v_fmac_f64_e32 v[12:13], v[8:9], v[2:3]
	v_fmac_f64_e32 v[4:5], v[6:7], v[2:3]
	v_lshl_add_u32 v2, v11, 4, 0
	ds_add_f64 v2, v[12:13] offset:16384
	ds_add_f64 v2, v[4:5] offset:16392
	s_and_not1_b32 exec_lo, exec_lo, s2
	s_cbranch_execz .LBB71_40
.LBB71_31:                              ; =>This Loop Header: Depth=1
                                        ;     Child Loop BB71_34 Depth 2
	s_clause 0x1
	global_load_b32 v11, v10, s[4:5] scale_offset
	global_load_b128 v[2:5], v10, s[6:7] scale_offset
	s_mov_b32 s3, exec_lo
	s_wait_loadcnt 0x1
	v_subrev_nc_u32_e32 v12, s19, v11
	s_delay_alu instid0(VALU_DEP_1) | instskip(NEXT) | instid1(VALU_DEP_1)
	v_mul_lo_u32 v11, 0x89, v12
	v_and_b32_e32 v11, 0xfff, v11
	s_delay_alu instid0(VALU_DEP_1)
	v_lshl_add_u32 v13, v11, 2, 0
	ds_load_b32 v14, v13
	s_wait_dscnt 0x0
	s_wait_xcnt 0x0
	v_cmpx_ne_u32_e64 v14, v12
	s_cbranch_execz .LBB71_30
; %bb.32:                               ;   in Loop: Header=BB71_31 Depth=1
	s_mov_b32 s8, 0
	s_branch .LBB71_34
.LBB71_33:                              ;   in Loop: Header=BB71_34 Depth=2
	s_or_b32 exec_lo, exec_lo, s11
	s_delay_alu instid0(SALU_CYCLE_1) | instskip(NEXT) | instid1(SALU_CYCLE_1)
	s_and_b32 s9, exec_lo, s10
	s_or_b32 s8, s9, s8
	s_delay_alu instid0(SALU_CYCLE_1)
	s_and_not1_b32 exec_lo, exec_lo, s8
	s_cbranch_execz .LBB71_29
.LBB71_34:                              ;   Parent Loop BB71_31 Depth=1
                                        ; =>  This Inner Loop Header: Depth=2
	s_mov_b32 s9, 0
	s_mov_b32 s10, exec_lo
	v_cmpx_ne_u32_e64 s33, v14
	s_xor_b32 s10, exec_lo, s10
	s_cbranch_execz .LBB71_36
; %bb.35:                               ;   in Loop: Header=BB71_34 Depth=2
	v_add_nc_u32_e32 v11, 1, v11
	s_mov_b32 s9, exec_lo
                                        ; implicit-def: $vgpr13
	s_delay_alu instid0(VALU_DEP_1)
	v_and_b32_e32 v11, 0xfff, v11
	s_and_not1_saveexec_b32 s10, s10
	s_cbranch_execz .LBB71_38
	s_branch .LBB71_37
.LBB71_36:                              ;   in Loop: Header=BB71_34 Depth=2
	s_and_not1_saveexec_b32 s10, s10
	s_cbranch_execz .LBB71_38
.LBB71_37:                              ;   in Loop: Header=BB71_34 Depth=2
	v_mov_b32_e32 v14, s33
	s_and_not1_b32 s9, s9, exec_lo
	ds_cmpstore_rtn_b32 v13, v13, v12, v14
	s_wait_dscnt 0x0
	v_cmp_ne_u32_e32 vcc_lo, s33, v13
	s_and_b32 s11, vcc_lo, exec_lo
	s_delay_alu instid0(SALU_CYCLE_1)
	s_or_b32 s9, s9, s11
.LBB71_38:                              ;   in Loop: Header=BB71_34 Depth=2
	s_or_b32 exec_lo, exec_lo, s10
	s_mov_b32 s10, -1
                                        ; implicit-def: $vgpr13
                                        ; implicit-def: $vgpr14
	s_and_saveexec_b32 s11, s9
	s_cbranch_execz .LBB71_33
; %bb.39:                               ;   in Loop: Header=BB71_34 Depth=2
	v_lshl_add_u32 v13, v11, 2, 0
	ds_load_b32 v14, v13
	s_wait_dscnt 0x0
	v_cmp_eq_u32_e32 vcc_lo, v14, v12
	s_or_not1_b32 s10, vcc_lo, exec_lo
	s_branch .LBB71_33
.LBB71_40:
	s_or_b32 exec_lo, exec_lo, s1
.LBB71_41:
	v_dual_lshlrev_b32 v4, 2, v23 :: v_dual_bitop2_b32 v2, 31, v22 bitop3:0x14
	s_add_co_i32 s36, 0, 0x1403c
	s_delay_alu instid0(SALU_CYCLE_1) | instskip(NEXT) | instid1(VALU_DEP_2)
	v_dual_mov_b32 v3, 0 :: v_dual_mov_b32 v5, s36
	v_lshrrev_b32_e64 v2, v2, -1
	s_delay_alu instid0(VALU_DEP_3)
	v_add3_u32 v4, 0x14000, 0, v4
	s_wait_xcnt 0x0
	v_cmp_lt_u32_e64 s0, 63, v0
	v_cmp_lt_u32_e64 s1, 0x7f, v0
	;; [unrolled: 1-line block ×15, first 2 shown]
	s_mov_b32 s16, 0
	s_add_co_i32 s17, 0, 0x14000
	s_add_co_i32 s19, 0, 0x14004
	;; [unrolled: 1-line block ×15, first 2 shown]
	s_wait_dscnt 0x0
	s_barrier_signal -1
	s_barrier_wait -1
	v_cmp_eq_u32_e32 vcc_lo, 0x3ff, v0
	s_branch .LBB71_43
.LBB71_42:                              ;   in Loop: Header=BB71_43 Depth=1
	s_or_b32 exec_lo, exec_lo, s15
	s_wait_dscnt 0x0
	s_barrier_signal -1
	s_barrier_wait -1
	ds_load_b32 v6, v5
	v_add_nc_u32_e32 v1, 0x400, v1
	v_add_nc_u32_e32 v21, 0x4000, v21
	;; [unrolled: 1-line block ×3, first 2 shown]
	s_delay_alu instid0(VALU_DEP_3)
	v_cmp_lt_u32_e64 s15, 0xbff, v1
	s_or_b32 s16, s15, s16
	s_wait_dscnt 0x0
	v_add_nc_u32_e32 v3, v6, v3
	s_and_not1_b32 exec_lo, exec_lo, s16
	s_cbranch_execz .LBB71_77
.LBB71_43:                              ; =>This Inner Loop Header: Depth=1
	ds_load_b32 v6, v20
	ds_load_2addr_b64 v[8:11], v21 offset1:1
	s_wait_dscnt 0x1
	v_cmp_gt_i32_e64 s15, s33, v6
	s_wait_dscnt 0x0
	scratch_store_b128 off, v[8:11], off
	s_wait_storecnt 0x0
	s_barrier_signal -1
	s_barrier_wait -1
	s_bcnt1_i32_b32 s41, s15
	s_wait_xcnt 0x0
	v_dual_mov_b32 v8, s41 :: v_dual_bitop2_b32 v7, s15, v2 bitop3:0x40
	s_delay_alu instid0(VALU_DEP_1)
	v_bcnt_u32_b32 v7, v7, 0
	ds_store_b32 v4, v8
	s_wait_dscnt 0x0
	s_barrier_signal -1
	s_barrier_wait -1
	s_and_saveexec_b32 s41, s0
	s_cbranch_execz .LBB71_60
; %bb.44:                               ;   in Loop: Header=BB71_43 Depth=1
	v_mov_b32_e32 v8, s17
	ds_load_b32 v8, v8
	s_wait_dscnt 0x0
	v_add_nc_u32_e32 v7, v8, v7
	s_or_b32 exec_lo, exec_lo, s41
	s_and_saveexec_b32 s41, s1
	s_cbranch_execnz .LBB71_61
.LBB71_45:                              ;   in Loop: Header=BB71_43 Depth=1
	s_or_b32 exec_lo, exec_lo, s41
	s_and_saveexec_b32 s41, s2
	s_cbranch_execz .LBB71_62
.LBB71_46:                              ;   in Loop: Header=BB71_43 Depth=1
	v_mov_b32_e32 v8, s21
	ds_load_b32 v8, v8
	s_wait_dscnt 0x0
	v_add_nc_u32_e32 v7, v8, v7
	s_or_b32 exec_lo, exec_lo, s41
	s_and_saveexec_b32 s41, s3
	s_cbranch_execnz .LBB71_63
.LBB71_47:                              ;   in Loop: Header=BB71_43 Depth=1
	s_or_b32 exec_lo, exec_lo, s41
	s_and_saveexec_b32 s41, s4
	s_cbranch_execz .LBB71_64
.LBB71_48:                              ;   in Loop: Header=BB71_43 Depth=1
	v_mov_b32_e32 v8, s23
	ds_load_b32 v8, v8
	s_wait_dscnt 0x0
	v_add_nc_u32_e32 v7, v8, v7
	s_or_b32 exec_lo, exec_lo, s41
	s_and_saveexec_b32 s41, s5
	s_cbranch_execnz .LBB71_65
.LBB71_49:                              ;   in Loop: Header=BB71_43 Depth=1
	s_or_b32 exec_lo, exec_lo, s41
	s_and_saveexec_b32 s41, s6
	s_cbranch_execz .LBB71_66
.LBB71_50:                              ;   in Loop: Header=BB71_43 Depth=1
	v_mov_b32_e32 v8, s29
	ds_load_b32 v8, v8
	s_wait_dscnt 0x0
	v_add_nc_u32_e32 v7, v8, v7
	s_or_b32 exec_lo, exec_lo, s41
	s_and_saveexec_b32 s41, s7
	s_cbranch_execnz .LBB71_67
.LBB71_51:                              ;   in Loop: Header=BB71_43 Depth=1
	s_or_b32 exec_lo, exec_lo, s41
	s_and_saveexec_b32 s41, s8
	s_cbranch_execz .LBB71_68
.LBB71_52:                              ;   in Loop: Header=BB71_43 Depth=1
	v_mov_b32_e32 v8, s31
	ds_load_b32 v8, v8
	s_wait_dscnt 0x0
	v_add_nc_u32_e32 v7, v8, v7
	s_or_b32 exec_lo, exec_lo, s41
	s_and_saveexec_b32 s41, s9
	s_cbranch_execnz .LBB71_69
.LBB71_53:                              ;   in Loop: Header=BB71_43 Depth=1
	s_or_b32 exec_lo, exec_lo, s41
	s_and_saveexec_b32 s41, s10
	s_cbranch_execz .LBB71_70
.LBB71_54:                              ;   in Loop: Header=BB71_43 Depth=1
	v_mov_b32_e32 v8, s35
	ds_load_b32 v8, v8
	s_wait_dscnt 0x0
	v_add_nc_u32_e32 v7, v8, v7
	s_or_b32 exec_lo, exec_lo, s41
	s_and_saveexec_b32 s41, s11
	s_cbranch_execnz .LBB71_71
.LBB71_55:                              ;   in Loop: Header=BB71_43 Depth=1
	s_or_b32 exec_lo, exec_lo, s41
	s_and_saveexec_b32 s41, s12
	s_cbranch_execz .LBB71_72
.LBB71_56:                              ;   in Loop: Header=BB71_43 Depth=1
	v_mov_b32_e32 v8, s38
	ds_load_b32 v8, v8
	s_wait_dscnt 0x0
	v_add_nc_u32_e32 v7, v8, v7
	s_or_b32 exec_lo, exec_lo, s41
	s_and_saveexec_b32 s41, s13
	s_cbranch_execnz .LBB71_73
.LBB71_57:                              ;   in Loop: Header=BB71_43 Depth=1
	s_or_b32 exec_lo, exec_lo, s41
	s_and_saveexec_b32 s41, s14
	s_cbranch_execz .LBB71_74
.LBB71_58:                              ;   in Loop: Header=BB71_43 Depth=1
	v_mov_b32_e32 v8, s40
	ds_load_b32 v8, v8
	s_wait_dscnt 0x0
	v_add_nc_u32_e32 v7, v8, v7
	s_or_b32 exec_lo, exec_lo, s41
	s_and_saveexec_b32 s41, s15
	s_cbranch_execnz .LBB71_75
.LBB71_59:                              ;   in Loop: Header=BB71_43 Depth=1
	s_or_b32 exec_lo, exec_lo, s41
	s_and_saveexec_b32 s15, vcc_lo
	s_cbranch_execz .LBB71_42
	s_branch .LBB71_76
.LBB71_60:                              ;   in Loop: Header=BB71_43 Depth=1
	s_or_b32 exec_lo, exec_lo, s41
	s_and_saveexec_b32 s41, s1
	s_cbranch_execz .LBB71_45
.LBB71_61:                              ;   in Loop: Header=BB71_43 Depth=1
	v_mov_b32_e32 v8, s19
	ds_load_b32 v8, v8
	s_wait_dscnt 0x0
	v_add_nc_u32_e32 v7, v8, v7
	s_or_b32 exec_lo, exec_lo, s41
	s_and_saveexec_b32 s41, s2
	s_cbranch_execnz .LBB71_46
.LBB71_62:                              ;   in Loop: Header=BB71_43 Depth=1
	s_or_b32 exec_lo, exec_lo, s41
	s_and_saveexec_b32 s41, s3
	s_cbranch_execz .LBB71_47
.LBB71_63:                              ;   in Loop: Header=BB71_43 Depth=1
	v_mov_b32_e32 v8, s22
	ds_load_b32 v8, v8
	s_wait_dscnt 0x0
	v_add_nc_u32_e32 v7, v8, v7
	s_or_b32 exec_lo, exec_lo, s41
	s_and_saveexec_b32 s41, s4
	s_cbranch_execnz .LBB71_48
.LBB71_64:                              ;   in Loop: Header=BB71_43 Depth=1
	s_or_b32 exec_lo, exec_lo, s41
	s_and_saveexec_b32 s41, s5
	s_cbranch_execz .LBB71_49
.LBB71_65:                              ;   in Loop: Header=BB71_43 Depth=1
	v_mov_b32_e32 v8, s28
	ds_load_b32 v8, v8
	s_wait_dscnt 0x0
	v_add_nc_u32_e32 v7, v8, v7
	s_or_b32 exec_lo, exec_lo, s41
	s_and_saveexec_b32 s41, s6
	s_cbranch_execnz .LBB71_50
.LBB71_66:                              ;   in Loop: Header=BB71_43 Depth=1
	s_or_b32 exec_lo, exec_lo, s41
	s_and_saveexec_b32 s41, s7
	s_cbranch_execz .LBB71_51
.LBB71_67:                              ;   in Loop: Header=BB71_43 Depth=1
	v_mov_b32_e32 v8, s30
	ds_load_b32 v8, v8
	s_wait_dscnt 0x0
	v_add_nc_u32_e32 v7, v8, v7
	s_or_b32 exec_lo, exec_lo, s41
	s_and_saveexec_b32 s41, s8
	s_cbranch_execnz .LBB71_52
.LBB71_68:                              ;   in Loop: Header=BB71_43 Depth=1
	s_or_b32 exec_lo, exec_lo, s41
	s_and_saveexec_b32 s41, s9
	s_cbranch_execz .LBB71_53
.LBB71_69:                              ;   in Loop: Header=BB71_43 Depth=1
	v_mov_b32_e32 v8, s34
	ds_load_b32 v8, v8
	s_wait_dscnt 0x0
	v_add_nc_u32_e32 v7, v8, v7
	s_or_b32 exec_lo, exec_lo, s41
	s_and_saveexec_b32 s41, s10
	s_cbranch_execnz .LBB71_54
.LBB71_70:                              ;   in Loop: Header=BB71_43 Depth=1
	s_or_b32 exec_lo, exec_lo, s41
	s_and_saveexec_b32 s41, s11
	s_cbranch_execz .LBB71_55
.LBB71_71:                              ;   in Loop: Header=BB71_43 Depth=1
	v_mov_b32_e32 v8, s37
	ds_load_b32 v8, v8
	s_wait_dscnt 0x0
	v_add_nc_u32_e32 v7, v8, v7
	s_or_b32 exec_lo, exec_lo, s41
	s_and_saveexec_b32 s41, s12
	s_cbranch_execnz .LBB71_56
.LBB71_72:                              ;   in Loop: Header=BB71_43 Depth=1
	s_or_b32 exec_lo, exec_lo, s41
	s_and_saveexec_b32 s41, s13
	s_cbranch_execz .LBB71_57
.LBB71_73:                              ;   in Loop: Header=BB71_43 Depth=1
	v_mov_b32_e32 v8, s39
	ds_load_b32 v8, v8
	s_wait_dscnt 0x0
	v_add_nc_u32_e32 v7, v8, v7
	s_or_b32 exec_lo, exec_lo, s41
	s_and_saveexec_b32 s41, s14
	s_cbranch_execnz .LBB71_58
.LBB71_74:                              ;   in Loop: Header=BB71_43 Depth=1
	s_or_b32 exec_lo, exec_lo, s41
	s_and_saveexec_b32 s41, s15
	s_cbranch_execz .LBB71_59
.LBB71_75:                              ;   in Loop: Header=BB71_43 Depth=1
	scratch_load_b128 v[8:11], off, off
	v_add3_u32 v12, v3, -1, v7
	v_add_lshl_u32 v13, v3, v7, 4
	s_delay_alu instid0(VALU_DEP_2) | instskip(NEXT) | instid1(VALU_DEP_2)
	v_lshl_add_u32 v12, v12, 2, 0
	v_add3_u32 v13, 0, v13, 0x3ff0
	ds_store_b32 v12, v6
	s_wait_loadcnt 0x0
	ds_store_2addr_b64 v13, v[8:9], v[10:11] offset1:1
	s_or_b32 exec_lo, exec_lo, s41
	s_and_saveexec_b32 s15, vcc_lo
	s_cbranch_execz .LBB71_42
.LBB71_76:                              ;   in Loop: Header=BB71_43 Depth=1
	v_mov_b32_e32 v6, s36
	ds_store_b32 v6, v7
	s_branch .LBB71_42
.LBB71_77:
	s_or_b32 exec_lo, exec_lo, s16
	s_wait_kmcnt 0x0
	s_ashr_i32 s21, s20, 31
	s_delay_alu instid0(SALU_CYCLE_1) | instskip(NEXT) | instid1(SALU_CYCLE_1)
	s_lshl_b64 s[0:1], s[20:21], 2
	s_add_nc_u64 s[2:3], s[26:27], s[0:1]
	s_load_b64 s[0:1], s[2:3], 0x0
	s_wait_kmcnt 0x0
	s_sub_co_i32 s4, s1, s0
	s_mov_b32 s1, exec_lo
	v_cmpx_gt_i32_e64 s4, v0
	s_cbranch_execz .LBB71_91
; %bb.78:
	v_sub_co_u32 v1, s1, s4, 2
	s_sub_co_i32 s2, s0, s18
	s_xor_b32 s6, s1, -1
	s_and_b32 s5, s4, -2
	v_readfirstlane_b32 s3, v1
	s_lshr_b32 s0, s3, 1
	s_mov_b32 s3, 0
	s_add_co_i32 s0, s0, 1
	s_mov_b32 s11, s3
	s_and_b32 s1, s0, 7
	s_and_b32 s7, s0, -8
	s_cmp_lg_u32 s1, 0
	v_cmp_lt_u32_e64 s0, 13, v1
	s_cselect_b32 s8, -1, 0
	s_cmp_lg_u32 s4, s5
	s_cselect_b32 s9, -1, 0
	s_lshl_b32 s10, s1, 3
	s_branch .LBB71_80
.LBB71_79:                              ;   in Loop: Header=BB71_80 Depth=1
	v_mul_lo_u32 v3, v0, 12
	v_add_nc_u32_e32 v0, 0x400, v0
	s_delay_alu instid0(VALU_DEP_1) | instskip(SKIP_1) | instid1(VALU_DEP_3)
	v_cmp_le_i32_e32 vcc_lo, s4, v0
	s_or_b32 s11, vcc_lo, s11
	v_add3_u32 v1, v1, v3, 0x4000
	s_wait_dscnt 0x0
	ds_load_2addr_b64 v[4:7], v1 offset1:1
	s_wait_dscnt 0x0
	global_store_b128 v2, v[4:7], s[24:25] scale_offset
	s_wait_xcnt 0x0
	s_and_not1_b32 exec_lo, exec_lo, s11
	s_cbranch_execz .LBB71_91
.LBB71_80:                              ; =>This Loop Header: Depth=1
                                        ;     Child Loop BB71_83 Depth 2
                                        ;     Child Loop BB71_86 Depth 2
                                        ;     Child Loop BB71_90 Depth 2
	v_lshl_add_u32 v1, v0, 2, 0
	v_mov_b32_e32 v2, s2
	s_and_not1_b32 vcc_lo, exec_lo, s6
	s_mov_b32 s1, 0
	s_mov_b32 s12, -1
	ds_load_b32 v4, v1
	s_cbranch_vccnz .LBB71_88
; %bb.81:                               ;   in Loop: Header=BB71_80 Depth=1
	v_mov_b64_e32 v[2:3], s[2:3]
	s_and_not1_b32 vcc_lo, exec_lo, s0
	s_mov_b32 s12, 0
	s_cbranch_vccnz .LBB71_84
; %bb.82:                               ;   in Loop: Header=BB71_80 Depth=1
	v_dual_mov_b32 v2, s2 :: v_dual_mov_b32 v3, 0
	s_mov_b32 s13, 0
	s_mov_b32 s14, s7
.LBB71_83:                              ;   Parent Loop BB71_80 Depth=1
                                        ; =>  This Inner Loop Header: Depth=2
	v_mov_b32_e32 v5, s13
	s_add_co_i32 s14, s14, -8
	s_add_co_i32 s12, s12, 16
	s_add_co_i32 s13, s13, 64
	s_cmp_lg_u32 s14, 0
	ds_load_2addr_b32 v[6:7], v5 offset1:1
	ds_load_2addr_b32 v[8:9], v5 offset0:2 offset1:3
	ds_load_2addr_b32 v[10:11], v5 offset0:4 offset1:5
	;; [unrolled: 1-line block ×7, first 2 shown]
	s_wait_dscnt 0x7
	v_cmp_gt_i32_e32 vcc_lo, v4, v7
	s_wait_dscnt 0x5
	v_cmp_gt_i32_e64 s1, v4, v10
	v_cndmask_b32_e64 v5, 0, 1, vcc_lo
	v_cmp_gt_i32_e32 vcc_lo, v4, v6
	s_delay_alu instid0(VALU_DEP_3) | instskip(SKIP_3) | instid1(VALU_DEP_3)
	v_cndmask_b32_e64 v7, 0, 1, s1
	v_cmp_gt_i32_e64 s1, v4, v11
	v_cndmask_b32_e64 v6, 0, 1, vcc_lo
	v_cmp_gt_i32_e32 vcc_lo, v4, v8
	v_cndmask_b32_e64 v8, 0, 1, s1
	s_wait_dscnt 0x4
	v_cmp_gt_i32_e64 s1, v4, v13
	v_add_co_ci_u32_e64 v2, null, v2, v6, vcc_lo
	s_delay_alu instid0(VALU_DEP_2) | instskip(SKIP_3) | instid1(VALU_DEP_2)
	v_cndmask_b32_e64 v10, 0, 1, s1
	v_cmp_gt_i32_e64 s1, v4, v12
	s_wait_dscnt 0x2
	v_cmp_gt_i32_e32 vcc_lo, v4, v16
	v_cndmask_b32_e64 v11, 0, 1, s1
	v_cmp_gt_i32_e64 s1, v4, v14
	v_add_co_ci_u32_e64 v2, null, v2, v7, vcc_lo
	s_wait_dscnt 0x1
	v_cmp_gt_i32_e32 vcc_lo, v4, v18
	s_delay_alu instid0(VALU_DEP_3) | instskip(SKIP_4) | instid1(VALU_DEP_3)
	v_cndmask_b32_e64 v12, 0, 1, s1
	v_cmp_gt_i32_e64 s1, v4, v15
	v_add_co_ci_u32_e64 v2, null, v2, v11, vcc_lo
	s_wait_dscnt 0x0
	v_cmp_gt_i32_e32 vcc_lo, v4, v20
	v_cndmask_b32_e64 v13, 0, 1, s1
	v_cmp_gt_i32_e64 s1, v4, v9
	v_add_co_ci_u32_e64 v2, null, v2, v12, vcc_lo
	s_delay_alu instid0(VALU_DEP_2) | instskip(SKIP_1) | instid1(VALU_DEP_1)
	v_add_co_ci_u32_e64 v3, null, v3, v5, s1
	v_cmp_gt_i32_e64 s1, v4, v17
	v_add_co_ci_u32_e64 v3, null, v3, v8, s1
	v_cmp_gt_i32_e64 s1, v4, v19
	s_delay_alu instid0(VALU_DEP_1) | instskip(SKIP_1) | instid1(VALU_DEP_1)
	v_add_co_ci_u32_e64 v3, null, v3, v10, s1
	v_cmp_gt_i32_e64 s1, v4, v21
	v_add_co_ci_u32_e64 v3, null, v3, v13, s1
	s_cbranch_scc1 .LBB71_83
.LBB71_84:                              ;   in Loop: Header=BB71_80 Depth=1
	s_and_not1_b32 vcc_lo, exec_lo, s8
	s_cbranch_vccnz .LBB71_87
; %bb.85:                               ;   in Loop: Header=BB71_80 Depth=1
	s_lshl_b32 s1, s12, 2
	s_mov_b32 s12, s10
	s_add_co_i32 s1, s1, 0
.LBB71_86:                              ;   Parent Loop BB71_80 Depth=1
                                        ; =>  This Inner Loop Header: Depth=2
	s_delay_alu instid0(SALU_CYCLE_1)
	v_mov_b32_e32 v5, s1
	s_add_co_i32 s12, s12, -8
	s_add_co_i32 s1, s1, 8
	s_cmp_lg_u32 s12, 0
	ds_load_2addr_b32 v[6:7], v5 offset1:1
	s_wait_dscnt 0x0
	v_cmp_gt_i32_e32 vcc_lo, v4, v7
	v_add_co_ci_u32_e64 v3, null, 0, v3, vcc_lo
	v_cmp_gt_i32_e32 vcc_lo, v4, v6
	v_add_co_ci_u32_e64 v2, null, 0, v2, vcc_lo
	s_cbranch_scc1 .LBB71_86
.LBB71_87:                              ;   in Loop: Header=BB71_80 Depth=1
	s_delay_alu instid0(VALU_DEP_1)
	v_add_nc_u32_e32 v2, v2, v3
	s_mov_b32 s1, s5
	s_mov_b32 s12, s9
.LBB71_88:                              ;   in Loop: Header=BB71_80 Depth=1
	s_delay_alu instid0(SALU_CYCLE_1)
	s_and_b32 vcc_lo, exec_lo, s12
	s_cbranch_vccz .LBB71_79
; %bb.89:                               ;   in Loop: Header=BB71_80 Depth=1
	s_lshl_b32 s12, s1, 2
	s_delay_alu instid0(SALU_CYCLE_1)
	s_add_co_i32 s12, s12, 0
.LBB71_90:                              ;   Parent Loop BB71_80 Depth=1
                                        ; =>  This Inner Loop Header: Depth=2
	s_delay_alu instid0(SALU_CYCLE_1)
	v_mov_b32_e32 v3, s12
	s_add_co_i32 s1, s1, 1
	s_add_co_i32 s12, s12, 4
	s_cmp_ge_i32 s1, s4
	ds_load_b32 v3, v3
	s_wait_dscnt 0x0
	v_cmp_gt_i32_e32 vcc_lo, v4, v3
	v_add_co_ci_u32_e64 v2, null, 0, v2, vcc_lo
	s_cbranch_scc0 .LBB71_90
	s_branch .LBB71_79
.LBB71_91:
	s_endpgm
	.section	.rodata,"a",@progbits
	.p2align	6, 0x0
	.amdhsa_kernel _ZN9rocsparseL41csrgemm_numeric_fill_block_per_row_kernelILj1024ELj64ELj4096ELj137ELj64Eii21rocsparse_complex_numIdEEEvT5_PKS3_S5_NS_24const_host_device_scalarIT6_EEPKT4_S5_PKS7_SB_S5_SD_S8_SB_S5_SD_SB_S5_PS7_21rocsparse_index_base_SF_SF_SF_bbb
		.amdhsa_group_segment_fixed_size 0
		.amdhsa_private_segment_fixed_size 40
		.amdhsa_kernarg_size 172
		.amdhsa_user_sgpr_count 2
		.amdhsa_user_sgpr_dispatch_ptr 0
		.amdhsa_user_sgpr_queue_ptr 0
		.amdhsa_user_sgpr_kernarg_segment_ptr 1
		.amdhsa_user_sgpr_dispatch_id 0
		.amdhsa_user_sgpr_kernarg_preload_length 0
		.amdhsa_user_sgpr_kernarg_preload_offset 0
		.amdhsa_user_sgpr_private_segment_size 0
		.amdhsa_wavefront_size32 1
		.amdhsa_uses_dynamic_stack 0
		.amdhsa_enable_private_segment 1
		.amdhsa_system_sgpr_workgroup_id_x 1
		.amdhsa_system_sgpr_workgroup_id_y 0
		.amdhsa_system_sgpr_workgroup_id_z 0
		.amdhsa_system_sgpr_workgroup_info 0
		.amdhsa_system_vgpr_workitem_id 0
		.amdhsa_next_free_vgpr 30
		.amdhsa_next_free_sgpr 42
		.amdhsa_named_barrier_count 0
		.amdhsa_reserve_vcc 1
		.amdhsa_float_round_mode_32 0
		.amdhsa_float_round_mode_16_64 0
		.amdhsa_float_denorm_mode_32 3
		.amdhsa_float_denorm_mode_16_64 3
		.amdhsa_fp16_overflow 0
		.amdhsa_memory_ordered 1
		.amdhsa_forward_progress 1
		.amdhsa_inst_pref_size 31
		.amdhsa_round_robin_scheduling 0
		.amdhsa_exception_fp_ieee_invalid_op 0
		.amdhsa_exception_fp_denorm_src 0
		.amdhsa_exception_fp_ieee_div_zero 0
		.amdhsa_exception_fp_ieee_overflow 0
		.amdhsa_exception_fp_ieee_underflow 0
		.amdhsa_exception_fp_ieee_inexact 0
		.amdhsa_exception_int_div_zero 0
	.end_amdhsa_kernel
	.section	.text._ZN9rocsparseL41csrgemm_numeric_fill_block_per_row_kernelILj1024ELj64ELj4096ELj137ELj64Eii21rocsparse_complex_numIdEEEvT5_PKS3_S5_NS_24const_host_device_scalarIT6_EEPKT4_S5_PKS7_SB_S5_SD_S8_SB_S5_SD_SB_S5_PS7_21rocsparse_index_base_SF_SF_SF_bbb,"axG",@progbits,_ZN9rocsparseL41csrgemm_numeric_fill_block_per_row_kernelILj1024ELj64ELj4096ELj137ELj64Eii21rocsparse_complex_numIdEEEvT5_PKS3_S5_NS_24const_host_device_scalarIT6_EEPKT4_S5_PKS7_SB_S5_SD_S8_SB_S5_SD_SB_S5_PS7_21rocsparse_index_base_SF_SF_SF_bbb,comdat
.Lfunc_end71:
	.size	_ZN9rocsparseL41csrgemm_numeric_fill_block_per_row_kernelILj1024ELj64ELj4096ELj137ELj64Eii21rocsparse_complex_numIdEEEvT5_PKS3_S5_NS_24const_host_device_scalarIT6_EEPKT4_S5_PKS7_SB_S5_SD_S8_SB_S5_SD_SB_S5_PS7_21rocsparse_index_base_SF_SF_SF_bbb, .Lfunc_end71-_ZN9rocsparseL41csrgemm_numeric_fill_block_per_row_kernelILj1024ELj64ELj4096ELj137ELj64Eii21rocsparse_complex_numIdEEEvT5_PKS3_S5_NS_24const_host_device_scalarIT6_EEPKT4_S5_PKS7_SB_S5_SD_S8_SB_S5_SD_SB_S5_PS7_21rocsparse_index_base_SF_SF_SF_bbb
                                        ; -- End function
	.set _ZN9rocsparseL41csrgemm_numeric_fill_block_per_row_kernelILj1024ELj64ELj4096ELj137ELj64Eii21rocsparse_complex_numIdEEEvT5_PKS3_S5_NS_24const_host_device_scalarIT6_EEPKT4_S5_PKS7_SB_S5_SD_S8_SB_S5_SD_SB_S5_PS7_21rocsparse_index_base_SF_SF_SF_bbb.num_vgpr, 30
	.set _ZN9rocsparseL41csrgemm_numeric_fill_block_per_row_kernelILj1024ELj64ELj4096ELj137ELj64Eii21rocsparse_complex_numIdEEEvT5_PKS3_S5_NS_24const_host_device_scalarIT6_EEPKT4_S5_PKS7_SB_S5_SD_S8_SB_S5_SD_SB_S5_PS7_21rocsparse_index_base_SF_SF_SF_bbb.num_agpr, 0
	.set _ZN9rocsparseL41csrgemm_numeric_fill_block_per_row_kernelILj1024ELj64ELj4096ELj137ELj64Eii21rocsparse_complex_numIdEEEvT5_PKS3_S5_NS_24const_host_device_scalarIT6_EEPKT4_S5_PKS7_SB_S5_SD_S8_SB_S5_SD_SB_S5_PS7_21rocsparse_index_base_SF_SF_SF_bbb.numbered_sgpr, 42
	.set _ZN9rocsparseL41csrgemm_numeric_fill_block_per_row_kernelILj1024ELj64ELj4096ELj137ELj64Eii21rocsparse_complex_numIdEEEvT5_PKS3_S5_NS_24const_host_device_scalarIT6_EEPKT4_S5_PKS7_SB_S5_SD_S8_SB_S5_SD_SB_S5_PS7_21rocsparse_index_base_SF_SF_SF_bbb.num_named_barrier, 0
	.set _ZN9rocsparseL41csrgemm_numeric_fill_block_per_row_kernelILj1024ELj64ELj4096ELj137ELj64Eii21rocsparse_complex_numIdEEEvT5_PKS3_S5_NS_24const_host_device_scalarIT6_EEPKT4_S5_PKS7_SB_S5_SD_S8_SB_S5_SD_SB_S5_PS7_21rocsparse_index_base_SF_SF_SF_bbb.private_seg_size, 40
	.set _ZN9rocsparseL41csrgemm_numeric_fill_block_per_row_kernelILj1024ELj64ELj4096ELj137ELj64Eii21rocsparse_complex_numIdEEEvT5_PKS3_S5_NS_24const_host_device_scalarIT6_EEPKT4_S5_PKS7_SB_S5_SD_S8_SB_S5_SD_SB_S5_PS7_21rocsparse_index_base_SF_SF_SF_bbb.uses_vcc, 1
	.set _ZN9rocsparseL41csrgemm_numeric_fill_block_per_row_kernelILj1024ELj64ELj4096ELj137ELj64Eii21rocsparse_complex_numIdEEEvT5_PKS3_S5_NS_24const_host_device_scalarIT6_EEPKT4_S5_PKS7_SB_S5_SD_S8_SB_S5_SD_SB_S5_PS7_21rocsparse_index_base_SF_SF_SF_bbb.uses_flat_scratch, 1
	.set _ZN9rocsparseL41csrgemm_numeric_fill_block_per_row_kernelILj1024ELj64ELj4096ELj137ELj64Eii21rocsparse_complex_numIdEEEvT5_PKS3_S5_NS_24const_host_device_scalarIT6_EEPKT4_S5_PKS7_SB_S5_SD_S8_SB_S5_SD_SB_S5_PS7_21rocsparse_index_base_SF_SF_SF_bbb.has_dyn_sized_stack, 0
	.set _ZN9rocsparseL41csrgemm_numeric_fill_block_per_row_kernelILj1024ELj64ELj4096ELj137ELj64Eii21rocsparse_complex_numIdEEEvT5_PKS3_S5_NS_24const_host_device_scalarIT6_EEPKT4_S5_PKS7_SB_S5_SD_S8_SB_S5_SD_SB_S5_PS7_21rocsparse_index_base_SF_SF_SF_bbb.has_recursion, 0
	.set _ZN9rocsparseL41csrgemm_numeric_fill_block_per_row_kernelILj1024ELj64ELj4096ELj137ELj64Eii21rocsparse_complex_numIdEEEvT5_PKS3_S5_NS_24const_host_device_scalarIT6_EEPKT4_S5_PKS7_SB_S5_SD_S8_SB_S5_SD_SB_S5_PS7_21rocsparse_index_base_SF_SF_SF_bbb.has_indirect_call, 0
	.section	.AMDGPU.csdata,"",@progbits
; Kernel info:
; codeLenInByte = 3964
; TotalNumSgprs: 44
; NumVgprs: 30
; ScratchSize: 40
; MemoryBound: 0
; FloatMode: 240
; IeeeMode: 1
; LDSByteSize: 0 bytes/workgroup (compile time only)
; SGPRBlocks: 0
; VGPRBlocks: 1
; NumSGPRsForWavesPerEU: 44
; NumVGPRsForWavesPerEU: 30
; NamedBarCnt: 0
; Occupancy: 16
; WaveLimiterHint : 1
; COMPUTE_PGM_RSRC2:SCRATCH_EN: 1
; COMPUTE_PGM_RSRC2:USER_SGPR: 2
; COMPUTE_PGM_RSRC2:TRAP_HANDLER: 0
; COMPUTE_PGM_RSRC2:TGID_X_EN: 1
; COMPUTE_PGM_RSRC2:TGID_Y_EN: 0
; COMPUTE_PGM_RSRC2:TGID_Z_EN: 0
; COMPUTE_PGM_RSRC2:TIDIG_COMP_CNT: 0
	.section	.text._ZN9rocsparseL41csrgemm_numeric_fill_block_per_row_kernelILj1024ELj64ELj8192ELj137ELj32Eii21rocsparse_complex_numIdEEEvT5_PKS3_S5_NS_24const_host_device_scalarIT6_EEPKT4_S5_PKS7_SB_S5_SD_S8_SB_S5_SD_SB_S5_PS7_21rocsparse_index_base_SF_SF_SF_bbb,"axG",@progbits,_ZN9rocsparseL41csrgemm_numeric_fill_block_per_row_kernelILj1024ELj64ELj8192ELj137ELj32Eii21rocsparse_complex_numIdEEEvT5_PKS3_S5_NS_24const_host_device_scalarIT6_EEPKT4_S5_PKS7_SB_S5_SD_S8_SB_S5_SD_SB_S5_PS7_21rocsparse_index_base_SF_SF_SF_bbb,comdat
	.globl	_ZN9rocsparseL41csrgemm_numeric_fill_block_per_row_kernelILj1024ELj64ELj8192ELj137ELj32Eii21rocsparse_complex_numIdEEEvT5_PKS3_S5_NS_24const_host_device_scalarIT6_EEPKT4_S5_PKS7_SB_S5_SD_S8_SB_S5_SD_SB_S5_PS7_21rocsparse_index_base_SF_SF_SF_bbb ; -- Begin function _ZN9rocsparseL41csrgemm_numeric_fill_block_per_row_kernelILj1024ELj64ELj8192ELj137ELj32Eii21rocsparse_complex_numIdEEEvT5_PKS3_S5_NS_24const_host_device_scalarIT6_EEPKT4_S5_PKS7_SB_S5_SD_S8_SB_S5_SD_SB_S5_PS7_21rocsparse_index_base_SF_SF_SF_bbb
	.p2align	8
	.type	_ZN9rocsparseL41csrgemm_numeric_fill_block_per_row_kernelILj1024ELj64ELj8192ELj137ELj32Eii21rocsparse_complex_numIdEEEvT5_PKS3_S5_NS_24const_host_device_scalarIT6_EEPKT4_S5_PKS7_SB_S5_SD_S8_SB_S5_SD_SB_S5_PS7_21rocsparse_index_base_SF_SF_SF_bbb,@function
_ZN9rocsparseL41csrgemm_numeric_fill_block_per_row_kernelILj1024ELj64ELj8192ELj137ELj32Eii21rocsparse_complex_numIdEEEvT5_PKS3_S5_NS_24const_host_device_scalarIT6_EEPKT4_S5_PKS7_SB_S5_SD_S8_SB_S5_SD_SB_S5_PS7_21rocsparse_index_base_SF_SF_SF_bbb: ; @_ZN9rocsparseL41csrgemm_numeric_fill_block_per_row_kernelILj1024ELj64ELj8192ELj137ELj32Eii21rocsparse_complex_numIdEEEvT5_PKS3_S5_NS_24const_host_device_scalarIT6_EEPKT4_S5_PKS7_SB_S5_SD_S8_SB_S5_SD_SB_S5_PS7_21rocsparse_index_base_SF_SF_SF_bbb
; %bb.0:
	s_clause 0x3
	s_load_b32 s17, s[0:1], 0xa8
	s_load_b256 s[4:11], s[0:1], 0x8
	s_load_b128 s[12:15], s[0:1], 0x58
	s_load_b128 s[36:39], s[0:1], 0x98
	v_mov_b64_e32 v[6:7], 0
	v_mov_b64_e32 v[10:11], 0
	;; [unrolled: 1-line block ×3, first 2 shown]
	v_mbcnt_lo_u32_b32 v20, -1, 0
	s_wait_kmcnt 0x0
	s_bitcmp1_b32 s17, 0
	v_mov_b64_e32 v[2:3], s[8:9]
	s_cselect_b32 s3, -1, 0
	s_bitcmp1_b32 s17, 16
	v_mov_b64_e32 v[4:5], s[12:13]
	s_cselect_b32 s2, -1, 0
	s_clause 0x1
	scratch_store_b64 off, v[2:3], off offset:16
	scratch_store_b64 off, v[4:5], off offset:24
	s_xor_b32 s18, s2, -1
	s_bitcmp0_b32 s17, 0
	v_cndmask_b32_e64 v1, 0, 1, s18
	s_delay_alu instid0(VALU_DEP_1)
	v_cmp_ne_u32_e32 vcc_lo, 1, v1
	s_cbranch_scc1 .LBB72_3
; %bb.1:
	s_wait_xcnt 0x1
	v_dual_mov_b32 v2, 16 :: v_dual_lshlrev_b32 v3, 20, v20
	v_mov_b64_e32 v[12:13], s[10:11]
	s_and_b32 vcc_lo, exec_lo, vcc_lo
	s_delay_alu instid0(VALU_DEP_2) | instskip(NEXT) | instid1(VALU_DEP_1)
	v_add_nc_u64_e32 v[2:3], src_flat_scratch_base_lo, v[2:3]
	v_cndmask_b32_e64 v3, s9, v3, s2
	s_delay_alu instid0(VALU_DEP_2)
	v_cndmask_b32_e64 v2, s8, v2, s2
	flat_load_b64 v[10:11], v[2:3]
	s_cbranch_vccnz .LBB72_3
; %bb.2:
	v_mov_b32_e32 v1, 0
	flat_load_b64 v[12:13], v1, s[8:9] offset:8
.LBB72_3:
	v_mov_b64_e32 v[8:9], 0
	s_bitcmp1_b32 s17, 8
	s_cselect_b32 s16, -1, 0
	s_wait_xcnt 0x0
	s_bfe_u32 s8, s17, 0x10008
	s_delay_alu instid0(SALU_CYCLE_1)
	s_cmp_eq_u32 s8, 0
	s_cbranch_scc1 .LBB72_6
; %bb.4:
	v_dual_mov_b32 v2, 24 :: v_dual_lshlrev_b32 v3, 20, v20
	v_mov_b64_e32 v[6:7], s[14:15]
	s_and_not1_b32 vcc_lo, exec_lo, s18
	s_delay_alu instid0(VALU_DEP_2) | instskip(NEXT) | instid1(VALU_DEP_1)
	v_add_nc_u64_e32 v[2:3], src_flat_scratch_base_lo, v[2:3]
	v_cndmask_b32_e64 v3, s13, v3, s2
	s_delay_alu instid0(VALU_DEP_2)
	v_cndmask_b32_e64 v2, s12, v2, s2
	flat_load_b64 v[8:9], v[2:3]
	s_cbranch_vccnz .LBB72_6
; %bb.5:
	v_mov_b32_e32 v1, 0
	flat_load_b64 v[6:7], v1, s[12:13] offset:8
.LBB72_6:
	s_load_b32 s33, s[0:1], 0x0
	v_lshl_add_u32 v1, v0, 2, 0
	v_lshlrev_b32_e32 v21, 4, v0
	s_mov_b32 s8, 0
	s_delay_alu instid0(SALU_CYCLE_1) | instskip(NEXT) | instid1(VALU_DEP_2)
	s_mov_b32 s9, s8
	v_mad_u32_u24 v14, v0, 12, v1
	s_mov_b32 s10, s8
	s_mov_b32 s11, s8
	v_mov_b64_e32 v[2:3], s[8:9]
	v_mov_b64_e32 v[4:5], s[10:11]
	v_mad_i32_i24 v15, v0, -12, v14
	v_add_nc_u32_e32 v14, 0x8000, v14
	s_getreg_b32 s8, hwreg(HW_REG_IB_STS2, 6, 4)
	s_delay_alu instid0(VALU_DEP_2) | instskip(SKIP_3) | instid1(VALU_DEP_3)
	v_mad_u32_u24 v17, v0, 12, v15
	s_wait_kmcnt 0x0
	v_mov_b32_e32 v22, s33
	v_add3_u32 v16, 0x8000, 0, v21
	v_dual_mov_b32 v23, s33 :: v_dual_add_nc_u32 v24, 0xc000, v17
	v_mad_i32_i24 v17, v0, -12, v17
	s_delay_alu instid0(VALU_DEP_3)
	v_dual_mov_b32 v25, s33 :: v_dual_add_nc_u32 v18, 0x8000, v16
	v_dual_mov_b32 v26, s33 :: v_dual_add_nc_u32 v19, 0xc000, v16
	ds_store_b32 v1, v22
	ds_store_2addr_b64 v14, v[2:3], v[4:5] offset1:1
	ds_store_b32 v15, v23 offset:4096
	ds_store_2addr_b64 v24, v[2:3], v[4:5] offset1:1
	v_dual_mov_b32 v14, s33 :: v_dual_mov_b32 v15, s33
	ds_store_2addr_stride64_b32 v17, v25, v26 offset0:32 offset1:48
	ds_store_2addr_b64 v18, v[2:3], v[4:5] offset1:1
	ds_store_2addr_b64 v19, v[2:3], v[4:5] offset1:1
	v_dual_mov_b32 v19, s33 :: v_dual_add_nc_u32 v18, 0x10000, v16
	ds_store_2addr_stride64_b32 v17, v14, v15 offset0:64 offset1:80
	v_add_nc_u32_e32 v14, 0x14000, v16
	v_add_nc_u32_e32 v22, 0x18000, v16
	;; [unrolled: 1-line block ×3, first 2 shown]
	ds_store_2addr_b64 v18, v[2:3], v[4:5] offset1:1
	ds_store_2addr_b64 v14, v[2:3], v[4:5] offset1:1
	ds_store_2addr_stride64_b32 v17, v15, v19 offset0:96 offset1:112
	ds_store_2addr_b64 v22, v[2:3], v[4:5] offset1:1
	ds_store_2addr_b64 v16, v[2:3], v[4:5] offset1:1
	s_wait_storecnt 0x0
	s_wait_loadcnt_dscnt 0x0
	s_barrier_signal -1
	s_barrier_wait -1
	s_load_b32 s2, s[4:5], 0x0
	s_wait_xcnt 0x0
	s_bfe_u32 s4, ttmp6, 0x4000c
	s_and_b32 s5, ttmp6, 15
	s_add_co_i32 s4, s4, 1
	s_delay_alu instid0(SALU_CYCLE_1) | instskip(NEXT) | instid1(SALU_CYCLE_1)
	s_mul_i32 s4, ttmp9, s4
	s_add_co_i32 s5, s5, s4
	s_cmp_eq_u32 s8, 0
	s_cselect_b32 s4, ttmp9, s5
	s_and_not1_b32 vcc_lo, exec_lo, s3
	s_wait_kmcnt 0x0
	s_add_co_i32 s2, s2, s4
	s_load_b32 s40, s[6:7], s2 offset:0x0 scale_offset
	s_cbranch_vccnz .LBB72_24
; %bb.7:
	s_wait_xcnt 0x0
	s_load_b64 s[2:3], s[0:1], 0x28
	s_wait_kmcnt 0x0
	s_ashr_i32 s41, s40, 31
	v_lshrrev_b32_e32 v2, 6, v0
	s_lshl_b64 s[4:5], s[40:41], 2
	s_mov_b32 s13, exec_lo
	s_delay_alu instid0(VALU_DEP_1) | instskip(SKIP_3) | instid1(VALU_DEP_1)
	v_subrev_nc_u32_e32 v2, s36, v2
	s_add_nc_u64 s[2:3], s[2:3], s[4:5]
	s_load_b64 s[4:5], s[2:3], 0x0
	s_wait_kmcnt 0x0
	v_add_nc_u32_e32 v14, s4, v2
	s_sub_co_i32 s12, s5, s36
	s_delay_alu instid0(VALU_DEP_1) | instid1(SALU_CYCLE_1)
	v_cmpx_gt_i32_e64 s12, v14
	s_cbranch_execz .LBB72_23
; %bb.8:
	s_clause 0x1
	s_load_b64 s[2:3], s[0:1], 0x50
	s_load_b256 s[4:11], s[0:1], 0x30
	v_and_b32_e32 v2, 63, v0
	s_mov_b32 s14, 0
	s_delay_alu instid0(VALU_DEP_1)
	v_subrev_nc_u32_e32 v22, s37, v2
	s_branch .LBB72_10
.LBB72_9:                               ;   in Loop: Header=BB72_10 Depth=1
	s_or_b32 exec_lo, exec_lo, s15
	v_add_nc_u32_e32 v14, 16, v14
	s_delay_alu instid0(VALU_DEP_1) | instskip(SKIP_1) | instid1(SALU_CYCLE_1)
	v_cmp_le_i32_e32 vcc_lo, s12, v14
	s_or_b32 s14, vcc_lo, s14
	s_and_not1_b32 exec_lo, exec_lo, s14
	s_cbranch_execz .LBB72_23
.LBB72_10:                              ; =>This Loop Header: Depth=1
                                        ;     Child Loop BB72_14 Depth 2
                                        ;       Child Loop BB72_17 Depth 3
	s_wait_kmcnt 0x0
	global_load_b32 v2, v14, s[4:5] scale_offset
	s_mov_b32 s15, exec_lo
	s_wait_loadcnt 0x0
	v_subrev_nc_u32_e32 v2, s36, v2
	s_delay_alu instid0(VALU_DEP_1) | instskip(NEXT) | instid1(VALU_DEP_1)
	v_ashrrev_i32_e32 v3, 31, v2
	v_lshl_add_u64 v[2:3], v[2:3], 2, s[8:9]
	global_load_b64 v[2:3], v[2:3], off
	s_wait_loadcnt 0x0
	v_subrev_nc_u32_e32 v23, s37, v3
	v_add_nc_u32_e32 v24, v2, v22
	s_wait_xcnt 0x0
	s_delay_alu instid0(VALU_DEP_1)
	v_cmpx_lt_i32_e64 v24, v23
	s_cbranch_execz .LBB72_9
; %bb.11:                               ;   in Loop: Header=BB72_10 Depth=1
	v_ashrrev_i32_e32 v15, 31, v14
	s_mov_b32 s17, 0
	s_delay_alu instid0(VALU_DEP_1) | instskip(SKIP_4) | instid1(VALU_DEP_2)
	v_lshl_add_u64 v[2:3], v[14:15], 4, s[6:7]
	global_load_b128 v[2:5], v[2:3], off
	s_wait_loadcnt 0x0
	v_mul_f64_e64 v[16:17], v[4:5], -v[12:13]
	v_mul_f64_e32 v[18:19], v[10:11], v[4:5]
	v_fmac_f64_e32 v[16:17], v[10:11], v[2:3]
	s_delay_alu instid0(VALU_DEP_2)
	v_fmac_f64_e32 v[18:19], v[12:13], v[2:3]
	s_branch .LBB72_14
.LBB72_12:                              ;   in Loop: Header=BB72_14 Depth=2
	s_or_b32 exec_lo, exec_lo, s19
.LBB72_13:                              ;   in Loop: Header=BB72_14 Depth=2
	s_delay_alu instid0(SALU_CYCLE_1) | instskip(SKIP_3) | instid1(VALU_DEP_2)
	s_or_b32 exec_lo, exec_lo, s18
	s_wait_loadcnt 0x0
	v_dual_mul_f64 v[26:27], v[4:5], -v[18:19] :: v_dual_add_nc_u32 v24, 64, v24
	v_mul_f64_e32 v[4:5], v[16:17], v[4:5]
	v_cmp_ge_i32_e32 vcc_lo, v24, v23
	s_or_b32 s17, vcc_lo, s17
	s_delay_alu instid0(VALU_DEP_3) | instskip(NEXT) | instid1(VALU_DEP_3)
	v_fmac_f64_e32 v[26:27], v[16:17], v[2:3]
	v_fmac_f64_e32 v[4:5], v[18:19], v[2:3]
	v_lshl_add_u32 v2, v15, 4, 0
	ds_add_f64 v2, v[26:27] offset:32768
	ds_add_f64 v2, v[4:5] offset:32776
	s_and_not1_b32 exec_lo, exec_lo, s17
	s_cbranch_execz .LBB72_9
.LBB72_14:                              ;   Parent Loop BB72_10 Depth=1
                                        ; =>  This Loop Header: Depth=2
                                        ;       Child Loop BB72_17 Depth 3
	s_clause 0x1
	global_load_b32 v15, v24, s[10:11] scale_offset
	global_load_b128 v[2:5], v24, s[2:3] scale_offset
	s_mov_b32 s18, exec_lo
	s_wait_loadcnt 0x1
	v_subrev_nc_u32_e32 v25, s37, v15
	s_delay_alu instid0(VALU_DEP_1) | instskip(NEXT) | instid1(VALU_DEP_1)
	v_mul_lo_u32 v15, 0x89, v25
	v_and_b32_e32 v15, 0x1fff, v15
	s_delay_alu instid0(VALU_DEP_1)
	v_lshl_add_u32 v26, v15, 2, 0
	ds_load_b32 v27, v26
	s_wait_dscnt 0x0
	s_wait_xcnt 0x0
	v_cmpx_ne_u32_e64 v27, v25
	s_cbranch_execz .LBB72_13
; %bb.15:                               ;   in Loop: Header=BB72_14 Depth=2
	s_mov_b32 s19, 0
	s_branch .LBB72_17
.LBB72_16:                              ;   in Loop: Header=BB72_17 Depth=3
	s_or_b32 exec_lo, exec_lo, s22
	s_delay_alu instid0(SALU_CYCLE_1) | instskip(NEXT) | instid1(SALU_CYCLE_1)
	s_and_b32 s20, exec_lo, s21
	s_or_b32 s19, s20, s19
	s_delay_alu instid0(SALU_CYCLE_1)
	s_and_not1_b32 exec_lo, exec_lo, s19
	s_cbranch_execz .LBB72_12
.LBB72_17:                              ;   Parent Loop BB72_10 Depth=1
                                        ;     Parent Loop BB72_14 Depth=2
                                        ; =>    This Inner Loop Header: Depth=3
	s_mov_b32 s20, 0
	s_mov_b32 s21, exec_lo
	v_cmpx_ne_u32_e64 s33, v27
	s_xor_b32 s21, exec_lo, s21
	s_cbranch_execz .LBB72_19
; %bb.18:                               ;   in Loop: Header=BB72_17 Depth=3
	v_add_nc_u32_e32 v15, 1, v15
	s_mov_b32 s20, exec_lo
                                        ; implicit-def: $vgpr26
	s_delay_alu instid0(VALU_DEP_1)
	v_and_b32_e32 v15, 0x1fff, v15
	s_and_not1_saveexec_b32 s21, s21
	s_cbranch_execz .LBB72_21
	s_branch .LBB72_20
.LBB72_19:                              ;   in Loop: Header=BB72_17 Depth=3
	s_and_not1_saveexec_b32 s21, s21
	s_cbranch_execz .LBB72_21
.LBB72_20:                              ;   in Loop: Header=BB72_17 Depth=3
	v_mov_b32_e32 v27, s33
	s_and_not1_b32 s20, s20, exec_lo
	ds_cmpstore_rtn_b32 v26, v26, v25, v27
	s_wait_dscnt 0x0
	v_cmp_ne_u32_e32 vcc_lo, s33, v26
	s_and_b32 s22, vcc_lo, exec_lo
	s_delay_alu instid0(SALU_CYCLE_1)
	s_or_b32 s20, s20, s22
.LBB72_21:                              ;   in Loop: Header=BB72_17 Depth=3
	s_or_b32 exec_lo, exec_lo, s21
	s_mov_b32 s21, -1
                                        ; implicit-def: $vgpr26
                                        ; implicit-def: $vgpr27
	s_and_saveexec_b32 s22, s20
	s_cbranch_execz .LBB72_16
; %bb.22:                               ;   in Loop: Header=BB72_17 Depth=3
	v_lshl_add_u32 v26, v15, 2, 0
	ds_load_b32 v27, v26
	s_wait_dscnt 0x0
	v_cmp_eq_u32_e32 vcc_lo, v27, v25
	s_or_not1_b32 s21, vcc_lo, exec_lo
	s_branch .LBB72_16
.LBB72_23:
	s_or_b32 exec_lo, exec_lo, s13
.LBB72_24:
	s_load_b64 s[34:35], s[0:1], 0x90
	s_and_not1_b32 vcc_lo, exec_lo, s16
	s_cbranch_vccnz .LBB72_39
; %bb.25:
	s_wait_xcnt 0x0
	s_load_b64 s[2:3], s[0:1], 0x68
	s_wait_kmcnt 0x0
	s_ashr_i32 s41, s40, 31
	v_subrev_nc_u32_e32 v2, s39, v0
	s_lshl_b64 s[4:5], s[40:41], 2
	s_delay_alu instid0(SALU_CYCLE_1)
	s_add_nc_u64 s[2:3], s[2:3], s[4:5]
	s_load_b64 s[4:5], s[2:3], 0x0
	s_wait_xcnt 0x0
	s_mov_b32 s3, exec_lo
	s_wait_kmcnt 0x0
	v_add_nc_u32_e32 v10, s4, v2
	s_sub_co_i32 s2, s5, s39
	s_delay_alu instid0(VALU_DEP_1) | instid1(SALU_CYCLE_1)
	v_cmpx_gt_i32_e64 s2, v10
	s_cbranch_execz .LBB72_38
; %bb.26:
	s_load_b128 s[4:7], s[0:1], 0x70
	s_mov_b32 s8, 0
	s_branch .LBB72_29
.LBB72_27:                              ;   in Loop: Header=BB72_29 Depth=1
	s_or_b32 exec_lo, exec_lo, s10
.LBB72_28:                              ;   in Loop: Header=BB72_29 Depth=1
	s_delay_alu instid0(SALU_CYCLE_1) | instskip(SKIP_4) | instid1(VALU_DEP_1)
	s_or_b32 exec_lo, exec_lo, s9
	s_wait_loadcnt 0x0
	v_mul_f64_e64 v[12:13], v[4:5], -v[6:7]
	v_mul_f64_e32 v[4:5], v[8:9], v[4:5]
	v_add_nc_u32_e32 v10, 0x400, v10
	v_cmp_le_i32_e32 vcc_lo, s2, v10
	s_or_b32 s8, vcc_lo, s8
	s_delay_alu instid0(VALU_DEP_4) | instskip(NEXT) | instid1(VALU_DEP_4)
	v_fmac_f64_e32 v[12:13], v[8:9], v[2:3]
	v_fmac_f64_e32 v[4:5], v[6:7], v[2:3]
	v_lshl_add_u32 v2, v11, 4, 0
	ds_add_f64 v2, v[12:13] offset:32768
	ds_add_f64 v2, v[4:5] offset:32776
	s_and_not1_b32 exec_lo, exec_lo, s8
	s_cbranch_execz .LBB72_38
.LBB72_29:                              ; =>This Loop Header: Depth=1
                                        ;     Child Loop BB72_32 Depth 2
	s_wait_kmcnt 0x0
	s_clause 0x1
	global_load_b32 v11, v10, s[4:5] scale_offset
	global_load_b128 v[2:5], v10, s[6:7] scale_offset
	s_mov_b32 s9, exec_lo
	s_wait_loadcnt 0x1
	v_subrev_nc_u32_e32 v12, s39, v11
	s_delay_alu instid0(VALU_DEP_1) | instskip(NEXT) | instid1(VALU_DEP_1)
	v_mul_lo_u32 v11, 0x89, v12
	v_and_b32_e32 v11, 0x1fff, v11
	s_delay_alu instid0(VALU_DEP_1)
	v_lshl_add_u32 v13, v11, 2, 0
	ds_load_b32 v14, v13
	s_wait_dscnt 0x0
	s_wait_xcnt 0x0
	v_cmpx_ne_u32_e64 v14, v12
	s_cbranch_execz .LBB72_28
; %bb.30:                               ;   in Loop: Header=BB72_29 Depth=1
	s_mov_b32 s10, 0
	s_branch .LBB72_32
.LBB72_31:                              ;   in Loop: Header=BB72_32 Depth=2
	s_or_b32 exec_lo, exec_lo, s13
	s_delay_alu instid0(SALU_CYCLE_1) | instskip(NEXT) | instid1(SALU_CYCLE_1)
	s_and_b32 s11, exec_lo, s12
	s_or_b32 s10, s11, s10
	s_delay_alu instid0(SALU_CYCLE_1)
	s_and_not1_b32 exec_lo, exec_lo, s10
	s_cbranch_execz .LBB72_27
.LBB72_32:                              ;   Parent Loop BB72_29 Depth=1
                                        ; =>  This Inner Loop Header: Depth=2
	s_mov_b32 s11, 0
	s_mov_b32 s12, exec_lo
	v_cmpx_ne_u32_e64 s33, v14
	s_xor_b32 s12, exec_lo, s12
	s_cbranch_execz .LBB72_34
; %bb.33:                               ;   in Loop: Header=BB72_32 Depth=2
	v_add_nc_u32_e32 v11, 1, v11
	s_mov_b32 s11, exec_lo
                                        ; implicit-def: $vgpr13
	s_delay_alu instid0(VALU_DEP_1)
	v_and_b32_e32 v11, 0x1fff, v11
	s_and_not1_saveexec_b32 s12, s12
	s_cbranch_execz .LBB72_36
	s_branch .LBB72_35
.LBB72_34:                              ;   in Loop: Header=BB72_32 Depth=2
	s_and_not1_saveexec_b32 s12, s12
	s_cbranch_execz .LBB72_36
.LBB72_35:                              ;   in Loop: Header=BB72_32 Depth=2
	v_mov_b32_e32 v14, s33
	s_and_not1_b32 s11, s11, exec_lo
	ds_cmpstore_rtn_b32 v13, v13, v12, v14
	s_wait_dscnt 0x0
	v_cmp_ne_u32_e32 vcc_lo, s33, v13
	s_and_b32 s13, vcc_lo, exec_lo
	s_delay_alu instid0(SALU_CYCLE_1)
	s_or_b32 s11, s11, s13
.LBB72_36:                              ;   in Loop: Header=BB72_32 Depth=2
	s_or_b32 exec_lo, exec_lo, s12
	s_mov_b32 s12, -1
                                        ; implicit-def: $vgpr13
                                        ; implicit-def: $vgpr14
	s_and_saveexec_b32 s13, s11
	s_cbranch_execz .LBB72_31
; %bb.37:                               ;   in Loop: Header=BB72_32 Depth=2
	v_lshl_add_u32 v13, v11, 2, 0
	ds_load_b32 v14, v13
	s_wait_dscnt 0x0
	v_cmp_eq_u32_e32 vcc_lo, v14, v12
	s_or_not1_b32 s12, vcc_lo, exec_lo
	s_branch .LBB72_31
.LBB72_38:
	s_or_b32 exec_lo, exec_lo, s3
.LBB72_39:
	s_load_b64 s[36:37], s[0:1], 0x80
	v_dual_mov_b32 v3, 0 :: v_dual_lshrrev_b32 v2, 3, v0
	v_xor_b32_e32 v4, 31, v20
	s_wait_xcnt 0x0
	v_cmp_lt_u32_e64 s0, 31, v0
	v_cmp_lt_u32_e64 s1, 63, v0
	v_and_b32_e32 v5, 0x7c, v2
	v_cmp_lt_u32_e64 s2, 0x5f, v0
	v_lshrrev_b32_e64 v2, v4, -1
	v_cmp_lt_u32_e64 s3, 0x7f, v0
	v_cmp_lt_u32_e64 s4, 0x9f, v0
	v_add3_u32 v4, 0x28000, 0, v5
	v_cmp_lt_u32_e64 s5, 0xbf, v0
	v_cmp_lt_u32_e64 s6, 0xdf, v0
	;; [unrolled: 1-line block ×26, first 2 shown]
	v_add3_u32 v5, v21, 0, 0x8000
	v_or_b32_e32 v6, 0xfffffc00, v0
	s_mov_b32 s39, 0
	s_add_co_i32 s41, 0, 0x28000
	s_add_co_i32 s42, 0, 0x28004
	;; [unrolled: 1-line block ×32, first 2 shown]
	s_wait_dscnt 0x0
	s_barrier_signal -1
	s_barrier_wait -1
	v_cmp_eq_u32_e32 vcc_lo, 0x3ff, v0
	s_branch .LBB72_41
.LBB72_40:                              ;   in Loop: Header=BB72_41 Depth=1
	s_or_b32 exec_lo, exec_lo, s31
	v_dual_mov_b32 v7, s72 :: v_dual_add_nc_u32 v6, 0x400, v6
	s_wait_dscnt 0x0
	s_barrier_signal -1
	s_barrier_wait -1
	ds_load_b32 v7, v7
	v_cmp_lt_u32_e64 s31, 0x1bff, v6
	v_add_nc_u32_e32 v5, 0x4000, v5
	v_add_nc_u32_e32 v1, 0x1000, v1
	s_or_b32 s39, s31, s39
	s_wait_dscnt 0x0
	v_add_nc_u32_e32 v3, v7, v3
	s_and_not1_b32 exec_lo, exec_lo, s39
	s_cbranch_execz .LBB72_107
.LBB72_41:                              ; =>This Inner Loop Header: Depth=1
	ds_load_b32 v7, v1
	ds_load_2addr_b64 v[8:11], v5 offset1:1
	s_wait_dscnt 0x1
	v_cmp_gt_i32_e64 s31, s33, v7
	s_wait_dscnt 0x0
	scratch_store_b128 off, v[8:11], off
	s_wait_storecnt 0x0
	s_barrier_signal -1
	s_barrier_wait -1
	s_bcnt1_i32_b32 s73, s31
	s_wait_xcnt 0x0
	v_dual_mov_b32 v9, s73 :: v_dual_bitop2_b32 v8, s31, v2 bitop3:0x40
	s_delay_alu instid0(VALU_DEP_1)
	v_bcnt_u32_b32 v8, v8, 0
	ds_store_b32 v4, v9
	s_wait_dscnt 0x0
	s_barrier_signal -1
	s_barrier_wait -1
	s_and_saveexec_b32 s73, s0
	s_cbranch_execz .LBB72_74
; %bb.42:                               ;   in Loop: Header=BB72_41 Depth=1
	v_mov_b32_e32 v9, s41
	ds_load_b32 v9, v9
	s_wait_dscnt 0x0
	v_add_nc_u32_e32 v8, v9, v8
	s_or_b32 exec_lo, exec_lo, s73
	s_and_saveexec_b32 s73, s1
	s_cbranch_execnz .LBB72_75
.LBB72_43:                              ;   in Loop: Header=BB72_41 Depth=1
	s_or_b32 exec_lo, exec_lo, s73
	s_and_saveexec_b32 s73, s2
	s_cbranch_execz .LBB72_76
.LBB72_44:                              ;   in Loop: Header=BB72_41 Depth=1
	v_mov_b32_e32 v9, s43
	ds_load_b32 v9, v9
	s_wait_dscnt 0x0
	v_add_nc_u32_e32 v8, v9, v8
	s_or_b32 exec_lo, exec_lo, s73
	s_and_saveexec_b32 s73, s3
	s_cbranch_execnz .LBB72_77
.LBB72_45:                              ;   in Loop: Header=BB72_41 Depth=1
	s_or_b32 exec_lo, exec_lo, s73
	s_and_saveexec_b32 s73, s4
	s_cbranch_execz .LBB72_78
.LBB72_46:                              ;   in Loop: Header=BB72_41 Depth=1
	v_mov_b32_e32 v9, s45
	ds_load_b32 v9, v9
	s_wait_dscnt 0x0
	v_add_nc_u32_e32 v8, v9, v8
	s_or_b32 exec_lo, exec_lo, s73
	s_and_saveexec_b32 s73, s5
	s_cbranch_execnz .LBB72_79
.LBB72_47:                              ;   in Loop: Header=BB72_41 Depth=1
	s_or_b32 exec_lo, exec_lo, s73
	s_and_saveexec_b32 s73, s6
	s_cbranch_execz .LBB72_80
.LBB72_48:                              ;   in Loop: Header=BB72_41 Depth=1
	v_mov_b32_e32 v9, s47
	ds_load_b32 v9, v9
	s_wait_dscnt 0x0
	v_add_nc_u32_e32 v8, v9, v8
	s_or_b32 exec_lo, exec_lo, s73
	s_and_saveexec_b32 s73, s7
	s_cbranch_execnz .LBB72_81
.LBB72_49:                              ;   in Loop: Header=BB72_41 Depth=1
	s_or_b32 exec_lo, exec_lo, s73
	s_and_saveexec_b32 s73, s8
	s_cbranch_execz .LBB72_82
.LBB72_50:                              ;   in Loop: Header=BB72_41 Depth=1
	v_mov_b32_e32 v9, s49
	ds_load_b32 v9, v9
	s_wait_dscnt 0x0
	v_add_nc_u32_e32 v8, v9, v8
	s_or_b32 exec_lo, exec_lo, s73
	s_and_saveexec_b32 s73, s9
	s_cbranch_execnz .LBB72_83
.LBB72_51:                              ;   in Loop: Header=BB72_41 Depth=1
	s_or_b32 exec_lo, exec_lo, s73
	s_and_saveexec_b32 s73, s10
	s_cbranch_execz .LBB72_84
.LBB72_52:                              ;   in Loop: Header=BB72_41 Depth=1
	v_mov_b32_e32 v9, s51
	ds_load_b32 v9, v9
	s_wait_dscnt 0x0
	v_add_nc_u32_e32 v8, v9, v8
	s_or_b32 exec_lo, exec_lo, s73
	s_and_saveexec_b32 s73, s11
	s_cbranch_execnz .LBB72_85
.LBB72_53:                              ;   in Loop: Header=BB72_41 Depth=1
	s_or_b32 exec_lo, exec_lo, s73
	s_and_saveexec_b32 s73, s12
	s_cbranch_execz .LBB72_86
.LBB72_54:                              ;   in Loop: Header=BB72_41 Depth=1
	v_mov_b32_e32 v9, s53
	ds_load_b32 v9, v9
	s_wait_dscnt 0x0
	v_add_nc_u32_e32 v8, v9, v8
	s_or_b32 exec_lo, exec_lo, s73
	s_and_saveexec_b32 s73, s13
	s_cbranch_execnz .LBB72_87
.LBB72_55:                              ;   in Loop: Header=BB72_41 Depth=1
	s_or_b32 exec_lo, exec_lo, s73
	s_and_saveexec_b32 s73, s14
	s_cbranch_execz .LBB72_88
.LBB72_56:                              ;   in Loop: Header=BB72_41 Depth=1
	v_mov_b32_e32 v9, s55
	ds_load_b32 v9, v9
	s_wait_dscnt 0x0
	v_add_nc_u32_e32 v8, v9, v8
	s_or_b32 exec_lo, exec_lo, s73
	s_and_saveexec_b32 s73, s15
	s_cbranch_execnz .LBB72_89
.LBB72_57:                              ;   in Loop: Header=BB72_41 Depth=1
	s_or_b32 exec_lo, exec_lo, s73
	s_and_saveexec_b32 s73, s16
	s_cbranch_execz .LBB72_90
.LBB72_58:                              ;   in Loop: Header=BB72_41 Depth=1
	v_mov_b32_e32 v9, s57
	ds_load_b32 v9, v9
	s_wait_dscnt 0x0
	v_add_nc_u32_e32 v8, v9, v8
	s_or_b32 exec_lo, exec_lo, s73
	s_and_saveexec_b32 s73, s17
	s_cbranch_execnz .LBB72_91
.LBB72_59:                              ;   in Loop: Header=BB72_41 Depth=1
	s_or_b32 exec_lo, exec_lo, s73
	s_and_saveexec_b32 s73, s18
	s_cbranch_execz .LBB72_92
.LBB72_60:                              ;   in Loop: Header=BB72_41 Depth=1
	v_mov_b32_e32 v9, s59
	ds_load_b32 v9, v9
	s_wait_dscnt 0x0
	v_add_nc_u32_e32 v8, v9, v8
	s_or_b32 exec_lo, exec_lo, s73
	s_and_saveexec_b32 s73, s19
	s_cbranch_execnz .LBB72_93
.LBB72_61:                              ;   in Loop: Header=BB72_41 Depth=1
	s_or_b32 exec_lo, exec_lo, s73
	s_and_saveexec_b32 s73, s20
	s_cbranch_execz .LBB72_94
.LBB72_62:                              ;   in Loop: Header=BB72_41 Depth=1
	v_mov_b32_e32 v9, s61
	ds_load_b32 v9, v9
	s_wait_dscnt 0x0
	v_add_nc_u32_e32 v8, v9, v8
	s_or_b32 exec_lo, exec_lo, s73
	s_and_saveexec_b32 s73, s21
	s_cbranch_execnz .LBB72_95
.LBB72_63:                              ;   in Loop: Header=BB72_41 Depth=1
	s_or_b32 exec_lo, exec_lo, s73
	s_and_saveexec_b32 s73, s22
	s_cbranch_execz .LBB72_96
.LBB72_64:                              ;   in Loop: Header=BB72_41 Depth=1
	v_mov_b32_e32 v9, s63
	ds_load_b32 v9, v9
	s_wait_dscnt 0x0
	v_add_nc_u32_e32 v8, v9, v8
	s_or_b32 exec_lo, exec_lo, s73
	s_and_saveexec_b32 s73, s23
	s_cbranch_execnz .LBB72_97
.LBB72_65:                              ;   in Loop: Header=BB72_41 Depth=1
	s_or_b32 exec_lo, exec_lo, s73
	s_and_saveexec_b32 s73, s24
	s_cbranch_execz .LBB72_98
.LBB72_66:                              ;   in Loop: Header=BB72_41 Depth=1
	v_mov_b32_e32 v9, s65
	ds_load_b32 v9, v9
	s_wait_dscnt 0x0
	v_add_nc_u32_e32 v8, v9, v8
	s_or_b32 exec_lo, exec_lo, s73
	s_and_saveexec_b32 s73, s25
	s_cbranch_execnz .LBB72_99
.LBB72_67:                              ;   in Loop: Header=BB72_41 Depth=1
	s_or_b32 exec_lo, exec_lo, s73
	s_and_saveexec_b32 s73, s26
	s_cbranch_execz .LBB72_100
.LBB72_68:                              ;   in Loop: Header=BB72_41 Depth=1
	v_mov_b32_e32 v9, s67
	ds_load_b32 v9, v9
	s_wait_dscnt 0x0
	v_add_nc_u32_e32 v8, v9, v8
	s_or_b32 exec_lo, exec_lo, s73
	s_and_saveexec_b32 s73, s27
	s_cbranch_execnz .LBB72_101
.LBB72_69:                              ;   in Loop: Header=BB72_41 Depth=1
	s_or_b32 exec_lo, exec_lo, s73
	s_and_saveexec_b32 s73, s28
	s_cbranch_execz .LBB72_102
.LBB72_70:                              ;   in Loop: Header=BB72_41 Depth=1
	v_mov_b32_e32 v9, s69
	ds_load_b32 v9, v9
	s_wait_dscnt 0x0
	v_add_nc_u32_e32 v8, v9, v8
	s_or_b32 exec_lo, exec_lo, s73
	s_and_saveexec_b32 s73, s29
	s_cbranch_execnz .LBB72_103
.LBB72_71:                              ;   in Loop: Header=BB72_41 Depth=1
	s_or_b32 exec_lo, exec_lo, s73
	s_and_saveexec_b32 s73, s30
	s_cbranch_execz .LBB72_104
.LBB72_72:                              ;   in Loop: Header=BB72_41 Depth=1
	v_mov_b32_e32 v9, s71
	ds_load_b32 v9, v9
	s_wait_dscnt 0x0
	v_add_nc_u32_e32 v8, v9, v8
	s_or_b32 exec_lo, exec_lo, s73
	s_and_saveexec_b32 s73, s31
	s_cbranch_execnz .LBB72_105
.LBB72_73:                              ;   in Loop: Header=BB72_41 Depth=1
	s_or_b32 exec_lo, exec_lo, s73
	s_and_saveexec_b32 s31, vcc_lo
	s_cbranch_execz .LBB72_40
	s_branch .LBB72_106
.LBB72_74:                              ;   in Loop: Header=BB72_41 Depth=1
	s_or_b32 exec_lo, exec_lo, s73
	s_and_saveexec_b32 s73, s1
	s_cbranch_execz .LBB72_43
.LBB72_75:                              ;   in Loop: Header=BB72_41 Depth=1
	v_mov_b32_e32 v9, s42
	ds_load_b32 v9, v9
	s_wait_dscnt 0x0
	v_add_nc_u32_e32 v8, v9, v8
	s_or_b32 exec_lo, exec_lo, s73
	s_and_saveexec_b32 s73, s2
	s_cbranch_execnz .LBB72_44
.LBB72_76:                              ;   in Loop: Header=BB72_41 Depth=1
	s_or_b32 exec_lo, exec_lo, s73
	s_and_saveexec_b32 s73, s3
	s_cbranch_execz .LBB72_45
.LBB72_77:                              ;   in Loop: Header=BB72_41 Depth=1
	v_mov_b32_e32 v9, s44
	ds_load_b32 v9, v9
	s_wait_dscnt 0x0
	v_add_nc_u32_e32 v8, v9, v8
	s_or_b32 exec_lo, exec_lo, s73
	s_and_saveexec_b32 s73, s4
	s_cbranch_execnz .LBB72_46
.LBB72_78:                              ;   in Loop: Header=BB72_41 Depth=1
	s_or_b32 exec_lo, exec_lo, s73
	s_and_saveexec_b32 s73, s5
	s_cbranch_execz .LBB72_47
.LBB72_79:                              ;   in Loop: Header=BB72_41 Depth=1
	v_mov_b32_e32 v9, s46
	ds_load_b32 v9, v9
	s_wait_dscnt 0x0
	v_add_nc_u32_e32 v8, v9, v8
	s_or_b32 exec_lo, exec_lo, s73
	s_and_saveexec_b32 s73, s6
	s_cbranch_execnz .LBB72_48
.LBB72_80:                              ;   in Loop: Header=BB72_41 Depth=1
	s_or_b32 exec_lo, exec_lo, s73
	s_and_saveexec_b32 s73, s7
	s_cbranch_execz .LBB72_49
.LBB72_81:                              ;   in Loop: Header=BB72_41 Depth=1
	v_mov_b32_e32 v9, s48
	ds_load_b32 v9, v9
	s_wait_dscnt 0x0
	v_add_nc_u32_e32 v8, v9, v8
	s_or_b32 exec_lo, exec_lo, s73
	s_and_saveexec_b32 s73, s8
	s_cbranch_execnz .LBB72_50
.LBB72_82:                              ;   in Loop: Header=BB72_41 Depth=1
	s_or_b32 exec_lo, exec_lo, s73
	s_and_saveexec_b32 s73, s9
	s_cbranch_execz .LBB72_51
.LBB72_83:                              ;   in Loop: Header=BB72_41 Depth=1
	v_mov_b32_e32 v9, s50
	ds_load_b32 v9, v9
	s_wait_dscnt 0x0
	v_add_nc_u32_e32 v8, v9, v8
	s_or_b32 exec_lo, exec_lo, s73
	s_and_saveexec_b32 s73, s10
	s_cbranch_execnz .LBB72_52
.LBB72_84:                              ;   in Loop: Header=BB72_41 Depth=1
	s_or_b32 exec_lo, exec_lo, s73
	s_and_saveexec_b32 s73, s11
	s_cbranch_execz .LBB72_53
.LBB72_85:                              ;   in Loop: Header=BB72_41 Depth=1
	v_mov_b32_e32 v9, s52
	ds_load_b32 v9, v9
	s_wait_dscnt 0x0
	v_add_nc_u32_e32 v8, v9, v8
	s_or_b32 exec_lo, exec_lo, s73
	s_and_saveexec_b32 s73, s12
	s_cbranch_execnz .LBB72_54
.LBB72_86:                              ;   in Loop: Header=BB72_41 Depth=1
	s_or_b32 exec_lo, exec_lo, s73
	s_and_saveexec_b32 s73, s13
	s_cbranch_execz .LBB72_55
.LBB72_87:                              ;   in Loop: Header=BB72_41 Depth=1
	v_mov_b32_e32 v9, s54
	ds_load_b32 v9, v9
	s_wait_dscnt 0x0
	v_add_nc_u32_e32 v8, v9, v8
	s_or_b32 exec_lo, exec_lo, s73
	s_and_saveexec_b32 s73, s14
	s_cbranch_execnz .LBB72_56
.LBB72_88:                              ;   in Loop: Header=BB72_41 Depth=1
	s_or_b32 exec_lo, exec_lo, s73
	s_and_saveexec_b32 s73, s15
	s_cbranch_execz .LBB72_57
.LBB72_89:                              ;   in Loop: Header=BB72_41 Depth=1
	v_mov_b32_e32 v9, s56
	ds_load_b32 v9, v9
	s_wait_dscnt 0x0
	v_add_nc_u32_e32 v8, v9, v8
	s_or_b32 exec_lo, exec_lo, s73
	s_and_saveexec_b32 s73, s16
	s_cbranch_execnz .LBB72_58
.LBB72_90:                              ;   in Loop: Header=BB72_41 Depth=1
	s_or_b32 exec_lo, exec_lo, s73
	s_and_saveexec_b32 s73, s17
	s_cbranch_execz .LBB72_59
.LBB72_91:                              ;   in Loop: Header=BB72_41 Depth=1
	v_mov_b32_e32 v9, s58
	ds_load_b32 v9, v9
	s_wait_dscnt 0x0
	v_add_nc_u32_e32 v8, v9, v8
	s_or_b32 exec_lo, exec_lo, s73
	s_and_saveexec_b32 s73, s18
	s_cbranch_execnz .LBB72_60
.LBB72_92:                              ;   in Loop: Header=BB72_41 Depth=1
	s_or_b32 exec_lo, exec_lo, s73
	s_and_saveexec_b32 s73, s19
	s_cbranch_execz .LBB72_61
.LBB72_93:                              ;   in Loop: Header=BB72_41 Depth=1
	v_mov_b32_e32 v9, s60
	ds_load_b32 v9, v9
	s_wait_dscnt 0x0
	v_add_nc_u32_e32 v8, v9, v8
	s_or_b32 exec_lo, exec_lo, s73
	s_and_saveexec_b32 s73, s20
	s_cbranch_execnz .LBB72_62
.LBB72_94:                              ;   in Loop: Header=BB72_41 Depth=1
	s_or_b32 exec_lo, exec_lo, s73
	s_and_saveexec_b32 s73, s21
	s_cbranch_execz .LBB72_63
.LBB72_95:                              ;   in Loop: Header=BB72_41 Depth=1
	v_mov_b32_e32 v9, s62
	ds_load_b32 v9, v9
	s_wait_dscnt 0x0
	v_add_nc_u32_e32 v8, v9, v8
	s_or_b32 exec_lo, exec_lo, s73
	s_and_saveexec_b32 s73, s22
	s_cbranch_execnz .LBB72_64
.LBB72_96:                              ;   in Loop: Header=BB72_41 Depth=1
	s_or_b32 exec_lo, exec_lo, s73
	s_and_saveexec_b32 s73, s23
	s_cbranch_execz .LBB72_65
.LBB72_97:                              ;   in Loop: Header=BB72_41 Depth=1
	v_mov_b32_e32 v9, s64
	ds_load_b32 v9, v9
	s_wait_dscnt 0x0
	v_add_nc_u32_e32 v8, v9, v8
	s_or_b32 exec_lo, exec_lo, s73
	s_and_saveexec_b32 s73, s24
	s_cbranch_execnz .LBB72_66
.LBB72_98:                              ;   in Loop: Header=BB72_41 Depth=1
	s_or_b32 exec_lo, exec_lo, s73
	s_and_saveexec_b32 s73, s25
	s_cbranch_execz .LBB72_67
.LBB72_99:                              ;   in Loop: Header=BB72_41 Depth=1
	v_mov_b32_e32 v9, s66
	ds_load_b32 v9, v9
	s_wait_dscnt 0x0
	v_add_nc_u32_e32 v8, v9, v8
	s_or_b32 exec_lo, exec_lo, s73
	s_and_saveexec_b32 s73, s26
	s_cbranch_execnz .LBB72_68
.LBB72_100:                             ;   in Loop: Header=BB72_41 Depth=1
	s_or_b32 exec_lo, exec_lo, s73
	s_and_saveexec_b32 s73, s27
	s_cbranch_execz .LBB72_69
.LBB72_101:                             ;   in Loop: Header=BB72_41 Depth=1
	v_mov_b32_e32 v9, s68
	ds_load_b32 v9, v9
	s_wait_dscnt 0x0
	v_add_nc_u32_e32 v8, v9, v8
	s_or_b32 exec_lo, exec_lo, s73
	s_and_saveexec_b32 s73, s28
	s_cbranch_execnz .LBB72_70
.LBB72_102:                             ;   in Loop: Header=BB72_41 Depth=1
	s_or_b32 exec_lo, exec_lo, s73
	s_and_saveexec_b32 s73, s29
	s_cbranch_execz .LBB72_71
.LBB72_103:                             ;   in Loop: Header=BB72_41 Depth=1
	v_mov_b32_e32 v9, s70
	ds_load_b32 v9, v9
	s_wait_dscnt 0x0
	v_add_nc_u32_e32 v8, v9, v8
	s_or_b32 exec_lo, exec_lo, s73
	s_and_saveexec_b32 s73, s30
	s_cbranch_execnz .LBB72_72
.LBB72_104:                             ;   in Loop: Header=BB72_41 Depth=1
	s_or_b32 exec_lo, exec_lo, s73
	s_and_saveexec_b32 s73, s31
	s_cbranch_execz .LBB72_73
.LBB72_105:                             ;   in Loop: Header=BB72_41 Depth=1
	scratch_load_b128 v[10:13], off, off
	v_add3_u32 v9, v3, -1, v8
	v_add_lshl_u32 v14, v3, v8, 4
	s_delay_alu instid0(VALU_DEP_2) | instskip(NEXT) | instid1(VALU_DEP_2)
	v_lshl_add_u32 v9, v9, 2, 0
	v_add3_u32 v14, 0, v14, 0x7ff0
	ds_store_b32 v9, v7
	s_wait_loadcnt 0x0
	ds_store_2addr_b64 v14, v[10:11], v[12:13] offset1:1
	s_or_b32 exec_lo, exec_lo, s73
	s_and_saveexec_b32 s31, vcc_lo
	s_cbranch_execz .LBB72_40
.LBB72_106:                             ;   in Loop: Header=BB72_41 Depth=1
	v_mov_b32_e32 v7, s72
	ds_store_b32 v7, v8
	s_branch .LBB72_40
.LBB72_107:
	s_or_b32 exec_lo, exec_lo, s39
	s_wait_kmcnt 0x0
	s_ashr_i32 s41, s40, 31
	s_delay_alu instid0(SALU_CYCLE_1) | instskip(NEXT) | instid1(SALU_CYCLE_1)
	s_lshl_b64 s[0:1], s[40:41], 2
	s_add_nc_u64 s[2:3], s[36:37], s[0:1]
	s_load_b64 s[0:1], s[2:3], 0x0
	s_wait_kmcnt 0x0
	s_sub_co_i32 s4, s1, s0
	s_mov_b32 s1, exec_lo
	v_cmpx_gt_i32_e64 s4, v0
	s_cbranch_execz .LBB72_121
; %bb.108:
	v_sub_co_u32 v1, s1, s4, 2
	s_sub_co_i32 s2, s0, s38
	s_xor_b32 s6, s1, -1
	s_and_b32 s5, s4, -2
	v_readfirstlane_b32 s3, v1
	s_lshr_b32 s0, s3, 1
	s_mov_b32 s3, 0
	s_add_co_i32 s0, s0, 1
	s_mov_b32 s11, s3
	s_and_b32 s1, s0, 7
	s_and_b32 s7, s0, -8
	s_cmp_lg_u32 s1, 0
	v_cmp_lt_u32_e64 s0, 13, v1
	s_cselect_b32 s8, -1, 0
	s_cmp_lg_u32 s4, s5
	s_cselect_b32 s9, -1, 0
	s_lshl_b32 s10, s1, 3
	s_branch .LBB72_110
.LBB72_109:                             ;   in Loop: Header=BB72_110 Depth=1
	v_mul_lo_u32 v3, v0, 12
	v_add_nc_u32_e32 v0, 0x400, v0
	s_delay_alu instid0(VALU_DEP_1) | instskip(SKIP_1) | instid1(VALU_DEP_3)
	v_cmp_le_i32_e32 vcc_lo, s4, v0
	s_or_b32 s11, vcc_lo, s11
	v_add3_u32 v1, v1, v3, 0x8000
	s_wait_dscnt 0x0
	ds_load_2addr_b64 v[4:7], v1 offset1:1
	s_wait_dscnt 0x0
	global_store_b128 v2, v[4:7], s[34:35] scale_offset
	s_wait_xcnt 0x0
	s_and_not1_b32 exec_lo, exec_lo, s11
	s_cbranch_execz .LBB72_121
.LBB72_110:                             ; =>This Loop Header: Depth=1
                                        ;     Child Loop BB72_113 Depth 2
                                        ;     Child Loop BB72_116 Depth 2
	;; [unrolled: 1-line block ×3, first 2 shown]
	v_lshl_add_u32 v1, v0, 2, 0
	v_mov_b32_e32 v2, s2
	s_and_not1_b32 vcc_lo, exec_lo, s6
	s_mov_b32 s1, 0
	s_mov_b32 s12, -1
	ds_load_b32 v4, v1
	s_cbranch_vccnz .LBB72_118
; %bb.111:                              ;   in Loop: Header=BB72_110 Depth=1
	v_mov_b64_e32 v[2:3], s[2:3]
	s_and_not1_b32 vcc_lo, exec_lo, s0
	s_mov_b32 s12, 0
	s_cbranch_vccnz .LBB72_114
; %bb.112:                              ;   in Loop: Header=BB72_110 Depth=1
	v_dual_mov_b32 v2, s2 :: v_dual_mov_b32 v3, 0
	s_mov_b32 s13, 0
	s_mov_b32 s14, s7
.LBB72_113:                             ;   Parent Loop BB72_110 Depth=1
                                        ; =>  This Inner Loop Header: Depth=2
	v_mov_b32_e32 v5, s13
	s_add_co_i32 s14, s14, -8
	s_add_co_i32 s12, s12, 16
	s_add_co_i32 s13, s13, 64
	s_cmp_lg_u32 s14, 0
	ds_load_2addr_b32 v[6:7], v5 offset1:1
	ds_load_2addr_b32 v[8:9], v5 offset0:2 offset1:3
	ds_load_2addr_b32 v[10:11], v5 offset0:4 offset1:5
	ds_load_2addr_b32 v[12:13], v5 offset0:8 offset1:9
	ds_load_2addr_b32 v[14:15], v5 offset0:12 offset1:13
	ds_load_2addr_b32 v[16:17], v5 offset0:6 offset1:7
	ds_load_2addr_b32 v[18:19], v5 offset0:10 offset1:11
	ds_load_2addr_b32 v[20:21], v5 offset0:14 offset1:15
	s_wait_dscnt 0x7
	v_cmp_gt_i32_e32 vcc_lo, v4, v7
	s_wait_dscnt 0x5
	v_cmp_gt_i32_e64 s1, v4, v10
	v_cndmask_b32_e64 v5, 0, 1, vcc_lo
	v_cmp_gt_i32_e32 vcc_lo, v4, v6
	s_delay_alu instid0(VALU_DEP_3) | instskip(SKIP_3) | instid1(VALU_DEP_3)
	v_cndmask_b32_e64 v7, 0, 1, s1
	v_cmp_gt_i32_e64 s1, v4, v11
	v_cndmask_b32_e64 v6, 0, 1, vcc_lo
	v_cmp_gt_i32_e32 vcc_lo, v4, v8
	v_cndmask_b32_e64 v8, 0, 1, s1
	s_wait_dscnt 0x4
	v_cmp_gt_i32_e64 s1, v4, v13
	v_add_co_ci_u32_e64 v2, null, v2, v6, vcc_lo
	s_delay_alu instid0(VALU_DEP_2) | instskip(SKIP_3) | instid1(VALU_DEP_2)
	v_cndmask_b32_e64 v10, 0, 1, s1
	v_cmp_gt_i32_e64 s1, v4, v12
	s_wait_dscnt 0x2
	v_cmp_gt_i32_e32 vcc_lo, v4, v16
	v_cndmask_b32_e64 v11, 0, 1, s1
	v_cmp_gt_i32_e64 s1, v4, v14
	v_add_co_ci_u32_e64 v2, null, v2, v7, vcc_lo
	s_wait_dscnt 0x1
	v_cmp_gt_i32_e32 vcc_lo, v4, v18
	s_delay_alu instid0(VALU_DEP_3) | instskip(SKIP_4) | instid1(VALU_DEP_3)
	v_cndmask_b32_e64 v12, 0, 1, s1
	v_cmp_gt_i32_e64 s1, v4, v15
	v_add_co_ci_u32_e64 v2, null, v2, v11, vcc_lo
	s_wait_dscnt 0x0
	v_cmp_gt_i32_e32 vcc_lo, v4, v20
	v_cndmask_b32_e64 v13, 0, 1, s1
	v_cmp_gt_i32_e64 s1, v4, v9
	v_add_co_ci_u32_e64 v2, null, v2, v12, vcc_lo
	s_delay_alu instid0(VALU_DEP_2) | instskip(SKIP_1) | instid1(VALU_DEP_1)
	v_add_co_ci_u32_e64 v3, null, v3, v5, s1
	v_cmp_gt_i32_e64 s1, v4, v17
	v_add_co_ci_u32_e64 v3, null, v3, v8, s1
	v_cmp_gt_i32_e64 s1, v4, v19
	s_delay_alu instid0(VALU_DEP_1) | instskip(SKIP_1) | instid1(VALU_DEP_1)
	v_add_co_ci_u32_e64 v3, null, v3, v10, s1
	v_cmp_gt_i32_e64 s1, v4, v21
	v_add_co_ci_u32_e64 v3, null, v3, v13, s1
	s_cbranch_scc1 .LBB72_113
.LBB72_114:                             ;   in Loop: Header=BB72_110 Depth=1
	s_and_not1_b32 vcc_lo, exec_lo, s8
	s_cbranch_vccnz .LBB72_117
; %bb.115:                              ;   in Loop: Header=BB72_110 Depth=1
	s_lshl_b32 s1, s12, 2
	s_mov_b32 s12, s10
	s_add_co_i32 s1, s1, 0
.LBB72_116:                             ;   Parent Loop BB72_110 Depth=1
                                        ; =>  This Inner Loop Header: Depth=2
	s_delay_alu instid0(SALU_CYCLE_1)
	v_mov_b32_e32 v5, s1
	s_add_co_i32 s12, s12, -8
	s_add_co_i32 s1, s1, 8
	s_cmp_lg_u32 s12, 0
	ds_load_2addr_b32 v[6:7], v5 offset1:1
	s_wait_dscnt 0x0
	v_cmp_gt_i32_e32 vcc_lo, v4, v7
	v_add_co_ci_u32_e64 v3, null, 0, v3, vcc_lo
	v_cmp_gt_i32_e32 vcc_lo, v4, v6
	v_add_co_ci_u32_e64 v2, null, 0, v2, vcc_lo
	s_cbranch_scc1 .LBB72_116
.LBB72_117:                             ;   in Loop: Header=BB72_110 Depth=1
	s_delay_alu instid0(VALU_DEP_1)
	v_add_nc_u32_e32 v2, v2, v3
	s_mov_b32 s1, s5
	s_mov_b32 s12, s9
.LBB72_118:                             ;   in Loop: Header=BB72_110 Depth=1
	s_delay_alu instid0(SALU_CYCLE_1)
	s_and_b32 vcc_lo, exec_lo, s12
	s_cbranch_vccz .LBB72_109
; %bb.119:                              ;   in Loop: Header=BB72_110 Depth=1
	s_lshl_b32 s12, s1, 2
	s_delay_alu instid0(SALU_CYCLE_1)
	s_add_co_i32 s12, s12, 0
.LBB72_120:                             ;   Parent Loop BB72_110 Depth=1
                                        ; =>  This Inner Loop Header: Depth=2
	s_delay_alu instid0(SALU_CYCLE_1)
	v_mov_b32_e32 v3, s12
	s_add_co_i32 s1, s1, 1
	s_add_co_i32 s12, s12, 4
	s_cmp_ge_i32 s1, s4
	ds_load_b32 v3, v3
	s_wait_dscnt 0x0
	v_cmp_gt_i32_e32 vcc_lo, v4, v3
	v_add_co_ci_u32_e64 v2, null, 0, v2, vcc_lo
	s_cbranch_scc0 .LBB72_120
	s_branch .LBB72_109
.LBB72_121:
	s_endpgm
	.section	.rodata,"a",@progbits
	.p2align	6, 0x0
	.amdhsa_kernel _ZN9rocsparseL41csrgemm_numeric_fill_block_per_row_kernelILj1024ELj64ELj8192ELj137ELj32Eii21rocsparse_complex_numIdEEEvT5_PKS3_S5_NS_24const_host_device_scalarIT6_EEPKT4_S5_PKS7_SB_S5_SD_S8_SB_S5_SD_SB_S5_PS7_21rocsparse_index_base_SF_SF_SF_bbb
		.amdhsa_group_segment_fixed_size 0
		.amdhsa_private_segment_fixed_size 40
		.amdhsa_kernarg_size 172
		.amdhsa_user_sgpr_count 2
		.amdhsa_user_sgpr_dispatch_ptr 0
		.amdhsa_user_sgpr_queue_ptr 0
		.amdhsa_user_sgpr_kernarg_segment_ptr 1
		.amdhsa_user_sgpr_dispatch_id 0
		.amdhsa_user_sgpr_kernarg_preload_length 0
		.amdhsa_user_sgpr_kernarg_preload_offset 0
		.amdhsa_user_sgpr_private_segment_size 0
		.amdhsa_wavefront_size32 1
		.amdhsa_uses_dynamic_stack 0
		.amdhsa_enable_private_segment 1
		.amdhsa_system_sgpr_workgroup_id_x 1
		.amdhsa_system_sgpr_workgroup_id_y 0
		.amdhsa_system_sgpr_workgroup_id_z 0
		.amdhsa_system_sgpr_workgroup_info 0
		.amdhsa_system_vgpr_workitem_id 0
		.amdhsa_next_free_vgpr 28
		.amdhsa_next_free_sgpr 74
		.amdhsa_named_barrier_count 0
		.amdhsa_reserve_vcc 1
		.amdhsa_float_round_mode_32 0
		.amdhsa_float_round_mode_16_64 0
		.amdhsa_float_denorm_mode_32 3
		.amdhsa_float_denorm_mode_16_64 3
		.amdhsa_fp16_overflow 0
		.amdhsa_memory_ordered 1
		.amdhsa_forward_progress 1
		.amdhsa_inst_pref_size 40
		.amdhsa_round_robin_scheduling 0
		.amdhsa_exception_fp_ieee_invalid_op 0
		.amdhsa_exception_fp_denorm_src 0
		.amdhsa_exception_fp_ieee_div_zero 0
		.amdhsa_exception_fp_ieee_overflow 0
		.amdhsa_exception_fp_ieee_underflow 0
		.amdhsa_exception_fp_ieee_inexact 0
		.amdhsa_exception_int_div_zero 0
	.end_amdhsa_kernel
	.section	.text._ZN9rocsparseL41csrgemm_numeric_fill_block_per_row_kernelILj1024ELj64ELj8192ELj137ELj32Eii21rocsparse_complex_numIdEEEvT5_PKS3_S5_NS_24const_host_device_scalarIT6_EEPKT4_S5_PKS7_SB_S5_SD_S8_SB_S5_SD_SB_S5_PS7_21rocsparse_index_base_SF_SF_SF_bbb,"axG",@progbits,_ZN9rocsparseL41csrgemm_numeric_fill_block_per_row_kernelILj1024ELj64ELj8192ELj137ELj32Eii21rocsparse_complex_numIdEEEvT5_PKS3_S5_NS_24const_host_device_scalarIT6_EEPKT4_S5_PKS7_SB_S5_SD_S8_SB_S5_SD_SB_S5_PS7_21rocsparse_index_base_SF_SF_SF_bbb,comdat
.Lfunc_end72:
	.size	_ZN9rocsparseL41csrgemm_numeric_fill_block_per_row_kernelILj1024ELj64ELj8192ELj137ELj32Eii21rocsparse_complex_numIdEEEvT5_PKS3_S5_NS_24const_host_device_scalarIT6_EEPKT4_S5_PKS7_SB_S5_SD_S8_SB_S5_SD_SB_S5_PS7_21rocsparse_index_base_SF_SF_SF_bbb, .Lfunc_end72-_ZN9rocsparseL41csrgemm_numeric_fill_block_per_row_kernelILj1024ELj64ELj8192ELj137ELj32Eii21rocsparse_complex_numIdEEEvT5_PKS3_S5_NS_24const_host_device_scalarIT6_EEPKT4_S5_PKS7_SB_S5_SD_S8_SB_S5_SD_SB_S5_PS7_21rocsparse_index_base_SF_SF_SF_bbb
                                        ; -- End function
	.set _ZN9rocsparseL41csrgemm_numeric_fill_block_per_row_kernelILj1024ELj64ELj8192ELj137ELj32Eii21rocsparse_complex_numIdEEEvT5_PKS3_S5_NS_24const_host_device_scalarIT6_EEPKT4_S5_PKS7_SB_S5_SD_S8_SB_S5_SD_SB_S5_PS7_21rocsparse_index_base_SF_SF_SF_bbb.num_vgpr, 28
	.set _ZN9rocsparseL41csrgemm_numeric_fill_block_per_row_kernelILj1024ELj64ELj8192ELj137ELj32Eii21rocsparse_complex_numIdEEEvT5_PKS3_S5_NS_24const_host_device_scalarIT6_EEPKT4_S5_PKS7_SB_S5_SD_S8_SB_S5_SD_SB_S5_PS7_21rocsparse_index_base_SF_SF_SF_bbb.num_agpr, 0
	.set _ZN9rocsparseL41csrgemm_numeric_fill_block_per_row_kernelILj1024ELj64ELj8192ELj137ELj32Eii21rocsparse_complex_numIdEEEvT5_PKS3_S5_NS_24const_host_device_scalarIT6_EEPKT4_S5_PKS7_SB_S5_SD_S8_SB_S5_SD_SB_S5_PS7_21rocsparse_index_base_SF_SF_SF_bbb.numbered_sgpr, 74
	.set _ZN9rocsparseL41csrgemm_numeric_fill_block_per_row_kernelILj1024ELj64ELj8192ELj137ELj32Eii21rocsparse_complex_numIdEEEvT5_PKS3_S5_NS_24const_host_device_scalarIT6_EEPKT4_S5_PKS7_SB_S5_SD_S8_SB_S5_SD_SB_S5_PS7_21rocsparse_index_base_SF_SF_SF_bbb.num_named_barrier, 0
	.set _ZN9rocsparseL41csrgemm_numeric_fill_block_per_row_kernelILj1024ELj64ELj8192ELj137ELj32Eii21rocsparse_complex_numIdEEEvT5_PKS3_S5_NS_24const_host_device_scalarIT6_EEPKT4_S5_PKS7_SB_S5_SD_S8_SB_S5_SD_SB_S5_PS7_21rocsparse_index_base_SF_SF_SF_bbb.private_seg_size, 40
	.set _ZN9rocsparseL41csrgemm_numeric_fill_block_per_row_kernelILj1024ELj64ELj8192ELj137ELj32Eii21rocsparse_complex_numIdEEEvT5_PKS3_S5_NS_24const_host_device_scalarIT6_EEPKT4_S5_PKS7_SB_S5_SD_S8_SB_S5_SD_SB_S5_PS7_21rocsparse_index_base_SF_SF_SF_bbb.uses_vcc, 1
	.set _ZN9rocsparseL41csrgemm_numeric_fill_block_per_row_kernelILj1024ELj64ELj8192ELj137ELj32Eii21rocsparse_complex_numIdEEEvT5_PKS3_S5_NS_24const_host_device_scalarIT6_EEPKT4_S5_PKS7_SB_S5_SD_S8_SB_S5_SD_SB_S5_PS7_21rocsparse_index_base_SF_SF_SF_bbb.uses_flat_scratch, 1
	.set _ZN9rocsparseL41csrgemm_numeric_fill_block_per_row_kernelILj1024ELj64ELj8192ELj137ELj32Eii21rocsparse_complex_numIdEEEvT5_PKS3_S5_NS_24const_host_device_scalarIT6_EEPKT4_S5_PKS7_SB_S5_SD_S8_SB_S5_SD_SB_S5_PS7_21rocsparse_index_base_SF_SF_SF_bbb.has_dyn_sized_stack, 0
	.set _ZN9rocsparseL41csrgemm_numeric_fill_block_per_row_kernelILj1024ELj64ELj8192ELj137ELj32Eii21rocsparse_complex_numIdEEEvT5_PKS3_S5_NS_24const_host_device_scalarIT6_EEPKT4_S5_PKS7_SB_S5_SD_S8_SB_S5_SD_SB_S5_PS7_21rocsparse_index_base_SF_SF_SF_bbb.has_recursion, 0
	.set _ZN9rocsparseL41csrgemm_numeric_fill_block_per_row_kernelILj1024ELj64ELj8192ELj137ELj32Eii21rocsparse_complex_numIdEEEvT5_PKS3_S5_NS_24const_host_device_scalarIT6_EEPKT4_S5_PKS7_SB_S5_SD_S8_SB_S5_SD_SB_S5_PS7_21rocsparse_index_base_SF_SF_SF_bbb.has_indirect_call, 0
	.section	.AMDGPU.csdata,"",@progbits
; Kernel info:
; codeLenInByte = 5120
; TotalNumSgprs: 76
; NumVgprs: 28
; ScratchSize: 40
; MemoryBound: 0
; FloatMode: 240
; IeeeMode: 1
; LDSByteSize: 0 bytes/workgroup (compile time only)
; SGPRBlocks: 0
; VGPRBlocks: 1
; NumSGPRsForWavesPerEU: 76
; NumVGPRsForWavesPerEU: 28
; NamedBarCnt: 0
; Occupancy: 16
; WaveLimiterHint : 1
; COMPUTE_PGM_RSRC2:SCRATCH_EN: 1
; COMPUTE_PGM_RSRC2:USER_SGPR: 2
; COMPUTE_PGM_RSRC2:TRAP_HANDLER: 0
; COMPUTE_PGM_RSRC2:TGID_X_EN: 1
; COMPUTE_PGM_RSRC2:TGID_Y_EN: 0
; COMPUTE_PGM_RSRC2:TGID_Z_EN: 0
; COMPUTE_PGM_RSRC2:TIDIG_COMP_CNT: 0
	.section	.text._ZN9rocsparseL41csrgemm_numeric_fill_block_per_row_kernelILj1024ELj64ELj8192ELj137ELj64Eii21rocsparse_complex_numIdEEEvT5_PKS3_S5_NS_24const_host_device_scalarIT6_EEPKT4_S5_PKS7_SB_S5_SD_S8_SB_S5_SD_SB_S5_PS7_21rocsparse_index_base_SF_SF_SF_bbb,"axG",@progbits,_ZN9rocsparseL41csrgemm_numeric_fill_block_per_row_kernelILj1024ELj64ELj8192ELj137ELj64Eii21rocsparse_complex_numIdEEEvT5_PKS3_S5_NS_24const_host_device_scalarIT6_EEPKT4_S5_PKS7_SB_S5_SD_S8_SB_S5_SD_SB_S5_PS7_21rocsparse_index_base_SF_SF_SF_bbb,comdat
	.globl	_ZN9rocsparseL41csrgemm_numeric_fill_block_per_row_kernelILj1024ELj64ELj8192ELj137ELj64Eii21rocsparse_complex_numIdEEEvT5_PKS3_S5_NS_24const_host_device_scalarIT6_EEPKT4_S5_PKS7_SB_S5_SD_S8_SB_S5_SD_SB_S5_PS7_21rocsparse_index_base_SF_SF_SF_bbb ; -- Begin function _ZN9rocsparseL41csrgemm_numeric_fill_block_per_row_kernelILj1024ELj64ELj8192ELj137ELj64Eii21rocsparse_complex_numIdEEEvT5_PKS3_S5_NS_24const_host_device_scalarIT6_EEPKT4_S5_PKS7_SB_S5_SD_S8_SB_S5_SD_SB_S5_PS7_21rocsparse_index_base_SF_SF_SF_bbb
	.p2align	8
	.type	_ZN9rocsparseL41csrgemm_numeric_fill_block_per_row_kernelILj1024ELj64ELj8192ELj137ELj64Eii21rocsparse_complex_numIdEEEvT5_PKS3_S5_NS_24const_host_device_scalarIT6_EEPKT4_S5_PKS7_SB_S5_SD_S8_SB_S5_SD_SB_S5_PS7_21rocsparse_index_base_SF_SF_SF_bbb,@function
_ZN9rocsparseL41csrgemm_numeric_fill_block_per_row_kernelILj1024ELj64ELj8192ELj137ELj64Eii21rocsparse_complex_numIdEEEvT5_PKS3_S5_NS_24const_host_device_scalarIT6_EEPKT4_S5_PKS7_SB_S5_SD_S8_SB_S5_SD_SB_S5_PS7_21rocsparse_index_base_SF_SF_SF_bbb: ; @_ZN9rocsparseL41csrgemm_numeric_fill_block_per_row_kernelILj1024ELj64ELj8192ELj137ELj64Eii21rocsparse_complex_numIdEEEvT5_PKS3_S5_NS_24const_host_device_scalarIT6_EEPKT4_S5_PKS7_SB_S5_SD_S8_SB_S5_SD_SB_S5_PS7_21rocsparse_index_base_SF_SF_SF_bbb
; %bb.0:
	s_clause 0x3
	s_load_b32 s20, s[0:1], 0xa8
	s_load_b256 s[4:11], s[0:1], 0x8
	s_load_b128 s[12:15], s[0:1], 0x58
	s_load_b128 s[16:19], s[0:1], 0x98
	v_mov_b64_e32 v[6:7], 0
	v_mov_b64_e32 v[10:11], 0
	;; [unrolled: 1-line block ×3, first 2 shown]
	v_mbcnt_lo_u32_b32 v20, -1, 0
	s_wait_kmcnt 0x0
	s_bitcmp1_b32 s20, 0
	v_mov_b64_e32 v[2:3], s[8:9]
	s_cselect_b32 s3, -1, 0
	s_bitcmp1_b32 s20, 16
	v_mov_b64_e32 v[4:5], s[12:13]
	s_cselect_b32 s2, -1, 0
	s_clause 0x1
	scratch_store_b64 off, v[2:3], off offset:16
	scratch_store_b64 off, v[4:5], off offset:24
	s_xor_b32 s21, s2, -1
	s_bitcmp0_b32 s20, 0
	v_cndmask_b32_e64 v1, 0, 1, s21
	s_delay_alu instid0(VALU_DEP_1)
	v_cmp_ne_u32_e32 vcc_lo, 1, v1
	s_cbranch_scc1 .LBB73_3
; %bb.1:
	s_wait_xcnt 0x1
	v_dual_mov_b32 v2, 16 :: v_dual_lshlrev_b32 v3, 20, v20
	v_mov_b64_e32 v[12:13], s[10:11]
	s_and_b32 vcc_lo, exec_lo, vcc_lo
	s_delay_alu instid0(VALU_DEP_2) | instskip(NEXT) | instid1(VALU_DEP_1)
	v_add_nc_u64_e32 v[2:3], src_flat_scratch_base_lo, v[2:3]
	v_cndmask_b32_e64 v3, s9, v3, s2
	s_delay_alu instid0(VALU_DEP_2)
	v_cndmask_b32_e64 v2, s8, v2, s2
	flat_load_b64 v[10:11], v[2:3]
	s_cbranch_vccnz .LBB73_3
; %bb.2:
	v_mov_b32_e32 v1, 0
	flat_load_b64 v[12:13], v1, s[8:9] offset:8
.LBB73_3:
	v_mov_b64_e32 v[8:9], 0
	s_bitcmp1_b32 s20, 8
	s_cselect_b32 s22, -1, 0
	s_wait_xcnt 0x0
	s_bfe_u32 s8, s20, 0x10008
	s_delay_alu instid0(SALU_CYCLE_1)
	s_cmp_eq_u32 s8, 0
	s_cbranch_scc1 .LBB73_6
; %bb.4:
	v_dual_mov_b32 v2, 24 :: v_dual_lshlrev_b32 v3, 20, v20
	v_mov_b64_e32 v[6:7], s[14:15]
	s_and_not1_b32 vcc_lo, exec_lo, s21
	s_delay_alu instid0(VALU_DEP_2) | instskip(NEXT) | instid1(VALU_DEP_1)
	v_add_nc_u64_e32 v[2:3], src_flat_scratch_base_lo, v[2:3]
	v_cndmask_b32_e64 v3, s13, v3, s2
	s_delay_alu instid0(VALU_DEP_2)
	v_cndmask_b32_e64 v2, s12, v2, s2
	flat_load_b64 v[8:9], v[2:3]
	s_cbranch_vccnz .LBB73_6
; %bb.5:
	v_mov_b32_e32 v1, 0
	flat_load_b64 v[6:7], v1, s[12:13] offset:8
.LBB73_6:
	s_load_b32 s24, s[0:1], 0x0
	v_lshl_add_u32 v1, v0, 2, 0
	v_lshlrev_b32_e32 v21, 4, v0
	s_mov_b32 s8, 0
	s_delay_alu instid0(SALU_CYCLE_1) | instskip(NEXT) | instid1(VALU_DEP_2)
	s_mov_b32 s9, s8
	v_mad_u32_u24 v14, v0, 12, v1
	s_mov_b32 s10, s8
	s_mov_b32 s11, s8
	v_mov_b64_e32 v[2:3], s[8:9]
	v_mov_b64_e32 v[4:5], s[10:11]
	v_mad_i32_i24 v15, v0, -12, v14
	v_add_nc_u32_e32 v14, 0x8000, v14
	s_getreg_b32 s8, hwreg(HW_REG_IB_STS2, 6, 4)
	s_delay_alu instid0(VALU_DEP_2) | instskip(SKIP_3) | instid1(VALU_DEP_3)
	v_mad_u32_u24 v17, v0, 12, v15
	s_wait_kmcnt 0x0
	v_mov_b32_e32 v22, s24
	v_add3_u32 v16, 0x8000, 0, v21
	v_dual_mov_b32 v23, s24 :: v_dual_add_nc_u32 v24, 0xc000, v17
	v_mad_i32_i24 v17, v0, -12, v17
	s_delay_alu instid0(VALU_DEP_3)
	v_dual_mov_b32 v25, s24 :: v_dual_add_nc_u32 v18, 0x8000, v16
	v_dual_mov_b32 v26, s24 :: v_dual_add_nc_u32 v19, 0xc000, v16
	ds_store_b32 v1, v22
	ds_store_2addr_b64 v14, v[2:3], v[4:5] offset1:1
	ds_store_b32 v15, v23 offset:4096
	ds_store_2addr_b64 v24, v[2:3], v[4:5] offset1:1
	v_dual_mov_b32 v14, s24 :: v_dual_mov_b32 v15, s24
	ds_store_2addr_stride64_b32 v17, v25, v26 offset0:32 offset1:48
	ds_store_2addr_b64 v18, v[2:3], v[4:5] offset1:1
	ds_store_2addr_b64 v19, v[2:3], v[4:5] offset1:1
	v_dual_mov_b32 v19, s24 :: v_dual_add_nc_u32 v18, 0x10000, v16
	ds_store_2addr_stride64_b32 v17, v14, v15 offset0:64 offset1:80
	v_add_nc_u32_e32 v14, 0x14000, v16
	v_add_nc_u32_e32 v22, 0x18000, v16
	;; [unrolled: 1-line block ×3, first 2 shown]
	ds_store_2addr_b64 v18, v[2:3], v[4:5] offset1:1
	ds_store_2addr_b64 v14, v[2:3], v[4:5] offset1:1
	ds_store_2addr_stride64_b32 v17, v15, v19 offset0:96 offset1:112
	ds_store_2addr_b64 v22, v[2:3], v[4:5] offset1:1
	ds_store_2addr_b64 v16, v[2:3], v[4:5] offset1:1
	s_wait_storecnt 0x0
	s_wait_loadcnt_dscnt 0x0
	s_barrier_signal -1
	s_barrier_wait -1
	s_load_b32 s2, s[4:5], 0x0
	s_wait_xcnt 0x0
	s_bfe_u32 s4, ttmp6, 0x4000c
	s_and_b32 s5, ttmp6, 15
	s_add_co_i32 s4, s4, 1
	v_lshrrev_b32_e32 v22, 6, v0
	s_mul_i32 s4, ttmp9, s4
	s_delay_alu instid0(SALU_CYCLE_1)
	s_add_co_i32 s5, s5, s4
	s_cmp_eq_u32 s8, 0
	s_cselect_b32 s4, ttmp9, s5
	s_and_not1_b32 vcc_lo, exec_lo, s3
	s_wait_kmcnt 0x0
	s_add_co_i32 s2, s2, s4
	s_load_b32 s20, s[6:7], s2 offset:0x0 scale_offset
	s_cbranch_vccnz .LBB73_24
; %bb.7:
	s_wait_xcnt 0x0
	s_load_b64 s[2:3], s[0:1], 0x28
	s_wait_kmcnt 0x0
	s_ashr_i32 s21, s20, 31
	v_subrev_nc_u32_e32 v2, s16, v22
	s_lshl_b64 s[4:5], s[20:21], 2
	s_mov_b32 s13, exec_lo
	s_add_nc_u64 s[2:3], s[2:3], s[4:5]
	s_load_b64 s[4:5], s[2:3], 0x0
	s_wait_kmcnt 0x0
	v_add_nc_u32_e32 v14, s4, v2
	s_sub_co_i32 s12, s5, s16
	s_delay_alu instid0(VALU_DEP_1) | instid1(SALU_CYCLE_1)
	v_cmpx_gt_i32_e64 s12, v14
	s_cbranch_execz .LBB73_23
; %bb.8:
	s_clause 0x1
	s_load_b64 s[2:3], s[0:1], 0x50
	s_load_b256 s[4:11], s[0:1], 0x30
	v_and_b32_e32 v2, 63, v0
	s_mov_b32 s14, 0
	s_delay_alu instid0(VALU_DEP_1)
	v_subrev_nc_u32_e32 v23, s17, v2
	s_branch .LBB73_10
.LBB73_9:                               ;   in Loop: Header=BB73_10 Depth=1
	s_or_b32 exec_lo, exec_lo, s15
	v_add_nc_u32_e32 v14, 16, v14
	s_delay_alu instid0(VALU_DEP_1) | instskip(SKIP_1) | instid1(SALU_CYCLE_1)
	v_cmp_le_i32_e32 vcc_lo, s12, v14
	s_or_b32 s14, vcc_lo, s14
	s_and_not1_b32 exec_lo, exec_lo, s14
	s_cbranch_execz .LBB73_23
.LBB73_10:                              ; =>This Loop Header: Depth=1
                                        ;     Child Loop BB73_14 Depth 2
                                        ;       Child Loop BB73_17 Depth 3
	s_wait_kmcnt 0x0
	global_load_b32 v2, v14, s[4:5] scale_offset
	s_mov_b32 s15, exec_lo
	s_wait_loadcnt 0x0
	v_subrev_nc_u32_e32 v2, s16, v2
	s_delay_alu instid0(VALU_DEP_1) | instskip(NEXT) | instid1(VALU_DEP_1)
	v_ashrrev_i32_e32 v3, 31, v2
	v_lshl_add_u64 v[2:3], v[2:3], 2, s[8:9]
	global_load_b64 v[2:3], v[2:3], off
	s_wait_loadcnt 0x0
	v_subrev_nc_u32_e32 v24, s17, v3
	v_add_nc_u32_e32 v25, v2, v23
	s_wait_xcnt 0x0
	s_delay_alu instid0(VALU_DEP_1)
	v_cmpx_lt_i32_e64 v25, v24
	s_cbranch_execz .LBB73_9
; %bb.11:                               ;   in Loop: Header=BB73_10 Depth=1
	v_ashrrev_i32_e32 v15, 31, v14
	s_mov_b32 s21, 0
	s_delay_alu instid0(VALU_DEP_1) | instskip(SKIP_4) | instid1(VALU_DEP_2)
	v_lshl_add_u64 v[2:3], v[14:15], 4, s[6:7]
	global_load_b128 v[2:5], v[2:3], off
	s_wait_loadcnt 0x0
	v_mul_f64_e64 v[16:17], v[4:5], -v[12:13]
	v_mul_f64_e32 v[18:19], v[10:11], v[4:5]
	v_fmac_f64_e32 v[16:17], v[10:11], v[2:3]
	s_delay_alu instid0(VALU_DEP_2)
	v_fmac_f64_e32 v[18:19], v[12:13], v[2:3]
	s_branch .LBB73_14
.LBB73_12:                              ;   in Loop: Header=BB73_14 Depth=2
	s_or_b32 exec_lo, exec_lo, s25
.LBB73_13:                              ;   in Loop: Header=BB73_14 Depth=2
	s_delay_alu instid0(SALU_CYCLE_1) | instskip(SKIP_3) | instid1(VALU_DEP_2)
	s_or_b32 exec_lo, exec_lo, s23
	s_wait_loadcnt 0x0
	v_dual_mul_f64 v[26:27], v[4:5], -v[18:19] :: v_dual_add_nc_u32 v25, 64, v25
	v_mul_f64_e32 v[4:5], v[16:17], v[4:5]
	v_cmp_ge_i32_e32 vcc_lo, v25, v24
	s_or_b32 s21, vcc_lo, s21
	s_delay_alu instid0(VALU_DEP_3) | instskip(NEXT) | instid1(VALU_DEP_3)
	v_fmac_f64_e32 v[26:27], v[16:17], v[2:3]
	v_fmac_f64_e32 v[4:5], v[18:19], v[2:3]
	v_lshl_add_u32 v2, v15, 4, 0
	ds_add_f64 v2, v[26:27] offset:32768
	ds_add_f64 v2, v[4:5] offset:32776
	s_and_not1_b32 exec_lo, exec_lo, s21
	s_cbranch_execz .LBB73_9
.LBB73_14:                              ;   Parent Loop BB73_10 Depth=1
                                        ; =>  This Loop Header: Depth=2
                                        ;       Child Loop BB73_17 Depth 3
	s_clause 0x1
	global_load_b32 v15, v25, s[10:11] scale_offset
	global_load_b128 v[2:5], v25, s[2:3] scale_offset
	s_mov_b32 s23, exec_lo
	s_wait_loadcnt 0x1
	v_subrev_nc_u32_e32 v26, s17, v15
	s_delay_alu instid0(VALU_DEP_1) | instskip(NEXT) | instid1(VALU_DEP_1)
	v_mul_lo_u32 v15, 0x89, v26
	v_and_b32_e32 v15, 0x1fff, v15
	s_delay_alu instid0(VALU_DEP_1)
	v_lshl_add_u32 v27, v15, 2, 0
	ds_load_b32 v28, v27
	s_wait_dscnt 0x0
	s_wait_xcnt 0x0
	v_cmpx_ne_u32_e64 v28, v26
	s_cbranch_execz .LBB73_13
; %bb.15:                               ;   in Loop: Header=BB73_14 Depth=2
	s_mov_b32 s25, 0
	s_branch .LBB73_17
.LBB73_16:                              ;   in Loop: Header=BB73_17 Depth=3
	s_or_b32 exec_lo, exec_lo, s28
	s_delay_alu instid0(SALU_CYCLE_1) | instskip(NEXT) | instid1(SALU_CYCLE_1)
	s_and_b32 s26, exec_lo, s27
	s_or_b32 s25, s26, s25
	s_delay_alu instid0(SALU_CYCLE_1)
	s_and_not1_b32 exec_lo, exec_lo, s25
	s_cbranch_execz .LBB73_12
.LBB73_17:                              ;   Parent Loop BB73_10 Depth=1
                                        ;     Parent Loop BB73_14 Depth=2
                                        ; =>    This Inner Loop Header: Depth=3
	s_mov_b32 s26, 0
	s_mov_b32 s27, exec_lo
	v_cmpx_ne_u32_e64 s24, v28
	s_xor_b32 s27, exec_lo, s27
	s_cbranch_execz .LBB73_19
; %bb.18:                               ;   in Loop: Header=BB73_17 Depth=3
	v_add_nc_u32_e32 v15, 1, v15
	s_mov_b32 s26, exec_lo
                                        ; implicit-def: $vgpr27
	s_delay_alu instid0(VALU_DEP_1)
	v_and_b32_e32 v15, 0x1fff, v15
	s_and_not1_saveexec_b32 s27, s27
	s_cbranch_execz .LBB73_21
	s_branch .LBB73_20
.LBB73_19:                              ;   in Loop: Header=BB73_17 Depth=3
	s_and_not1_saveexec_b32 s27, s27
	s_cbranch_execz .LBB73_21
.LBB73_20:                              ;   in Loop: Header=BB73_17 Depth=3
	v_mov_b32_e32 v28, s24
	s_and_not1_b32 s26, s26, exec_lo
	ds_cmpstore_rtn_b32 v27, v27, v26, v28
	s_wait_dscnt 0x0
	v_cmp_ne_u32_e32 vcc_lo, s24, v27
	s_and_b32 s28, vcc_lo, exec_lo
	s_delay_alu instid0(SALU_CYCLE_1)
	s_or_b32 s26, s26, s28
.LBB73_21:                              ;   in Loop: Header=BB73_17 Depth=3
	s_or_b32 exec_lo, exec_lo, s27
	s_mov_b32 s27, -1
                                        ; implicit-def: $vgpr27
                                        ; implicit-def: $vgpr28
	s_and_saveexec_b32 s28, s26
	s_cbranch_execz .LBB73_16
; %bb.22:                               ;   in Loop: Header=BB73_17 Depth=3
	v_lshl_add_u32 v27, v15, 2, 0
	ds_load_b32 v28, v27
	s_wait_dscnt 0x0
	v_cmp_eq_u32_e32 vcc_lo, v28, v26
	s_or_not1_b32 s27, vcc_lo, exec_lo
	s_branch .LBB73_16
.LBB73_23:
	s_or_b32 exec_lo, exec_lo, s13
.LBB73_24:
	s_load_b64 s[16:17], s[0:1], 0x90
	s_and_not1_b32 vcc_lo, exec_lo, s22
	s_cbranch_vccnz .LBB73_39
; %bb.25:
	s_wait_xcnt 0x0
	s_load_b64 s[2:3], s[0:1], 0x68
	s_wait_kmcnt 0x0
	s_ashr_i32 s21, s20, 31
	v_subrev_nc_u32_e32 v2, s19, v0
	s_lshl_b64 s[4:5], s[20:21], 2
	s_delay_alu instid0(SALU_CYCLE_1)
	s_add_nc_u64 s[2:3], s[2:3], s[4:5]
	s_load_b64 s[4:5], s[2:3], 0x0
	s_wait_xcnt 0x0
	s_mov_b32 s3, exec_lo
	s_wait_kmcnt 0x0
	v_add_nc_u32_e32 v10, s4, v2
	s_sub_co_i32 s2, s5, s19
	s_delay_alu instid0(VALU_DEP_1) | instid1(SALU_CYCLE_1)
	v_cmpx_gt_i32_e64 s2, v10
	s_cbranch_execz .LBB73_38
; %bb.26:
	s_load_b128 s[4:7], s[0:1], 0x70
	s_mov_b32 s8, 0
	s_branch .LBB73_29
.LBB73_27:                              ;   in Loop: Header=BB73_29 Depth=1
	s_or_b32 exec_lo, exec_lo, s10
.LBB73_28:                              ;   in Loop: Header=BB73_29 Depth=1
	s_delay_alu instid0(SALU_CYCLE_1) | instskip(SKIP_4) | instid1(VALU_DEP_1)
	s_or_b32 exec_lo, exec_lo, s9
	s_wait_loadcnt 0x0
	v_mul_f64_e64 v[12:13], v[4:5], -v[6:7]
	v_mul_f64_e32 v[4:5], v[8:9], v[4:5]
	v_add_nc_u32_e32 v10, 0x400, v10
	v_cmp_le_i32_e32 vcc_lo, s2, v10
	s_or_b32 s8, vcc_lo, s8
	s_delay_alu instid0(VALU_DEP_4) | instskip(NEXT) | instid1(VALU_DEP_4)
	v_fmac_f64_e32 v[12:13], v[8:9], v[2:3]
	v_fmac_f64_e32 v[4:5], v[6:7], v[2:3]
	v_lshl_add_u32 v2, v11, 4, 0
	ds_add_f64 v2, v[12:13] offset:32768
	ds_add_f64 v2, v[4:5] offset:32776
	s_and_not1_b32 exec_lo, exec_lo, s8
	s_cbranch_execz .LBB73_38
.LBB73_29:                              ; =>This Loop Header: Depth=1
                                        ;     Child Loop BB73_32 Depth 2
	s_wait_kmcnt 0x0
	s_clause 0x1
	global_load_b32 v11, v10, s[4:5] scale_offset
	global_load_b128 v[2:5], v10, s[6:7] scale_offset
	s_mov_b32 s9, exec_lo
	s_wait_loadcnt 0x1
	v_subrev_nc_u32_e32 v12, s19, v11
	s_delay_alu instid0(VALU_DEP_1) | instskip(NEXT) | instid1(VALU_DEP_1)
	v_mul_lo_u32 v11, 0x89, v12
	v_and_b32_e32 v11, 0x1fff, v11
	s_delay_alu instid0(VALU_DEP_1)
	v_lshl_add_u32 v13, v11, 2, 0
	ds_load_b32 v14, v13
	s_wait_dscnt 0x0
	s_wait_xcnt 0x0
	v_cmpx_ne_u32_e64 v14, v12
	s_cbranch_execz .LBB73_28
; %bb.30:                               ;   in Loop: Header=BB73_29 Depth=1
	s_mov_b32 s10, 0
	s_branch .LBB73_32
.LBB73_31:                              ;   in Loop: Header=BB73_32 Depth=2
	s_or_b32 exec_lo, exec_lo, s13
	s_delay_alu instid0(SALU_CYCLE_1) | instskip(NEXT) | instid1(SALU_CYCLE_1)
	s_and_b32 s11, exec_lo, s12
	s_or_b32 s10, s11, s10
	s_delay_alu instid0(SALU_CYCLE_1)
	s_and_not1_b32 exec_lo, exec_lo, s10
	s_cbranch_execz .LBB73_27
.LBB73_32:                              ;   Parent Loop BB73_29 Depth=1
                                        ; =>  This Inner Loop Header: Depth=2
	s_mov_b32 s11, 0
	s_mov_b32 s12, exec_lo
	v_cmpx_ne_u32_e64 s24, v14
	s_xor_b32 s12, exec_lo, s12
	s_cbranch_execz .LBB73_34
; %bb.33:                               ;   in Loop: Header=BB73_32 Depth=2
	v_add_nc_u32_e32 v11, 1, v11
	s_mov_b32 s11, exec_lo
                                        ; implicit-def: $vgpr13
	s_delay_alu instid0(VALU_DEP_1)
	v_and_b32_e32 v11, 0x1fff, v11
	s_and_not1_saveexec_b32 s12, s12
	s_cbranch_execz .LBB73_36
	s_branch .LBB73_35
.LBB73_34:                              ;   in Loop: Header=BB73_32 Depth=2
	s_and_not1_saveexec_b32 s12, s12
	s_cbranch_execz .LBB73_36
.LBB73_35:                              ;   in Loop: Header=BB73_32 Depth=2
	v_mov_b32_e32 v14, s24
	s_and_not1_b32 s11, s11, exec_lo
	ds_cmpstore_rtn_b32 v13, v13, v12, v14
	s_wait_dscnt 0x0
	v_cmp_ne_u32_e32 vcc_lo, s24, v13
	s_and_b32 s13, vcc_lo, exec_lo
	s_delay_alu instid0(SALU_CYCLE_1)
	s_or_b32 s11, s11, s13
.LBB73_36:                              ;   in Loop: Header=BB73_32 Depth=2
	s_or_b32 exec_lo, exec_lo, s12
	s_mov_b32 s12, -1
                                        ; implicit-def: $vgpr13
                                        ; implicit-def: $vgpr14
	s_and_saveexec_b32 s13, s11
	s_cbranch_execz .LBB73_31
; %bb.37:                               ;   in Loop: Header=BB73_32 Depth=2
	v_lshl_add_u32 v13, v11, 2, 0
	ds_load_b32 v14, v13
	s_wait_dscnt 0x0
	v_cmp_eq_u32_e32 vcc_lo, v14, v12
	s_or_not1_b32 s12, vcc_lo, exec_lo
	s_branch .LBB73_31
.LBB73_38:
	s_or_b32 exec_lo, exec_lo, s3
.LBB73_39:
	s_load_b64 s[22:23], s[0:1], 0x80
	v_dual_lshlrev_b32 v4, 2, v22 :: v_dual_bitop2_b32 v2, 31, v20 bitop3:0x14
	s_add_co_i32 s36, 0, 0x2803c
	s_delay_alu instid0(SALU_CYCLE_1) | instskip(NEXT) | instid1(VALU_DEP_2)
	v_dual_mov_b32 v3, 0 :: v_dual_mov_b32 v7, s36
	v_lshrrev_b32_e64 v2, v2, -1
	s_delay_alu instid0(VALU_DEP_3)
	v_add3_u32 v4, 0x28000, 0, v4
	s_wait_xcnt 0x0
	v_cmp_lt_u32_e64 s0, 63, v0
	v_cmp_lt_u32_e64 s1, 0x7f, v0
	;; [unrolled: 1-line block ×15, first 2 shown]
	v_add3_u32 v5, v21, 0, 0x8000
	v_or_b32_e32 v6, 0xfffffc00, v0
	s_mov_b32 s19, 0
	s_add_co_i32 s21, 0, 0x28000
	s_add_co_i32 s25, 0, 0x28004
	;; [unrolled: 1-line block ×15, first 2 shown]
	s_wait_dscnt 0x0
	s_barrier_signal -1
	s_barrier_wait -1
	v_cmp_eq_u32_e32 vcc_lo, 0x3ff, v0
	s_branch .LBB73_41
.LBB73_40:                              ;   in Loop: Header=BB73_41 Depth=1
	s_or_b32 exec_lo, exec_lo, s15
	s_wait_dscnt 0x0
	s_barrier_signal -1
	s_barrier_wait -1
	ds_load_b32 v8, v7
	v_add_nc_u32_e32 v6, 0x400, v6
	v_add_nc_u32_e32 v5, 0x4000, v5
	;; [unrolled: 1-line block ×3, first 2 shown]
	s_delay_alu instid0(VALU_DEP_3)
	v_cmp_lt_u32_e64 s15, 0x1bff, v6
	s_or_b32 s19, s15, s19
	s_wait_dscnt 0x0
	v_add_nc_u32_e32 v3, v8, v3
	s_and_not1_b32 exec_lo, exec_lo, s19
	s_cbranch_execz .LBB73_75
.LBB73_41:                              ; =>This Inner Loop Header: Depth=1
	ds_load_b32 v8, v1
	ds_load_2addr_b64 v[10:13], v5 offset1:1
	s_wait_dscnt 0x1
	v_cmp_gt_i32_e64 s15, s24, v8
	s_wait_dscnt 0x0
	scratch_store_b128 off, v[10:13], off
	s_wait_storecnt 0x0
	s_barrier_signal -1
	s_barrier_wait -1
	s_bcnt1_i32_b32 s41, s15
	s_wait_xcnt 0x0
	v_dual_mov_b32 v10, s41 :: v_dual_bitop2_b32 v9, s15, v2 bitop3:0x40
	s_delay_alu instid0(VALU_DEP_1)
	v_bcnt_u32_b32 v9, v9, 0
	ds_store_b32 v4, v10
	s_wait_dscnt 0x0
	s_barrier_signal -1
	s_barrier_wait -1
	s_and_saveexec_b32 s41, s0
	s_cbranch_execz .LBB73_58
; %bb.42:                               ;   in Loop: Header=BB73_41 Depth=1
	v_mov_b32_e32 v10, s21
	ds_load_b32 v10, v10
	s_wait_dscnt 0x0
	v_add_nc_u32_e32 v9, v10, v9
	s_or_b32 exec_lo, exec_lo, s41
	s_and_saveexec_b32 s41, s1
	s_cbranch_execnz .LBB73_59
.LBB73_43:                              ;   in Loop: Header=BB73_41 Depth=1
	s_or_b32 exec_lo, exec_lo, s41
	s_and_saveexec_b32 s41, s2
	s_cbranch_execz .LBB73_60
.LBB73_44:                              ;   in Loop: Header=BB73_41 Depth=1
	v_mov_b32_e32 v10, s26
	ds_load_b32 v10, v10
	s_wait_dscnt 0x0
	v_add_nc_u32_e32 v9, v10, v9
	s_or_b32 exec_lo, exec_lo, s41
	s_and_saveexec_b32 s41, s3
	s_cbranch_execnz .LBB73_61
.LBB73_45:                              ;   in Loop: Header=BB73_41 Depth=1
	s_or_b32 exec_lo, exec_lo, s41
	s_and_saveexec_b32 s41, s4
	s_cbranch_execz .LBB73_62
.LBB73_46:                              ;   in Loop: Header=BB73_41 Depth=1
	v_mov_b32_e32 v10, s28
	ds_load_b32 v10, v10
	s_wait_dscnt 0x0
	v_add_nc_u32_e32 v9, v10, v9
	s_or_b32 exec_lo, exec_lo, s41
	s_and_saveexec_b32 s41, s5
	s_cbranch_execnz .LBB73_63
.LBB73_47:                              ;   in Loop: Header=BB73_41 Depth=1
	s_or_b32 exec_lo, exec_lo, s41
	s_and_saveexec_b32 s41, s6
	s_cbranch_execz .LBB73_64
.LBB73_48:                              ;   in Loop: Header=BB73_41 Depth=1
	v_mov_b32_e32 v10, s30
	ds_load_b32 v10, v10
	s_wait_dscnt 0x0
	v_add_nc_u32_e32 v9, v10, v9
	s_or_b32 exec_lo, exec_lo, s41
	s_and_saveexec_b32 s41, s7
	s_cbranch_execnz .LBB73_65
.LBB73_49:                              ;   in Loop: Header=BB73_41 Depth=1
	s_or_b32 exec_lo, exec_lo, s41
	s_and_saveexec_b32 s41, s8
	s_cbranch_execz .LBB73_66
.LBB73_50:                              ;   in Loop: Header=BB73_41 Depth=1
	v_mov_b32_e32 v10, s33
	ds_load_b32 v10, v10
	s_wait_dscnt 0x0
	v_add_nc_u32_e32 v9, v10, v9
	s_or_b32 exec_lo, exec_lo, s41
	s_and_saveexec_b32 s41, s9
	s_cbranch_execnz .LBB73_67
.LBB73_51:                              ;   in Loop: Header=BB73_41 Depth=1
	s_or_b32 exec_lo, exec_lo, s41
	s_and_saveexec_b32 s41, s10
	s_cbranch_execz .LBB73_68
.LBB73_52:                              ;   in Loop: Header=BB73_41 Depth=1
	v_mov_b32_e32 v10, s35
	ds_load_b32 v10, v10
	s_wait_dscnt 0x0
	v_add_nc_u32_e32 v9, v10, v9
	s_or_b32 exec_lo, exec_lo, s41
	s_and_saveexec_b32 s41, s11
	s_cbranch_execnz .LBB73_69
.LBB73_53:                              ;   in Loop: Header=BB73_41 Depth=1
	s_or_b32 exec_lo, exec_lo, s41
	s_and_saveexec_b32 s41, s12
	s_cbranch_execz .LBB73_70
.LBB73_54:                              ;   in Loop: Header=BB73_41 Depth=1
	v_mov_b32_e32 v10, s38
	ds_load_b32 v10, v10
	s_wait_dscnt 0x0
	v_add_nc_u32_e32 v9, v10, v9
	s_or_b32 exec_lo, exec_lo, s41
	s_and_saveexec_b32 s41, s13
	s_cbranch_execnz .LBB73_71
.LBB73_55:                              ;   in Loop: Header=BB73_41 Depth=1
	s_or_b32 exec_lo, exec_lo, s41
	s_and_saveexec_b32 s41, s14
	s_cbranch_execz .LBB73_72
.LBB73_56:                              ;   in Loop: Header=BB73_41 Depth=1
	v_mov_b32_e32 v10, s40
	ds_load_b32 v10, v10
	s_wait_dscnt 0x0
	v_add_nc_u32_e32 v9, v10, v9
	s_or_b32 exec_lo, exec_lo, s41
	s_and_saveexec_b32 s41, s15
	s_cbranch_execnz .LBB73_73
.LBB73_57:                              ;   in Loop: Header=BB73_41 Depth=1
	s_or_b32 exec_lo, exec_lo, s41
	s_and_saveexec_b32 s15, vcc_lo
	s_cbranch_execz .LBB73_40
	s_branch .LBB73_74
.LBB73_58:                              ;   in Loop: Header=BB73_41 Depth=1
	s_or_b32 exec_lo, exec_lo, s41
	s_and_saveexec_b32 s41, s1
	s_cbranch_execz .LBB73_43
.LBB73_59:                              ;   in Loop: Header=BB73_41 Depth=1
	v_mov_b32_e32 v10, s25
	ds_load_b32 v10, v10
	s_wait_dscnt 0x0
	v_add_nc_u32_e32 v9, v10, v9
	s_or_b32 exec_lo, exec_lo, s41
	s_and_saveexec_b32 s41, s2
	s_cbranch_execnz .LBB73_44
.LBB73_60:                              ;   in Loop: Header=BB73_41 Depth=1
	s_or_b32 exec_lo, exec_lo, s41
	s_and_saveexec_b32 s41, s3
	s_cbranch_execz .LBB73_45
.LBB73_61:                              ;   in Loop: Header=BB73_41 Depth=1
	v_mov_b32_e32 v10, s27
	ds_load_b32 v10, v10
	s_wait_dscnt 0x0
	v_add_nc_u32_e32 v9, v10, v9
	s_or_b32 exec_lo, exec_lo, s41
	s_and_saveexec_b32 s41, s4
	s_cbranch_execnz .LBB73_46
.LBB73_62:                              ;   in Loop: Header=BB73_41 Depth=1
	s_or_b32 exec_lo, exec_lo, s41
	s_and_saveexec_b32 s41, s5
	s_cbranch_execz .LBB73_47
.LBB73_63:                              ;   in Loop: Header=BB73_41 Depth=1
	v_mov_b32_e32 v10, s29
	ds_load_b32 v10, v10
	s_wait_dscnt 0x0
	v_add_nc_u32_e32 v9, v10, v9
	s_or_b32 exec_lo, exec_lo, s41
	s_and_saveexec_b32 s41, s6
	s_cbranch_execnz .LBB73_48
.LBB73_64:                              ;   in Loop: Header=BB73_41 Depth=1
	s_or_b32 exec_lo, exec_lo, s41
	s_and_saveexec_b32 s41, s7
	s_cbranch_execz .LBB73_49
.LBB73_65:                              ;   in Loop: Header=BB73_41 Depth=1
	v_mov_b32_e32 v10, s31
	ds_load_b32 v10, v10
	s_wait_dscnt 0x0
	v_add_nc_u32_e32 v9, v10, v9
	s_or_b32 exec_lo, exec_lo, s41
	s_and_saveexec_b32 s41, s8
	s_cbranch_execnz .LBB73_50
.LBB73_66:                              ;   in Loop: Header=BB73_41 Depth=1
	s_or_b32 exec_lo, exec_lo, s41
	s_and_saveexec_b32 s41, s9
	s_cbranch_execz .LBB73_51
.LBB73_67:                              ;   in Loop: Header=BB73_41 Depth=1
	v_mov_b32_e32 v10, s34
	ds_load_b32 v10, v10
	s_wait_dscnt 0x0
	v_add_nc_u32_e32 v9, v10, v9
	s_or_b32 exec_lo, exec_lo, s41
	s_and_saveexec_b32 s41, s10
	s_cbranch_execnz .LBB73_52
.LBB73_68:                              ;   in Loop: Header=BB73_41 Depth=1
	s_or_b32 exec_lo, exec_lo, s41
	s_and_saveexec_b32 s41, s11
	s_cbranch_execz .LBB73_53
.LBB73_69:                              ;   in Loop: Header=BB73_41 Depth=1
	v_mov_b32_e32 v10, s37
	ds_load_b32 v10, v10
	s_wait_dscnt 0x0
	v_add_nc_u32_e32 v9, v10, v9
	s_or_b32 exec_lo, exec_lo, s41
	s_and_saveexec_b32 s41, s12
	s_cbranch_execnz .LBB73_54
.LBB73_70:                              ;   in Loop: Header=BB73_41 Depth=1
	s_or_b32 exec_lo, exec_lo, s41
	s_and_saveexec_b32 s41, s13
	s_cbranch_execz .LBB73_55
.LBB73_71:                              ;   in Loop: Header=BB73_41 Depth=1
	v_mov_b32_e32 v10, s39
	ds_load_b32 v10, v10
	s_wait_dscnt 0x0
	v_add_nc_u32_e32 v9, v10, v9
	s_or_b32 exec_lo, exec_lo, s41
	s_and_saveexec_b32 s41, s14
	s_cbranch_execnz .LBB73_56
.LBB73_72:                              ;   in Loop: Header=BB73_41 Depth=1
	s_or_b32 exec_lo, exec_lo, s41
	s_and_saveexec_b32 s41, s15
	s_cbranch_execz .LBB73_57
.LBB73_73:                              ;   in Loop: Header=BB73_41 Depth=1
	scratch_load_b128 v[10:13], off, off
	v_add3_u32 v14, v3, -1, v9
	v_add_lshl_u32 v15, v3, v9, 4
	s_delay_alu instid0(VALU_DEP_2) | instskip(NEXT) | instid1(VALU_DEP_2)
	v_lshl_add_u32 v14, v14, 2, 0
	v_add3_u32 v15, 0, v15, 0x7ff0
	ds_store_b32 v14, v8
	s_wait_loadcnt 0x0
	ds_store_2addr_b64 v15, v[10:11], v[12:13] offset1:1
	s_or_b32 exec_lo, exec_lo, s41
	s_and_saveexec_b32 s15, vcc_lo
	s_cbranch_execz .LBB73_40
.LBB73_74:                              ;   in Loop: Header=BB73_41 Depth=1
	v_mov_b32_e32 v8, s36
	ds_store_b32 v8, v9
	s_branch .LBB73_40
.LBB73_75:
	s_or_b32 exec_lo, exec_lo, s19
	s_wait_kmcnt 0x0
	s_ashr_i32 s21, s20, 31
	s_delay_alu instid0(SALU_CYCLE_1) | instskip(NEXT) | instid1(SALU_CYCLE_1)
	s_lshl_b64 s[0:1], s[20:21], 2
	s_add_nc_u64 s[2:3], s[22:23], s[0:1]
	s_load_b64 s[0:1], s[2:3], 0x0
	s_wait_kmcnt 0x0
	s_sub_co_i32 s4, s1, s0
	s_mov_b32 s1, exec_lo
	v_cmpx_gt_i32_e64 s4, v0
	s_cbranch_execz .LBB73_89
; %bb.76:
	v_sub_co_u32 v1, s1, s4, 2
	s_sub_co_i32 s2, s0, s18
	s_xor_b32 s6, s1, -1
	s_and_b32 s5, s4, -2
	v_readfirstlane_b32 s3, v1
	s_lshr_b32 s0, s3, 1
	s_mov_b32 s3, 0
	s_add_co_i32 s0, s0, 1
	s_mov_b32 s11, s3
	s_and_b32 s1, s0, 7
	s_and_b32 s7, s0, -8
	s_cmp_lg_u32 s1, 0
	v_cmp_lt_u32_e64 s0, 13, v1
	s_cselect_b32 s8, -1, 0
	s_cmp_lg_u32 s4, s5
	s_cselect_b32 s9, -1, 0
	s_lshl_b32 s10, s1, 3
	s_branch .LBB73_78
.LBB73_77:                              ;   in Loop: Header=BB73_78 Depth=1
	v_mul_lo_u32 v3, v0, 12
	v_add_nc_u32_e32 v0, 0x400, v0
	s_delay_alu instid0(VALU_DEP_1) | instskip(SKIP_1) | instid1(VALU_DEP_3)
	v_cmp_le_i32_e32 vcc_lo, s4, v0
	s_or_b32 s11, vcc_lo, s11
	v_add3_u32 v1, v1, v3, 0x8000
	s_wait_dscnt 0x0
	ds_load_2addr_b64 v[4:7], v1 offset1:1
	s_wait_dscnt 0x0
	global_store_b128 v2, v[4:7], s[16:17] scale_offset
	s_wait_xcnt 0x0
	s_and_not1_b32 exec_lo, exec_lo, s11
	s_cbranch_execz .LBB73_89
.LBB73_78:                              ; =>This Loop Header: Depth=1
                                        ;     Child Loop BB73_81 Depth 2
                                        ;     Child Loop BB73_84 Depth 2
	;; [unrolled: 1-line block ×3, first 2 shown]
	v_lshl_add_u32 v1, v0, 2, 0
	v_mov_b32_e32 v2, s2
	s_and_not1_b32 vcc_lo, exec_lo, s6
	s_mov_b32 s1, 0
	s_mov_b32 s12, -1
	ds_load_b32 v4, v1
	s_cbranch_vccnz .LBB73_86
; %bb.79:                               ;   in Loop: Header=BB73_78 Depth=1
	v_mov_b64_e32 v[2:3], s[2:3]
	s_and_not1_b32 vcc_lo, exec_lo, s0
	s_mov_b32 s12, 0
	s_cbranch_vccnz .LBB73_82
; %bb.80:                               ;   in Loop: Header=BB73_78 Depth=1
	v_dual_mov_b32 v2, s2 :: v_dual_mov_b32 v3, 0
	s_mov_b32 s13, 0
	s_mov_b32 s14, s7
.LBB73_81:                              ;   Parent Loop BB73_78 Depth=1
                                        ; =>  This Inner Loop Header: Depth=2
	v_mov_b32_e32 v5, s13
	s_add_co_i32 s14, s14, -8
	s_add_co_i32 s12, s12, 16
	s_add_co_i32 s13, s13, 64
	s_cmp_lg_u32 s14, 0
	ds_load_2addr_b32 v[6:7], v5 offset1:1
	ds_load_2addr_b32 v[8:9], v5 offset0:2 offset1:3
	ds_load_2addr_b32 v[10:11], v5 offset0:4 offset1:5
	;; [unrolled: 1-line block ×7, first 2 shown]
	s_wait_dscnt 0x7
	v_cmp_gt_i32_e32 vcc_lo, v4, v7
	s_wait_dscnt 0x5
	v_cmp_gt_i32_e64 s1, v4, v10
	v_cndmask_b32_e64 v5, 0, 1, vcc_lo
	v_cmp_gt_i32_e32 vcc_lo, v4, v6
	s_delay_alu instid0(VALU_DEP_3) | instskip(SKIP_3) | instid1(VALU_DEP_3)
	v_cndmask_b32_e64 v7, 0, 1, s1
	v_cmp_gt_i32_e64 s1, v4, v11
	v_cndmask_b32_e64 v6, 0, 1, vcc_lo
	v_cmp_gt_i32_e32 vcc_lo, v4, v8
	v_cndmask_b32_e64 v8, 0, 1, s1
	s_wait_dscnt 0x4
	v_cmp_gt_i32_e64 s1, v4, v13
	v_add_co_ci_u32_e64 v2, null, v2, v6, vcc_lo
	s_delay_alu instid0(VALU_DEP_2) | instskip(SKIP_3) | instid1(VALU_DEP_2)
	v_cndmask_b32_e64 v10, 0, 1, s1
	v_cmp_gt_i32_e64 s1, v4, v12
	s_wait_dscnt 0x2
	v_cmp_gt_i32_e32 vcc_lo, v4, v16
	v_cndmask_b32_e64 v11, 0, 1, s1
	v_cmp_gt_i32_e64 s1, v4, v14
	v_add_co_ci_u32_e64 v2, null, v2, v7, vcc_lo
	s_wait_dscnt 0x1
	v_cmp_gt_i32_e32 vcc_lo, v4, v18
	s_delay_alu instid0(VALU_DEP_3) | instskip(SKIP_4) | instid1(VALU_DEP_3)
	v_cndmask_b32_e64 v12, 0, 1, s1
	v_cmp_gt_i32_e64 s1, v4, v15
	v_add_co_ci_u32_e64 v2, null, v2, v11, vcc_lo
	s_wait_dscnt 0x0
	v_cmp_gt_i32_e32 vcc_lo, v4, v20
	v_cndmask_b32_e64 v13, 0, 1, s1
	v_cmp_gt_i32_e64 s1, v4, v9
	v_add_co_ci_u32_e64 v2, null, v2, v12, vcc_lo
	s_delay_alu instid0(VALU_DEP_2) | instskip(SKIP_1) | instid1(VALU_DEP_1)
	v_add_co_ci_u32_e64 v3, null, v3, v5, s1
	v_cmp_gt_i32_e64 s1, v4, v17
	v_add_co_ci_u32_e64 v3, null, v3, v8, s1
	v_cmp_gt_i32_e64 s1, v4, v19
	s_delay_alu instid0(VALU_DEP_1) | instskip(SKIP_1) | instid1(VALU_DEP_1)
	v_add_co_ci_u32_e64 v3, null, v3, v10, s1
	v_cmp_gt_i32_e64 s1, v4, v21
	v_add_co_ci_u32_e64 v3, null, v3, v13, s1
	s_cbranch_scc1 .LBB73_81
.LBB73_82:                              ;   in Loop: Header=BB73_78 Depth=1
	s_and_not1_b32 vcc_lo, exec_lo, s8
	s_cbranch_vccnz .LBB73_85
; %bb.83:                               ;   in Loop: Header=BB73_78 Depth=1
	s_lshl_b32 s1, s12, 2
	s_mov_b32 s12, s10
	s_add_co_i32 s1, s1, 0
.LBB73_84:                              ;   Parent Loop BB73_78 Depth=1
                                        ; =>  This Inner Loop Header: Depth=2
	s_delay_alu instid0(SALU_CYCLE_1)
	v_mov_b32_e32 v5, s1
	s_add_co_i32 s12, s12, -8
	s_add_co_i32 s1, s1, 8
	s_cmp_lg_u32 s12, 0
	ds_load_2addr_b32 v[6:7], v5 offset1:1
	s_wait_dscnt 0x0
	v_cmp_gt_i32_e32 vcc_lo, v4, v7
	v_add_co_ci_u32_e64 v3, null, 0, v3, vcc_lo
	v_cmp_gt_i32_e32 vcc_lo, v4, v6
	v_add_co_ci_u32_e64 v2, null, 0, v2, vcc_lo
	s_cbranch_scc1 .LBB73_84
.LBB73_85:                              ;   in Loop: Header=BB73_78 Depth=1
	s_delay_alu instid0(VALU_DEP_1)
	v_add_nc_u32_e32 v2, v2, v3
	s_mov_b32 s1, s5
	s_mov_b32 s12, s9
.LBB73_86:                              ;   in Loop: Header=BB73_78 Depth=1
	s_delay_alu instid0(SALU_CYCLE_1)
	s_and_b32 vcc_lo, exec_lo, s12
	s_cbranch_vccz .LBB73_77
; %bb.87:                               ;   in Loop: Header=BB73_78 Depth=1
	s_lshl_b32 s12, s1, 2
	s_delay_alu instid0(SALU_CYCLE_1)
	s_add_co_i32 s12, s12, 0
.LBB73_88:                              ;   Parent Loop BB73_78 Depth=1
                                        ; =>  This Inner Loop Header: Depth=2
	s_delay_alu instid0(SALU_CYCLE_1)
	v_mov_b32_e32 v3, s12
	s_add_co_i32 s1, s1, 1
	s_add_co_i32 s12, s12, 4
	s_cmp_ge_i32 s1, s4
	ds_load_b32 v3, v3
	s_wait_dscnt 0x0
	v_cmp_gt_i32_e32 vcc_lo, v4, v3
	v_add_co_ci_u32_e64 v2, null, 0, v2, vcc_lo
	s_cbranch_scc0 .LBB73_88
	s_branch .LBB73_77
.LBB73_89:
	s_endpgm
	.section	.rodata,"a",@progbits
	.p2align	6, 0x0
	.amdhsa_kernel _ZN9rocsparseL41csrgemm_numeric_fill_block_per_row_kernelILj1024ELj64ELj8192ELj137ELj64Eii21rocsparse_complex_numIdEEEvT5_PKS3_S5_NS_24const_host_device_scalarIT6_EEPKT4_S5_PKS7_SB_S5_SD_S8_SB_S5_SD_SB_S5_PS7_21rocsparse_index_base_SF_SF_SF_bbb
		.amdhsa_group_segment_fixed_size 0
		.amdhsa_private_segment_fixed_size 40
		.amdhsa_kernarg_size 172
		.amdhsa_user_sgpr_count 2
		.amdhsa_user_sgpr_dispatch_ptr 0
		.amdhsa_user_sgpr_queue_ptr 0
		.amdhsa_user_sgpr_kernarg_segment_ptr 1
		.amdhsa_user_sgpr_dispatch_id 0
		.amdhsa_user_sgpr_kernarg_preload_length 0
		.amdhsa_user_sgpr_kernarg_preload_offset 0
		.amdhsa_user_sgpr_private_segment_size 0
		.amdhsa_wavefront_size32 1
		.amdhsa_uses_dynamic_stack 0
		.amdhsa_enable_private_segment 1
		.amdhsa_system_sgpr_workgroup_id_x 1
		.amdhsa_system_sgpr_workgroup_id_y 0
		.amdhsa_system_sgpr_workgroup_id_z 0
		.amdhsa_system_sgpr_workgroup_info 0
		.amdhsa_system_vgpr_workitem_id 0
		.amdhsa_next_free_vgpr 29
		.amdhsa_next_free_sgpr 42
		.amdhsa_named_barrier_count 0
		.amdhsa_reserve_vcc 1
		.amdhsa_float_round_mode_32 0
		.amdhsa_float_round_mode_16_64 0
		.amdhsa_float_denorm_mode_32 3
		.amdhsa_float_denorm_mode_16_64 3
		.amdhsa_fp16_overflow 0
		.amdhsa_memory_ordered 1
		.amdhsa_forward_progress 1
		.amdhsa_inst_pref_size 33
		.amdhsa_round_robin_scheduling 0
		.amdhsa_exception_fp_ieee_invalid_op 0
		.amdhsa_exception_fp_denorm_src 0
		.amdhsa_exception_fp_ieee_div_zero 0
		.amdhsa_exception_fp_ieee_overflow 0
		.amdhsa_exception_fp_ieee_underflow 0
		.amdhsa_exception_fp_ieee_inexact 0
		.amdhsa_exception_int_div_zero 0
	.end_amdhsa_kernel
	.section	.text._ZN9rocsparseL41csrgemm_numeric_fill_block_per_row_kernelILj1024ELj64ELj8192ELj137ELj64Eii21rocsparse_complex_numIdEEEvT5_PKS3_S5_NS_24const_host_device_scalarIT6_EEPKT4_S5_PKS7_SB_S5_SD_S8_SB_S5_SD_SB_S5_PS7_21rocsparse_index_base_SF_SF_SF_bbb,"axG",@progbits,_ZN9rocsparseL41csrgemm_numeric_fill_block_per_row_kernelILj1024ELj64ELj8192ELj137ELj64Eii21rocsparse_complex_numIdEEEvT5_PKS3_S5_NS_24const_host_device_scalarIT6_EEPKT4_S5_PKS7_SB_S5_SD_S8_SB_S5_SD_SB_S5_PS7_21rocsparse_index_base_SF_SF_SF_bbb,comdat
.Lfunc_end73:
	.size	_ZN9rocsparseL41csrgemm_numeric_fill_block_per_row_kernelILj1024ELj64ELj8192ELj137ELj64Eii21rocsparse_complex_numIdEEEvT5_PKS3_S5_NS_24const_host_device_scalarIT6_EEPKT4_S5_PKS7_SB_S5_SD_S8_SB_S5_SD_SB_S5_PS7_21rocsparse_index_base_SF_SF_SF_bbb, .Lfunc_end73-_ZN9rocsparseL41csrgemm_numeric_fill_block_per_row_kernelILj1024ELj64ELj8192ELj137ELj64Eii21rocsparse_complex_numIdEEEvT5_PKS3_S5_NS_24const_host_device_scalarIT6_EEPKT4_S5_PKS7_SB_S5_SD_S8_SB_S5_SD_SB_S5_PS7_21rocsparse_index_base_SF_SF_SF_bbb
                                        ; -- End function
	.set _ZN9rocsparseL41csrgemm_numeric_fill_block_per_row_kernelILj1024ELj64ELj8192ELj137ELj64Eii21rocsparse_complex_numIdEEEvT5_PKS3_S5_NS_24const_host_device_scalarIT6_EEPKT4_S5_PKS7_SB_S5_SD_S8_SB_S5_SD_SB_S5_PS7_21rocsparse_index_base_SF_SF_SF_bbb.num_vgpr, 29
	.set _ZN9rocsparseL41csrgemm_numeric_fill_block_per_row_kernelILj1024ELj64ELj8192ELj137ELj64Eii21rocsparse_complex_numIdEEEvT5_PKS3_S5_NS_24const_host_device_scalarIT6_EEPKT4_S5_PKS7_SB_S5_SD_S8_SB_S5_SD_SB_S5_PS7_21rocsparse_index_base_SF_SF_SF_bbb.num_agpr, 0
	.set _ZN9rocsparseL41csrgemm_numeric_fill_block_per_row_kernelILj1024ELj64ELj8192ELj137ELj64Eii21rocsparse_complex_numIdEEEvT5_PKS3_S5_NS_24const_host_device_scalarIT6_EEPKT4_S5_PKS7_SB_S5_SD_S8_SB_S5_SD_SB_S5_PS7_21rocsparse_index_base_SF_SF_SF_bbb.numbered_sgpr, 42
	.set _ZN9rocsparseL41csrgemm_numeric_fill_block_per_row_kernelILj1024ELj64ELj8192ELj137ELj64Eii21rocsparse_complex_numIdEEEvT5_PKS3_S5_NS_24const_host_device_scalarIT6_EEPKT4_S5_PKS7_SB_S5_SD_S8_SB_S5_SD_SB_S5_PS7_21rocsparse_index_base_SF_SF_SF_bbb.num_named_barrier, 0
	.set _ZN9rocsparseL41csrgemm_numeric_fill_block_per_row_kernelILj1024ELj64ELj8192ELj137ELj64Eii21rocsparse_complex_numIdEEEvT5_PKS3_S5_NS_24const_host_device_scalarIT6_EEPKT4_S5_PKS7_SB_S5_SD_S8_SB_S5_SD_SB_S5_PS7_21rocsparse_index_base_SF_SF_SF_bbb.private_seg_size, 40
	.set _ZN9rocsparseL41csrgemm_numeric_fill_block_per_row_kernelILj1024ELj64ELj8192ELj137ELj64Eii21rocsparse_complex_numIdEEEvT5_PKS3_S5_NS_24const_host_device_scalarIT6_EEPKT4_S5_PKS7_SB_S5_SD_S8_SB_S5_SD_SB_S5_PS7_21rocsparse_index_base_SF_SF_SF_bbb.uses_vcc, 1
	.set _ZN9rocsparseL41csrgemm_numeric_fill_block_per_row_kernelILj1024ELj64ELj8192ELj137ELj64Eii21rocsparse_complex_numIdEEEvT5_PKS3_S5_NS_24const_host_device_scalarIT6_EEPKT4_S5_PKS7_SB_S5_SD_S8_SB_S5_SD_SB_S5_PS7_21rocsparse_index_base_SF_SF_SF_bbb.uses_flat_scratch, 1
	.set _ZN9rocsparseL41csrgemm_numeric_fill_block_per_row_kernelILj1024ELj64ELj8192ELj137ELj64Eii21rocsparse_complex_numIdEEEvT5_PKS3_S5_NS_24const_host_device_scalarIT6_EEPKT4_S5_PKS7_SB_S5_SD_S8_SB_S5_SD_SB_S5_PS7_21rocsparse_index_base_SF_SF_SF_bbb.has_dyn_sized_stack, 0
	.set _ZN9rocsparseL41csrgemm_numeric_fill_block_per_row_kernelILj1024ELj64ELj8192ELj137ELj64Eii21rocsparse_complex_numIdEEEvT5_PKS3_S5_NS_24const_host_device_scalarIT6_EEPKT4_S5_PKS7_SB_S5_SD_S8_SB_S5_SD_SB_S5_PS7_21rocsparse_index_base_SF_SF_SF_bbb.has_recursion, 0
	.set _ZN9rocsparseL41csrgemm_numeric_fill_block_per_row_kernelILj1024ELj64ELj8192ELj137ELj64Eii21rocsparse_complex_numIdEEEvT5_PKS3_S5_NS_24const_host_device_scalarIT6_EEPKT4_S5_PKS7_SB_S5_SD_S8_SB_S5_SD_SB_S5_PS7_21rocsparse_index_base_SF_SF_SF_bbb.has_indirect_call, 0
	.section	.AMDGPU.csdata,"",@progbits
; Kernel info:
; codeLenInByte = 4108
; TotalNumSgprs: 44
; NumVgprs: 29
; ScratchSize: 40
; MemoryBound: 0
; FloatMode: 240
; IeeeMode: 1
; LDSByteSize: 0 bytes/workgroup (compile time only)
; SGPRBlocks: 0
; VGPRBlocks: 1
; NumSGPRsForWavesPerEU: 44
; NumVGPRsForWavesPerEU: 29
; NamedBarCnt: 0
; Occupancy: 16
; WaveLimiterHint : 1
; COMPUTE_PGM_RSRC2:SCRATCH_EN: 1
; COMPUTE_PGM_RSRC2:USER_SGPR: 2
; COMPUTE_PGM_RSRC2:TRAP_HANDLER: 0
; COMPUTE_PGM_RSRC2:TGID_X_EN: 1
; COMPUTE_PGM_RSRC2:TGID_Y_EN: 0
; COMPUTE_PGM_RSRC2:TGID_Z_EN: 0
; COMPUTE_PGM_RSRC2:TIDIG_COMP_CNT: 0
	.section	.text._ZN9rocsparseL41csrgemm_numeric_fill_block_per_row_kernelILj1024ELj64ELj16384ELj137ELj32Eii21rocsparse_complex_numIdEEEvT5_PKS3_S5_NS_24const_host_device_scalarIT6_EEPKT4_S5_PKS7_SB_S5_SD_S8_SB_S5_SD_SB_S5_PS7_21rocsparse_index_base_SF_SF_SF_bbb,"axG",@progbits,_ZN9rocsparseL41csrgemm_numeric_fill_block_per_row_kernelILj1024ELj64ELj16384ELj137ELj32Eii21rocsparse_complex_numIdEEEvT5_PKS3_S5_NS_24const_host_device_scalarIT6_EEPKT4_S5_PKS7_SB_S5_SD_S8_SB_S5_SD_SB_S5_PS7_21rocsparse_index_base_SF_SF_SF_bbb,comdat
	.globl	_ZN9rocsparseL41csrgemm_numeric_fill_block_per_row_kernelILj1024ELj64ELj16384ELj137ELj32Eii21rocsparse_complex_numIdEEEvT5_PKS3_S5_NS_24const_host_device_scalarIT6_EEPKT4_S5_PKS7_SB_S5_SD_S8_SB_S5_SD_SB_S5_PS7_21rocsparse_index_base_SF_SF_SF_bbb ; -- Begin function _ZN9rocsparseL41csrgemm_numeric_fill_block_per_row_kernelILj1024ELj64ELj16384ELj137ELj32Eii21rocsparse_complex_numIdEEEvT5_PKS3_S5_NS_24const_host_device_scalarIT6_EEPKT4_S5_PKS7_SB_S5_SD_S8_SB_S5_SD_SB_S5_PS7_21rocsparse_index_base_SF_SF_SF_bbb
	.p2align	8
	.type	_ZN9rocsparseL41csrgemm_numeric_fill_block_per_row_kernelILj1024ELj64ELj16384ELj137ELj32Eii21rocsparse_complex_numIdEEEvT5_PKS3_S5_NS_24const_host_device_scalarIT6_EEPKT4_S5_PKS7_SB_S5_SD_S8_SB_S5_SD_SB_S5_PS7_21rocsparse_index_base_SF_SF_SF_bbb,@function
_ZN9rocsparseL41csrgemm_numeric_fill_block_per_row_kernelILj1024ELj64ELj16384ELj137ELj32Eii21rocsparse_complex_numIdEEEvT5_PKS3_S5_NS_24const_host_device_scalarIT6_EEPKT4_S5_PKS7_SB_S5_SD_S8_SB_S5_SD_SB_S5_PS7_21rocsparse_index_base_SF_SF_SF_bbb: ; @_ZN9rocsparseL41csrgemm_numeric_fill_block_per_row_kernelILj1024ELj64ELj16384ELj137ELj32Eii21rocsparse_complex_numIdEEEvT5_PKS3_S5_NS_24const_host_device_scalarIT6_EEPKT4_S5_PKS7_SB_S5_SD_S8_SB_S5_SD_SB_S5_PS7_21rocsparse_index_base_SF_SF_SF_bbb
; %bb.0:
	s_clause 0x3
	s_load_b32 s3, s[0:1], 0xa8
	s_load_b128 s[4:7], s[0:1], 0x18
	s_load_b128 s[12:15], s[0:1], 0x58
	;; [unrolled: 1-line block ×3, first 2 shown]
	v_mov_b64_e32 v[6:7], 0
	v_mov_b64_e32 v[10:11], 0
	;; [unrolled: 1-line block ×3, first 2 shown]
	v_mbcnt_lo_u32_b32 v21, -1, 0
	s_wait_kmcnt 0x0
	s_bitcmp1_b32 s3, 0
	v_mov_b64_e32 v[2:3], s[4:5]
	s_cselect_b32 s25, -1, 0
	s_bitcmp1_b32 s3, 16
	v_mov_b64_e32 v[4:5], s[12:13]
	s_cselect_b32 s2, -1, 0
	s_clause 0x1
	scratch_store_b64 off, v[2:3], off offset:16
	scratch_store_b64 off, v[4:5], off offset:24
	s_xor_b32 s22, s2, -1
	s_bitcmp0_b32 s3, 0
	v_cndmask_b32_e64 v1, 0, 1, s22
	s_delay_alu instid0(VALU_DEP_1)
	v_cmp_ne_u32_e32 vcc_lo, 1, v1
	s_cbranch_scc1 .LBB74_3
; %bb.1:
	s_wait_xcnt 0x1
	v_dual_mov_b32 v2, 16 :: v_dual_lshlrev_b32 v3, 20, v21
	v_mov_b64_e32 v[12:13], s[6:7]
	s_and_b32 vcc_lo, exec_lo, vcc_lo
	s_delay_alu instid0(VALU_DEP_2) | instskip(NEXT) | instid1(VALU_DEP_1)
	v_add_nc_u64_e32 v[2:3], src_flat_scratch_base_lo, v[2:3]
	v_cndmask_b32_e64 v3, s5, v3, s2
	s_delay_alu instid0(VALU_DEP_2)
	v_cndmask_b32_e64 v2, s4, v2, s2
	flat_load_b64 v[10:11], v[2:3]
	s_cbranch_vccnz .LBB74_3
; %bb.2:
	v_mov_b32_e32 v1, 0
	flat_load_b64 v[12:13], v1, s[4:5] offset:8
.LBB74_3:
	s_clause 0x4
	s_load_b64 s[34:35], s[0:1], 0x90
	s_load_b128 s[4:7], s[0:1], 0x70
	s_load_b128 s[8:11], s[0:1], 0x48
	;; [unrolled: 1-line block ×3, first 2 shown]
	s_load_b64 s[20:21], s[0:1], 0x30
	v_mov_b64_e32 v[8:9], 0
	s_bitcmp1_b32 s3, 8
	s_cselect_b32 s24, -1, 0
	s_bfe_u32 s3, s3, 0x10008
	s_delay_alu instid0(SALU_CYCLE_1)
	s_cmp_eq_u32 s3, 0
	s_cbranch_scc1 .LBB74_6
; %bb.4:
	v_dual_mov_b32 v2, 24 :: v_dual_lshlrev_b32 v3, 20, v21
	v_mov_b64_e32 v[6:7], s[14:15]
	s_and_not1_b32 vcc_lo, exec_lo, s22
	s_delay_alu instid0(VALU_DEP_2) | instskip(NEXT) | instid1(VALU_DEP_1)
	v_add_nc_u64_e32 v[2:3], src_flat_scratch_base_lo, v[2:3]
	v_cndmask_b32_e64 v3, s13, v3, s2
	s_delay_alu instid0(VALU_DEP_2)
	v_cndmask_b32_e64 v2, s12, v2, s2
	flat_load_b64 v[8:9], v[2:3]
	s_cbranch_vccnz .LBB74_6
; %bb.5:
	v_mov_b32_e32 v1, 0
	flat_load_b64 v[6:7], v1, s[12:13] offset:8
.LBB74_6:
	s_clause 0x4
	s_load_b32 s33, s[0:1], 0x0
	s_load_b64 s[22:23], s[0:1], 0x28
	s_load_b64 s[40:41], s[0:1], 0x80
	s_load_b64 s[2:3], s[0:1], 0x68
	s_load_b128 s[12:15], s[0:1], 0x38
	s_wait_xcnt 0x0
	s_mov_b32 s0, 0
	v_or_b32_e32 v1, 0xfffffc00, v0
	v_lshl_add_u32 v20, v0, 2, 0
	v_lshlrev_b32_e32 v22, 4, v0
	s_mov_b32 s1, s0
	s_mov_b32 s26, s0
	;; [unrolled: 1-line block ×3, first 2 shown]
	v_mov_b64_e32 v[2:3], s[0:1]
	v_mov_b64_e32 v[4:5], s[26:27]
	v_mov_b32_e32 v15, v20
	v_add3_u32 v14, v22, 0, 0x10008
	s_wait_kmcnt 0x0
	v_dual_mov_b32 v17, v1 :: v_dual_mov_b32 v16, s33
.LBB74_7:                               ; =>This Inner Loop Header: Depth=1
	s_delay_alu instid0(VALU_DEP_1)
	v_add_nc_u32_e32 v17, 0x400, v17
	ds_store_b32 v15, v16
	v_add_nc_u32_e32 v18, -8, v14
	v_add_nc_u32_e32 v14, 0x4000, v14
	v_add_nc_u32_e32 v15, 0x1000, v15
	v_cmp_lt_u32_e32 vcc_lo, 0x3bff, v17
	ds_store_2addr_b64 v18, v[2:3], v[4:5] offset1:1
	s_or_b32 s0, vcc_lo, s0
	s_delay_alu instid0(SALU_CYCLE_1)
	s_and_not1_b32 exec_lo, exec_lo, s0
	s_cbranch_execnz .LBB74_7
; %bb.8:
	s_or_b32 exec_lo, exec_lo, s0
	s_wait_storecnt 0x0
	s_wait_loadcnt_dscnt 0x0
	s_barrier_signal -1
	s_barrier_wait -1
	s_load_b32 s0, s[16:17], 0x0
	s_bfe_u32 s1, ttmp6, 0x4000c
	s_wait_xcnt 0x0
	s_and_b32 s16, ttmp6, 15
	s_add_co_i32 s1, s1, 1
	s_getreg_b32 s17, hwreg(HW_REG_IB_STS2, 6, 4)
	s_mul_i32 s1, ttmp9, s1
	s_delay_alu instid0(SALU_CYCLE_1)
	s_add_co_i32 s16, s16, s1
	s_cmp_eq_u32 s17, 0
	s_cselect_b32 s1, ttmp9, s16
	s_and_b32 vcc_lo, exec_lo, s25
	s_wait_kmcnt 0x0
	s_add_co_i32 s0, s0, s1
	s_load_b32 s42, s[18:19], s0 offset:0x0 scale_offset
	s_cbranch_vccz .LBB74_26
; %bb.9:
	s_wait_kmcnt 0x0
	s_ashr_i32 s43, s42, 31
	v_lshrrev_b32_e32 v2, 6, v0
	s_lshl_b64 s[0:1], s[42:43], 2
	s_delay_alu instid0(SALU_CYCLE_1) | instskip(NEXT) | instid1(VALU_DEP_1)
	s_add_nc_u64 s[0:1], s[22:23], s[0:1]
	v_subrev_nc_u32_e32 v2, s36, v2
	s_load_b64 s[16:17], s[0:1], 0x0
	s_wait_xcnt 0x0
	s_mov_b32 s1, exec_lo
	s_wait_kmcnt 0x0
	v_add_nc_u32_e32 v14, s16, v2
	s_sub_co_i32 s0, s17, s36
	s_delay_alu instid0(VALU_DEP_1) | instid1(SALU_CYCLE_1)
	v_cmpx_gt_i32_e64 s0, v14
	s_cbranch_execz .LBB74_25
; %bb.10:
	v_and_b32_e32 v2, 63, v0
	s_mov_b32 s16, 0
	s_delay_alu instid0(VALU_DEP_1)
	v_subrev_nc_u32_e32 v23, s37, v2
	s_branch .LBB74_12
.LBB74_11:                              ;   in Loop: Header=BB74_12 Depth=1
	s_or_b32 exec_lo, exec_lo, s17
	v_add_nc_u32_e32 v14, 16, v14
	s_delay_alu instid0(VALU_DEP_1) | instskip(SKIP_1) | instid1(SALU_CYCLE_1)
	v_cmp_le_i32_e32 vcc_lo, s0, v14
	s_or_b32 s16, vcc_lo, s16
	s_and_not1_b32 exec_lo, exec_lo, s16
	s_cbranch_execz .LBB74_25
.LBB74_12:                              ; =>This Loop Header: Depth=1
                                        ;     Child Loop BB74_16 Depth 2
                                        ;       Child Loop BB74_19 Depth 3
	global_load_b32 v2, v14, s[20:21] scale_offset
	s_mov_b32 s17, exec_lo
	s_wait_loadcnt 0x0
	v_subrev_nc_u32_e32 v2, s36, v2
	s_delay_alu instid0(VALU_DEP_1) | instskip(NEXT) | instid1(VALU_DEP_1)
	v_ashrrev_i32_e32 v3, 31, v2
	v_lshl_add_u64 v[2:3], v[2:3], 2, s[14:15]
	global_load_b64 v[2:3], v[2:3], off
	s_wait_loadcnt 0x0
	v_subrev_nc_u32_e32 v24, s37, v3
	v_add_nc_u32_e32 v25, v2, v23
	s_wait_xcnt 0x0
	s_delay_alu instid0(VALU_DEP_1)
	v_cmpx_lt_i32_e64 v25, v24
	s_cbranch_execz .LBB74_11
; %bb.13:                               ;   in Loop: Header=BB74_12 Depth=1
	v_ashrrev_i32_e32 v15, 31, v14
	s_mov_b32 s18, 0
	s_delay_alu instid0(VALU_DEP_1) | instskip(SKIP_4) | instid1(VALU_DEP_2)
	v_lshl_add_u64 v[2:3], v[14:15], 4, s[12:13]
	global_load_b128 v[2:5], v[2:3], off
	s_wait_loadcnt 0x0
	v_mul_f64_e64 v[16:17], v[4:5], -v[12:13]
	v_mul_f64_e32 v[18:19], v[10:11], v[4:5]
	v_fmac_f64_e32 v[16:17], v[10:11], v[2:3]
	s_delay_alu instid0(VALU_DEP_2)
	v_fmac_f64_e32 v[18:19], v[12:13], v[2:3]
	s_branch .LBB74_16
.LBB74_14:                              ;   in Loop: Header=BB74_16 Depth=2
	s_or_b32 exec_lo, exec_lo, s22
.LBB74_15:                              ;   in Loop: Header=BB74_16 Depth=2
	s_delay_alu instid0(SALU_CYCLE_1) | instskip(SKIP_3) | instid1(VALU_DEP_2)
	s_or_b32 exec_lo, exec_lo, s19
	s_wait_loadcnt 0x0
	v_dual_mul_f64 v[26:27], v[4:5], -v[18:19] :: v_dual_add_nc_u32 v25, 64, v25
	v_mul_f64_e32 v[4:5], v[16:17], v[4:5]
	v_cmp_ge_i32_e32 vcc_lo, v25, v24
	s_or_b32 s18, vcc_lo, s18
	s_delay_alu instid0(VALU_DEP_3) | instskip(NEXT) | instid1(VALU_DEP_3)
	v_fmac_f64_e32 v[26:27], v[16:17], v[2:3]
	v_fmac_f64_e32 v[4:5], v[18:19], v[2:3]
	v_lshlrev_b32_e32 v2, 4, v15
	s_delay_alu instid0(VALU_DEP_1)
	v_add3_u32 v2, 0, v2, 0x10000
	ds_add_f64 v2, v[26:27]
	ds_add_f64 v2, v[4:5] offset:8
	s_and_not1_b32 exec_lo, exec_lo, s18
	s_cbranch_execz .LBB74_11
.LBB74_16:                              ;   Parent Loop BB74_12 Depth=1
                                        ; =>  This Loop Header: Depth=2
                                        ;       Child Loop BB74_19 Depth 3
	s_clause 0x1
	global_load_b32 v15, v25, s[8:9] scale_offset
	global_load_b128 v[2:5], v25, s[10:11] scale_offset
	s_mov_b32 s19, exec_lo
	s_wait_loadcnt 0x1
	v_subrev_nc_u32_e32 v26, s37, v15
	s_delay_alu instid0(VALU_DEP_1) | instskip(NEXT) | instid1(VALU_DEP_1)
	v_mul_lo_u32 v15, 0x89, v26
	v_and_b32_e32 v15, 0x3fff, v15
	s_delay_alu instid0(VALU_DEP_1)
	v_lshl_add_u32 v27, v15, 2, 0
	ds_load_b32 v28, v27
	s_wait_dscnt 0x0
	s_wait_xcnt 0x0
	v_cmpx_ne_u32_e64 v28, v26
	s_cbranch_execz .LBB74_15
; %bb.17:                               ;   in Loop: Header=BB74_16 Depth=2
	s_mov_b32 s22, 0
	s_branch .LBB74_19
.LBB74_18:                              ;   in Loop: Header=BB74_19 Depth=3
	s_or_b32 exec_lo, exec_lo, s26
	s_delay_alu instid0(SALU_CYCLE_1) | instskip(NEXT) | instid1(SALU_CYCLE_1)
	s_and_b32 s23, exec_lo, s25
	s_or_b32 s22, s23, s22
	s_delay_alu instid0(SALU_CYCLE_1)
	s_and_not1_b32 exec_lo, exec_lo, s22
	s_cbranch_execz .LBB74_14
.LBB74_19:                              ;   Parent Loop BB74_12 Depth=1
                                        ;     Parent Loop BB74_16 Depth=2
                                        ; =>    This Inner Loop Header: Depth=3
	s_mov_b32 s23, 0
	s_mov_b32 s25, exec_lo
	v_cmpx_ne_u32_e64 s33, v28
	s_xor_b32 s25, exec_lo, s25
	s_cbranch_execz .LBB74_21
; %bb.20:                               ;   in Loop: Header=BB74_19 Depth=3
	v_add_nc_u32_e32 v15, 1, v15
	s_mov_b32 s23, exec_lo
                                        ; implicit-def: $vgpr27
	s_delay_alu instid0(VALU_DEP_1)
	v_and_b32_e32 v15, 0x3fff, v15
	s_and_not1_saveexec_b32 s25, s25
	s_cbranch_execz .LBB74_23
	s_branch .LBB74_22
.LBB74_21:                              ;   in Loop: Header=BB74_19 Depth=3
	s_and_not1_saveexec_b32 s25, s25
	s_cbranch_execz .LBB74_23
.LBB74_22:                              ;   in Loop: Header=BB74_19 Depth=3
	v_mov_b32_e32 v28, s33
	s_and_not1_b32 s23, s23, exec_lo
	ds_cmpstore_rtn_b32 v27, v27, v26, v28
	s_wait_dscnt 0x0
	v_cmp_ne_u32_e32 vcc_lo, s33, v27
	s_and_b32 s26, vcc_lo, exec_lo
	s_delay_alu instid0(SALU_CYCLE_1)
	s_or_b32 s23, s23, s26
.LBB74_23:                              ;   in Loop: Header=BB74_19 Depth=3
	s_or_b32 exec_lo, exec_lo, s25
	s_mov_b32 s25, -1
                                        ; implicit-def: $vgpr27
                                        ; implicit-def: $vgpr28
	s_and_saveexec_b32 s26, s23
	s_cbranch_execz .LBB74_18
; %bb.24:                               ;   in Loop: Header=BB74_19 Depth=3
	v_lshl_add_u32 v27, v15, 2, 0
	ds_load_b32 v28, v27
	s_wait_dscnt 0x0
	v_cmp_eq_u32_e32 vcc_lo, v28, v26
	s_or_not1_b32 s25, vcc_lo, exec_lo
	s_branch .LBB74_18
.LBB74_25:
	s_or_b32 exec_lo, exec_lo, s1
.LBB74_26:
	s_delay_alu instid0(SALU_CYCLE_1)
	s_and_not1_b32 vcc_lo, exec_lo, s24
	s_cbranch_vccnz .LBB74_41
; %bb.27:
	s_wait_kmcnt 0x0
	s_ashr_i32 s43, s42, 31
	v_subrev_nc_u32_e32 v2, s39, v0
	s_lshl_b64 s[0:1], s[42:43], 2
	s_delay_alu instid0(SALU_CYCLE_1)
	s_add_nc_u64 s[0:1], s[2:3], s[0:1]
	s_load_b64 s[2:3], s[0:1], 0x0
	s_wait_xcnt 0x0
	s_mov_b32 s1, exec_lo
	s_wait_kmcnt 0x0
	v_add_nc_u32_e32 v10, s2, v2
	s_sub_co_i32 s0, s3, s39
	s_delay_alu instid0(VALU_DEP_1) | instid1(SALU_CYCLE_1)
	v_cmpx_gt_i32_e64 s0, v10
	s_cbranch_execz .LBB74_40
; %bb.28:
	s_mov_b32 s2, 0
	s_branch .LBB74_31
.LBB74_29:                              ;   in Loop: Header=BB74_31 Depth=1
	s_or_b32 exec_lo, exec_lo, s8
.LBB74_30:                              ;   in Loop: Header=BB74_31 Depth=1
	s_delay_alu instid0(SALU_CYCLE_1) | instskip(SKIP_4) | instid1(VALU_DEP_1)
	s_or_b32 exec_lo, exec_lo, s3
	s_wait_loadcnt 0x0
	v_mul_f64_e64 v[12:13], v[4:5], -v[6:7]
	v_mul_f64_e32 v[4:5], v[8:9], v[4:5]
	v_add_nc_u32_e32 v10, 0x400, v10
	v_cmp_le_i32_e32 vcc_lo, s0, v10
	s_or_b32 s2, vcc_lo, s2
	s_delay_alu instid0(VALU_DEP_4) | instskip(NEXT) | instid1(VALU_DEP_4)
	v_fmac_f64_e32 v[12:13], v[8:9], v[2:3]
	v_fmac_f64_e32 v[4:5], v[6:7], v[2:3]
	v_lshlrev_b32_e32 v2, 4, v11
	s_delay_alu instid0(VALU_DEP_1)
	v_add3_u32 v2, 0, v2, 0x10000
	ds_add_f64 v2, v[12:13]
	ds_add_f64 v2, v[4:5] offset:8
	s_and_not1_b32 exec_lo, exec_lo, s2
	s_cbranch_execz .LBB74_40
.LBB74_31:                              ; =>This Loop Header: Depth=1
                                        ;     Child Loop BB74_34 Depth 2
	s_clause 0x1
	global_load_b32 v11, v10, s[4:5] scale_offset
	global_load_b128 v[2:5], v10, s[6:7] scale_offset
	s_mov_b32 s3, exec_lo
	s_wait_loadcnt 0x1
	v_subrev_nc_u32_e32 v12, s39, v11
	s_delay_alu instid0(VALU_DEP_1) | instskip(NEXT) | instid1(VALU_DEP_1)
	v_mul_lo_u32 v11, 0x89, v12
	v_and_b32_e32 v11, 0x3fff, v11
	s_delay_alu instid0(VALU_DEP_1)
	v_lshl_add_u32 v13, v11, 2, 0
	ds_load_b32 v14, v13
	s_wait_dscnt 0x0
	s_wait_xcnt 0x0
	v_cmpx_ne_u32_e64 v14, v12
	s_cbranch_execz .LBB74_30
; %bb.32:                               ;   in Loop: Header=BB74_31 Depth=1
	s_mov_b32 s8, 0
	s_branch .LBB74_34
.LBB74_33:                              ;   in Loop: Header=BB74_34 Depth=2
	s_or_b32 exec_lo, exec_lo, s11
	s_delay_alu instid0(SALU_CYCLE_1) | instskip(NEXT) | instid1(SALU_CYCLE_1)
	s_and_b32 s9, exec_lo, s10
	s_or_b32 s8, s9, s8
	s_delay_alu instid0(SALU_CYCLE_1)
	s_and_not1_b32 exec_lo, exec_lo, s8
	s_cbranch_execz .LBB74_29
.LBB74_34:                              ;   Parent Loop BB74_31 Depth=1
                                        ; =>  This Inner Loop Header: Depth=2
	s_mov_b32 s9, 0
	s_mov_b32 s10, exec_lo
	v_cmpx_ne_u32_e64 s33, v14
	s_xor_b32 s10, exec_lo, s10
	s_cbranch_execz .LBB74_36
; %bb.35:                               ;   in Loop: Header=BB74_34 Depth=2
	v_add_nc_u32_e32 v11, 1, v11
	s_mov_b32 s9, exec_lo
                                        ; implicit-def: $vgpr13
	s_delay_alu instid0(VALU_DEP_1)
	v_and_b32_e32 v11, 0x3fff, v11
	s_and_not1_saveexec_b32 s10, s10
	s_cbranch_execz .LBB74_38
	s_branch .LBB74_37
.LBB74_36:                              ;   in Loop: Header=BB74_34 Depth=2
	s_and_not1_saveexec_b32 s10, s10
	s_cbranch_execz .LBB74_38
.LBB74_37:                              ;   in Loop: Header=BB74_34 Depth=2
	v_mov_b32_e32 v14, s33
	s_and_not1_b32 s9, s9, exec_lo
	ds_cmpstore_rtn_b32 v13, v13, v12, v14
	s_wait_dscnt 0x0
	v_cmp_ne_u32_e32 vcc_lo, s33, v13
	s_and_b32 s11, vcc_lo, exec_lo
	s_delay_alu instid0(SALU_CYCLE_1)
	s_or_b32 s9, s9, s11
.LBB74_38:                              ;   in Loop: Header=BB74_34 Depth=2
	s_or_b32 exec_lo, exec_lo, s10
	s_mov_b32 s10, -1
                                        ; implicit-def: $vgpr13
                                        ; implicit-def: $vgpr14
	s_and_saveexec_b32 s11, s9
	s_cbranch_execz .LBB74_33
; %bb.39:                               ;   in Loop: Header=BB74_34 Depth=2
	v_lshl_add_u32 v13, v11, 2, 0
	ds_load_b32 v14, v13
	s_wait_dscnt 0x0
	v_cmp_eq_u32_e32 vcc_lo, v14, v12
	s_or_not1_b32 s10, vcc_lo, exec_lo
	s_branch .LBB74_33
.LBB74_40:
	s_or_b32 exec_lo, exec_lo, s1
.LBB74_41:
	v_dual_lshrrev_b32 v2, 3, v0 :: v_dual_bitop2_b32 v4, 31, v21 bitop3:0x14
	v_mov_b32_e32 v3, 0
	s_wait_xcnt 0x0
	v_cmp_lt_u32_e64 s0, 31, v0
	v_cmp_lt_u32_e64 s1, 63, v0
	v_and_b32_e32 v5, 0x7c, v2
	v_lshrrev_b32_e64 v2, v4, -1
	v_cmp_lt_u32_e64 s2, 0x5f, v0
	v_cmp_lt_u32_e64 s3, 0x7f, v0
	;; [unrolled: 1-line block ×3, first 2 shown]
	v_add3_u32 v4, 0x50000, 0, v5
	v_cmp_lt_u32_e64 s5, 0xbf, v0
	v_cmp_lt_u32_e64 s6, 0xdf, v0
	;; [unrolled: 1-line block ×26, first 2 shown]
	v_add3_u32 v5, v22, 0, 0x10000
	s_mov_b32 s36, 0
	s_add_co_i32 s37, 0, 0x50000
	s_add_co_i32 s39, 0, 0x50004
	;; [unrolled: 1-line block ×32, first 2 shown]
	s_wait_dscnt 0x0
	s_barrier_signal -1
	s_barrier_wait -1
	v_cmp_eq_u32_e32 vcc_lo, 0x3ff, v0
	s_branch .LBB74_43
.LBB74_42:                              ;   in Loop: Header=BB74_43 Depth=1
	s_or_b32 exec_lo, exec_lo, s31
	v_dual_mov_b32 v6, s72 :: v_dual_add_nc_u32 v1, 0x400, v1
	s_wait_dscnt 0x0
	s_barrier_signal -1
	s_barrier_wait -1
	ds_load_b32 v6, v6
	v_cmp_lt_u32_e64 s31, 0x3bff, v1
	v_add_nc_u32_e32 v5, 0x4000, v5
	v_add_nc_u32_e32 v20, 0x1000, v20
	s_or_b32 s36, s31, s36
	s_wait_dscnt 0x0
	v_add_nc_u32_e32 v3, v6, v3
	s_and_not1_b32 exec_lo, exec_lo, s36
	s_cbranch_execz .LBB74_109
.LBB74_43:                              ; =>This Inner Loop Header: Depth=1
	ds_load_b32 v6, v20
	ds_load_2addr_b64 v[8:11], v5 offset1:1
	s_wait_dscnt 0x1
	v_cmp_gt_i32_e64 s31, s33, v6
	s_wait_dscnt 0x0
	scratch_store_b128 off, v[8:11], off
	s_wait_storecnt 0x0
	s_barrier_signal -1
	s_barrier_wait -1
	s_bcnt1_i32_b32 s73, s31
	s_wait_xcnt 0x0
	v_dual_mov_b32 v8, s73 :: v_dual_bitop2_b32 v7, s31, v2 bitop3:0x40
	s_delay_alu instid0(VALU_DEP_1)
	v_bcnt_u32_b32 v7, v7, 0
	ds_store_b32 v4, v8
	s_wait_dscnt 0x0
	s_barrier_signal -1
	s_barrier_wait -1
	s_and_saveexec_b32 s73, s0
	s_cbranch_execz .LBB74_76
; %bb.44:                               ;   in Loop: Header=BB74_43 Depth=1
	v_mov_b32_e32 v8, s37
	ds_load_b32 v8, v8
	s_wait_dscnt 0x0
	v_add_nc_u32_e32 v7, v8, v7
	s_or_b32 exec_lo, exec_lo, s73
	s_and_saveexec_b32 s73, s1
	s_cbranch_execnz .LBB74_77
.LBB74_45:                              ;   in Loop: Header=BB74_43 Depth=1
	s_or_b32 exec_lo, exec_lo, s73
	s_and_saveexec_b32 s73, s2
	s_cbranch_execz .LBB74_78
.LBB74_46:                              ;   in Loop: Header=BB74_43 Depth=1
	v_mov_b32_e32 v8, s43
	ds_load_b32 v8, v8
	s_wait_dscnt 0x0
	v_add_nc_u32_e32 v7, v8, v7
	s_or_b32 exec_lo, exec_lo, s73
	s_and_saveexec_b32 s73, s3
	s_cbranch_execnz .LBB74_79
.LBB74_47:                              ;   in Loop: Header=BB74_43 Depth=1
	s_or_b32 exec_lo, exec_lo, s73
	s_and_saveexec_b32 s73, s4
	s_cbranch_execz .LBB74_80
.LBB74_48:                              ;   in Loop: Header=BB74_43 Depth=1
	v_mov_b32_e32 v8, s45
	ds_load_b32 v8, v8
	s_wait_dscnt 0x0
	v_add_nc_u32_e32 v7, v8, v7
	s_or_b32 exec_lo, exec_lo, s73
	s_and_saveexec_b32 s73, s5
	s_cbranch_execnz .LBB74_81
.LBB74_49:                              ;   in Loop: Header=BB74_43 Depth=1
	s_or_b32 exec_lo, exec_lo, s73
	s_and_saveexec_b32 s73, s6
	s_cbranch_execz .LBB74_82
.LBB74_50:                              ;   in Loop: Header=BB74_43 Depth=1
	v_mov_b32_e32 v8, s47
	ds_load_b32 v8, v8
	s_wait_dscnt 0x0
	v_add_nc_u32_e32 v7, v8, v7
	s_or_b32 exec_lo, exec_lo, s73
	s_and_saveexec_b32 s73, s7
	s_cbranch_execnz .LBB74_83
.LBB74_51:                              ;   in Loop: Header=BB74_43 Depth=1
	s_or_b32 exec_lo, exec_lo, s73
	s_and_saveexec_b32 s73, s8
	s_cbranch_execz .LBB74_84
.LBB74_52:                              ;   in Loop: Header=BB74_43 Depth=1
	v_mov_b32_e32 v8, s49
	ds_load_b32 v8, v8
	s_wait_dscnt 0x0
	v_add_nc_u32_e32 v7, v8, v7
	s_or_b32 exec_lo, exec_lo, s73
	s_and_saveexec_b32 s73, s9
	s_cbranch_execnz .LBB74_85
.LBB74_53:                              ;   in Loop: Header=BB74_43 Depth=1
	s_or_b32 exec_lo, exec_lo, s73
	s_and_saveexec_b32 s73, s10
	s_cbranch_execz .LBB74_86
.LBB74_54:                              ;   in Loop: Header=BB74_43 Depth=1
	v_mov_b32_e32 v8, s51
	ds_load_b32 v8, v8
	s_wait_dscnt 0x0
	v_add_nc_u32_e32 v7, v8, v7
	s_or_b32 exec_lo, exec_lo, s73
	s_and_saveexec_b32 s73, s11
	s_cbranch_execnz .LBB74_87
.LBB74_55:                              ;   in Loop: Header=BB74_43 Depth=1
	s_or_b32 exec_lo, exec_lo, s73
	s_and_saveexec_b32 s73, s12
	s_cbranch_execz .LBB74_88
.LBB74_56:                              ;   in Loop: Header=BB74_43 Depth=1
	v_mov_b32_e32 v8, s53
	ds_load_b32 v8, v8
	s_wait_dscnt 0x0
	v_add_nc_u32_e32 v7, v8, v7
	s_or_b32 exec_lo, exec_lo, s73
	s_and_saveexec_b32 s73, s13
	s_cbranch_execnz .LBB74_89
.LBB74_57:                              ;   in Loop: Header=BB74_43 Depth=1
	s_or_b32 exec_lo, exec_lo, s73
	s_and_saveexec_b32 s73, s14
	s_cbranch_execz .LBB74_90
.LBB74_58:                              ;   in Loop: Header=BB74_43 Depth=1
	v_mov_b32_e32 v8, s55
	ds_load_b32 v8, v8
	s_wait_dscnt 0x0
	v_add_nc_u32_e32 v7, v8, v7
	s_or_b32 exec_lo, exec_lo, s73
	s_and_saveexec_b32 s73, s15
	s_cbranch_execnz .LBB74_91
.LBB74_59:                              ;   in Loop: Header=BB74_43 Depth=1
	s_or_b32 exec_lo, exec_lo, s73
	s_and_saveexec_b32 s73, s16
	s_cbranch_execz .LBB74_92
.LBB74_60:                              ;   in Loop: Header=BB74_43 Depth=1
	v_mov_b32_e32 v8, s57
	ds_load_b32 v8, v8
	s_wait_dscnt 0x0
	v_add_nc_u32_e32 v7, v8, v7
	s_or_b32 exec_lo, exec_lo, s73
	s_and_saveexec_b32 s73, s17
	s_cbranch_execnz .LBB74_93
.LBB74_61:                              ;   in Loop: Header=BB74_43 Depth=1
	s_or_b32 exec_lo, exec_lo, s73
	s_and_saveexec_b32 s73, s18
	s_cbranch_execz .LBB74_94
.LBB74_62:                              ;   in Loop: Header=BB74_43 Depth=1
	v_mov_b32_e32 v8, s59
	ds_load_b32 v8, v8
	s_wait_dscnt 0x0
	v_add_nc_u32_e32 v7, v8, v7
	s_or_b32 exec_lo, exec_lo, s73
	s_and_saveexec_b32 s73, s19
	s_cbranch_execnz .LBB74_95
.LBB74_63:                              ;   in Loop: Header=BB74_43 Depth=1
	s_or_b32 exec_lo, exec_lo, s73
	s_and_saveexec_b32 s73, s20
	s_cbranch_execz .LBB74_96
.LBB74_64:                              ;   in Loop: Header=BB74_43 Depth=1
	v_mov_b32_e32 v8, s61
	ds_load_b32 v8, v8
	s_wait_dscnt 0x0
	v_add_nc_u32_e32 v7, v8, v7
	s_or_b32 exec_lo, exec_lo, s73
	s_and_saveexec_b32 s73, s21
	s_cbranch_execnz .LBB74_97
.LBB74_65:                              ;   in Loop: Header=BB74_43 Depth=1
	s_or_b32 exec_lo, exec_lo, s73
	s_and_saveexec_b32 s73, s22
	s_cbranch_execz .LBB74_98
.LBB74_66:                              ;   in Loop: Header=BB74_43 Depth=1
	v_mov_b32_e32 v8, s63
	ds_load_b32 v8, v8
	s_wait_dscnt 0x0
	v_add_nc_u32_e32 v7, v8, v7
	s_or_b32 exec_lo, exec_lo, s73
	s_and_saveexec_b32 s73, s23
	s_cbranch_execnz .LBB74_99
.LBB74_67:                              ;   in Loop: Header=BB74_43 Depth=1
	s_or_b32 exec_lo, exec_lo, s73
	s_and_saveexec_b32 s73, s24
	s_cbranch_execz .LBB74_100
.LBB74_68:                              ;   in Loop: Header=BB74_43 Depth=1
	v_mov_b32_e32 v8, s65
	ds_load_b32 v8, v8
	s_wait_dscnt 0x0
	v_add_nc_u32_e32 v7, v8, v7
	s_or_b32 exec_lo, exec_lo, s73
	s_and_saveexec_b32 s73, s25
	s_cbranch_execnz .LBB74_101
.LBB74_69:                              ;   in Loop: Header=BB74_43 Depth=1
	s_or_b32 exec_lo, exec_lo, s73
	s_and_saveexec_b32 s73, s26
	s_cbranch_execz .LBB74_102
.LBB74_70:                              ;   in Loop: Header=BB74_43 Depth=1
	v_mov_b32_e32 v8, s67
	ds_load_b32 v8, v8
	s_wait_dscnt 0x0
	v_add_nc_u32_e32 v7, v8, v7
	s_or_b32 exec_lo, exec_lo, s73
	s_and_saveexec_b32 s73, s27
	s_cbranch_execnz .LBB74_103
.LBB74_71:                              ;   in Loop: Header=BB74_43 Depth=1
	s_or_b32 exec_lo, exec_lo, s73
	s_and_saveexec_b32 s73, s28
	s_cbranch_execz .LBB74_104
.LBB74_72:                              ;   in Loop: Header=BB74_43 Depth=1
	v_mov_b32_e32 v8, s69
	ds_load_b32 v8, v8
	s_wait_dscnt 0x0
	v_add_nc_u32_e32 v7, v8, v7
	s_or_b32 exec_lo, exec_lo, s73
	s_and_saveexec_b32 s73, s29
	s_cbranch_execnz .LBB74_105
.LBB74_73:                              ;   in Loop: Header=BB74_43 Depth=1
	s_or_b32 exec_lo, exec_lo, s73
	s_and_saveexec_b32 s73, s30
	s_cbranch_execz .LBB74_106
.LBB74_74:                              ;   in Loop: Header=BB74_43 Depth=1
	v_mov_b32_e32 v8, s71
	ds_load_b32 v8, v8
	s_wait_dscnt 0x0
	v_add_nc_u32_e32 v7, v8, v7
	s_or_b32 exec_lo, exec_lo, s73
	s_and_saveexec_b32 s73, s31
	s_cbranch_execnz .LBB74_107
.LBB74_75:                              ;   in Loop: Header=BB74_43 Depth=1
	s_or_b32 exec_lo, exec_lo, s73
	s_and_saveexec_b32 s31, vcc_lo
	s_cbranch_execz .LBB74_42
	s_branch .LBB74_108
.LBB74_76:                              ;   in Loop: Header=BB74_43 Depth=1
	s_or_b32 exec_lo, exec_lo, s73
	s_and_saveexec_b32 s73, s1
	s_cbranch_execz .LBB74_45
.LBB74_77:                              ;   in Loop: Header=BB74_43 Depth=1
	v_mov_b32_e32 v8, s39
	ds_load_b32 v8, v8
	s_wait_dscnt 0x0
	v_add_nc_u32_e32 v7, v8, v7
	s_or_b32 exec_lo, exec_lo, s73
	s_and_saveexec_b32 s73, s2
	s_cbranch_execnz .LBB74_46
.LBB74_78:                              ;   in Loop: Header=BB74_43 Depth=1
	s_or_b32 exec_lo, exec_lo, s73
	s_and_saveexec_b32 s73, s3
	s_cbranch_execz .LBB74_47
.LBB74_79:                              ;   in Loop: Header=BB74_43 Depth=1
	v_mov_b32_e32 v8, s44
	ds_load_b32 v8, v8
	s_wait_dscnt 0x0
	v_add_nc_u32_e32 v7, v8, v7
	s_or_b32 exec_lo, exec_lo, s73
	s_and_saveexec_b32 s73, s4
	s_cbranch_execnz .LBB74_48
.LBB74_80:                              ;   in Loop: Header=BB74_43 Depth=1
	s_or_b32 exec_lo, exec_lo, s73
	s_and_saveexec_b32 s73, s5
	s_cbranch_execz .LBB74_49
.LBB74_81:                              ;   in Loop: Header=BB74_43 Depth=1
	v_mov_b32_e32 v8, s46
	ds_load_b32 v8, v8
	s_wait_dscnt 0x0
	v_add_nc_u32_e32 v7, v8, v7
	s_or_b32 exec_lo, exec_lo, s73
	s_and_saveexec_b32 s73, s6
	s_cbranch_execnz .LBB74_50
.LBB74_82:                              ;   in Loop: Header=BB74_43 Depth=1
	s_or_b32 exec_lo, exec_lo, s73
	s_and_saveexec_b32 s73, s7
	s_cbranch_execz .LBB74_51
.LBB74_83:                              ;   in Loop: Header=BB74_43 Depth=1
	v_mov_b32_e32 v8, s48
	ds_load_b32 v8, v8
	s_wait_dscnt 0x0
	v_add_nc_u32_e32 v7, v8, v7
	s_or_b32 exec_lo, exec_lo, s73
	s_and_saveexec_b32 s73, s8
	s_cbranch_execnz .LBB74_52
.LBB74_84:                              ;   in Loop: Header=BB74_43 Depth=1
	s_or_b32 exec_lo, exec_lo, s73
	s_and_saveexec_b32 s73, s9
	s_cbranch_execz .LBB74_53
.LBB74_85:                              ;   in Loop: Header=BB74_43 Depth=1
	v_mov_b32_e32 v8, s50
	ds_load_b32 v8, v8
	s_wait_dscnt 0x0
	v_add_nc_u32_e32 v7, v8, v7
	s_or_b32 exec_lo, exec_lo, s73
	s_and_saveexec_b32 s73, s10
	s_cbranch_execnz .LBB74_54
.LBB74_86:                              ;   in Loop: Header=BB74_43 Depth=1
	s_or_b32 exec_lo, exec_lo, s73
	s_and_saveexec_b32 s73, s11
	s_cbranch_execz .LBB74_55
.LBB74_87:                              ;   in Loop: Header=BB74_43 Depth=1
	v_mov_b32_e32 v8, s52
	ds_load_b32 v8, v8
	s_wait_dscnt 0x0
	v_add_nc_u32_e32 v7, v8, v7
	s_or_b32 exec_lo, exec_lo, s73
	s_and_saveexec_b32 s73, s12
	s_cbranch_execnz .LBB74_56
.LBB74_88:                              ;   in Loop: Header=BB74_43 Depth=1
	s_or_b32 exec_lo, exec_lo, s73
	s_and_saveexec_b32 s73, s13
	s_cbranch_execz .LBB74_57
.LBB74_89:                              ;   in Loop: Header=BB74_43 Depth=1
	v_mov_b32_e32 v8, s54
	ds_load_b32 v8, v8
	s_wait_dscnt 0x0
	v_add_nc_u32_e32 v7, v8, v7
	s_or_b32 exec_lo, exec_lo, s73
	s_and_saveexec_b32 s73, s14
	s_cbranch_execnz .LBB74_58
.LBB74_90:                              ;   in Loop: Header=BB74_43 Depth=1
	s_or_b32 exec_lo, exec_lo, s73
	s_and_saveexec_b32 s73, s15
	s_cbranch_execz .LBB74_59
.LBB74_91:                              ;   in Loop: Header=BB74_43 Depth=1
	v_mov_b32_e32 v8, s56
	ds_load_b32 v8, v8
	s_wait_dscnt 0x0
	v_add_nc_u32_e32 v7, v8, v7
	s_or_b32 exec_lo, exec_lo, s73
	s_and_saveexec_b32 s73, s16
	s_cbranch_execnz .LBB74_60
.LBB74_92:                              ;   in Loop: Header=BB74_43 Depth=1
	s_or_b32 exec_lo, exec_lo, s73
	s_and_saveexec_b32 s73, s17
	s_cbranch_execz .LBB74_61
.LBB74_93:                              ;   in Loop: Header=BB74_43 Depth=1
	v_mov_b32_e32 v8, s58
	ds_load_b32 v8, v8
	s_wait_dscnt 0x0
	v_add_nc_u32_e32 v7, v8, v7
	s_or_b32 exec_lo, exec_lo, s73
	s_and_saveexec_b32 s73, s18
	s_cbranch_execnz .LBB74_62
.LBB74_94:                              ;   in Loop: Header=BB74_43 Depth=1
	s_or_b32 exec_lo, exec_lo, s73
	s_and_saveexec_b32 s73, s19
	s_cbranch_execz .LBB74_63
.LBB74_95:                              ;   in Loop: Header=BB74_43 Depth=1
	v_mov_b32_e32 v8, s60
	ds_load_b32 v8, v8
	s_wait_dscnt 0x0
	v_add_nc_u32_e32 v7, v8, v7
	s_or_b32 exec_lo, exec_lo, s73
	s_and_saveexec_b32 s73, s20
	s_cbranch_execnz .LBB74_64
.LBB74_96:                              ;   in Loop: Header=BB74_43 Depth=1
	s_or_b32 exec_lo, exec_lo, s73
	s_and_saveexec_b32 s73, s21
	s_cbranch_execz .LBB74_65
.LBB74_97:                              ;   in Loop: Header=BB74_43 Depth=1
	v_mov_b32_e32 v8, s62
	ds_load_b32 v8, v8
	s_wait_dscnt 0x0
	v_add_nc_u32_e32 v7, v8, v7
	s_or_b32 exec_lo, exec_lo, s73
	s_and_saveexec_b32 s73, s22
	s_cbranch_execnz .LBB74_66
.LBB74_98:                              ;   in Loop: Header=BB74_43 Depth=1
	s_or_b32 exec_lo, exec_lo, s73
	s_and_saveexec_b32 s73, s23
	s_cbranch_execz .LBB74_67
.LBB74_99:                              ;   in Loop: Header=BB74_43 Depth=1
	v_mov_b32_e32 v8, s64
	ds_load_b32 v8, v8
	s_wait_dscnt 0x0
	v_add_nc_u32_e32 v7, v8, v7
	s_or_b32 exec_lo, exec_lo, s73
	s_and_saveexec_b32 s73, s24
	s_cbranch_execnz .LBB74_68
.LBB74_100:                             ;   in Loop: Header=BB74_43 Depth=1
	s_or_b32 exec_lo, exec_lo, s73
	s_and_saveexec_b32 s73, s25
	s_cbranch_execz .LBB74_69
.LBB74_101:                             ;   in Loop: Header=BB74_43 Depth=1
	v_mov_b32_e32 v8, s66
	ds_load_b32 v8, v8
	s_wait_dscnt 0x0
	v_add_nc_u32_e32 v7, v8, v7
	s_or_b32 exec_lo, exec_lo, s73
	s_and_saveexec_b32 s73, s26
	s_cbranch_execnz .LBB74_70
.LBB74_102:                             ;   in Loop: Header=BB74_43 Depth=1
	s_or_b32 exec_lo, exec_lo, s73
	s_and_saveexec_b32 s73, s27
	s_cbranch_execz .LBB74_71
.LBB74_103:                             ;   in Loop: Header=BB74_43 Depth=1
	v_mov_b32_e32 v8, s68
	ds_load_b32 v8, v8
	s_wait_dscnt 0x0
	v_add_nc_u32_e32 v7, v8, v7
	s_or_b32 exec_lo, exec_lo, s73
	s_and_saveexec_b32 s73, s28
	s_cbranch_execnz .LBB74_72
.LBB74_104:                             ;   in Loop: Header=BB74_43 Depth=1
	s_or_b32 exec_lo, exec_lo, s73
	s_and_saveexec_b32 s73, s29
	s_cbranch_execz .LBB74_73
.LBB74_105:                             ;   in Loop: Header=BB74_43 Depth=1
	v_mov_b32_e32 v8, s70
	ds_load_b32 v8, v8
	s_wait_dscnt 0x0
	v_add_nc_u32_e32 v7, v8, v7
	s_or_b32 exec_lo, exec_lo, s73
	s_and_saveexec_b32 s73, s30
	s_cbranch_execnz .LBB74_74
.LBB74_106:                             ;   in Loop: Header=BB74_43 Depth=1
	s_or_b32 exec_lo, exec_lo, s73
	s_and_saveexec_b32 s73, s31
	s_cbranch_execz .LBB74_75
.LBB74_107:                             ;   in Loop: Header=BB74_43 Depth=1
	scratch_load_b128 v[8:11], off, off
	v_add3_u32 v12, v3, -1, v7
	v_add_lshl_u32 v13, v3, v7, 4
	s_delay_alu instid0(VALU_DEP_2) | instskip(NEXT) | instid1(VALU_DEP_2)
	v_lshl_add_u32 v12, v12, 2, 0
	v_add3_u32 v13, 0, v13, 0xfff0
	ds_store_b32 v12, v6
	s_wait_loadcnt 0x0
	ds_store_2addr_b64 v13, v[8:9], v[10:11] offset1:1
	s_or_b32 exec_lo, exec_lo, s73
	s_and_saveexec_b32 s31, vcc_lo
	s_cbranch_execz .LBB74_42
.LBB74_108:                             ;   in Loop: Header=BB74_43 Depth=1
	v_mov_b32_e32 v6, s72
	ds_store_b32 v6, v7
	s_branch .LBB74_42
.LBB74_109:
	s_or_b32 exec_lo, exec_lo, s36
	s_wait_kmcnt 0x0
	s_ashr_i32 s43, s42, 31
	s_delay_alu instid0(SALU_CYCLE_1) | instskip(NEXT) | instid1(SALU_CYCLE_1)
	s_lshl_b64 s[0:1], s[42:43], 2
	s_add_nc_u64 s[2:3], s[40:41], s[0:1]
	s_load_b64 s[0:1], s[2:3], 0x0
	s_wait_kmcnt 0x0
	s_sub_co_i32 s4, s1, s0
	s_mov_b32 s1, exec_lo
	v_cmpx_gt_i32_e64 s4, v0
	s_cbranch_execz .LBB74_123
; %bb.110:
	v_sub_co_u32 v1, s1, s4, 2
	s_sub_co_i32 s2, s0, s38
	s_xor_b32 s6, s1, -1
	s_and_b32 s5, s4, -2
	v_readfirstlane_b32 s3, v1
	s_lshr_b32 s0, s3, 1
	s_mov_b32 s3, 0
	s_add_co_i32 s0, s0, 1
	s_mov_b32 s11, s3
	s_and_b32 s1, s0, 7
	s_and_b32 s7, s0, -8
	s_cmp_lg_u32 s1, 0
	v_cmp_lt_u32_e64 s0, 13, v1
	s_cselect_b32 s8, -1, 0
	s_cmp_lg_u32 s4, s5
	s_cselect_b32 s9, -1, 0
	s_lshl_b32 s10, s1, 3
	s_branch .LBB74_112
.LBB74_111:                             ;   in Loop: Header=BB74_112 Depth=1
	s_wait_dscnt 0x0
	v_lshlrev_b32_e32 v1, 4, v0
	v_add_nc_u32_e32 v0, 0x400, v0
	s_delay_alu instid0(VALU_DEP_2) | instskip(NEXT) | instid1(VALU_DEP_2)
	v_add3_u32 v1, 0, v1, 0x10000
	v_cmp_le_i32_e32 vcc_lo, s4, v0
	ds_load_2addr_b64 v[4:7], v1 offset1:1
	s_or_b32 s11, vcc_lo, s11
	s_wait_dscnt 0x0
	global_store_b128 v2, v[4:7], s[34:35] scale_offset
	s_wait_xcnt 0x0
	s_and_not1_b32 exec_lo, exec_lo, s11
	s_cbranch_execz .LBB74_123
.LBB74_112:                             ; =>This Loop Header: Depth=1
                                        ;     Child Loop BB74_115 Depth 2
                                        ;     Child Loop BB74_118 Depth 2
	;; [unrolled: 1-line block ×3, first 2 shown]
	v_lshl_add_u32 v1, v0, 2, 0
	v_mov_b32_e32 v2, s2
	s_and_not1_b32 vcc_lo, exec_lo, s6
	s_mov_b32 s1, 0
	s_mov_b32 s12, -1
	ds_load_b32 v1, v1
	s_cbranch_vccnz .LBB74_120
; %bb.113:                              ;   in Loop: Header=BB74_112 Depth=1
	v_mov_b64_e32 v[2:3], s[2:3]
	s_and_not1_b32 vcc_lo, exec_lo, s0
	s_mov_b32 s12, 0
	s_cbranch_vccnz .LBB74_116
; %bb.114:                              ;   in Loop: Header=BB74_112 Depth=1
	v_dual_mov_b32 v2, s2 :: v_dual_mov_b32 v3, 0
	s_mov_b32 s13, 0
	s_mov_b32 s14, s7
.LBB74_115:                             ;   Parent Loop BB74_112 Depth=1
                                        ; =>  This Inner Loop Header: Depth=2
	v_mov_b32_e32 v18, s13
	s_add_co_i32 s14, s14, -8
	s_add_co_i32 s12, s12, 16
	s_add_co_i32 s13, s13, 64
	s_cmp_lg_u32 s14, 0
	ds_load_2addr_b32 v[4:5], v18 offset1:1
	ds_load_2addr_b32 v[6:7], v18 offset0:2 offset1:3
	ds_load_2addr_b32 v[8:9], v18 offset0:4 offset1:5
	;; [unrolled: 1-line block ×7, first 2 shown]
	s_wait_dscnt 0x7
	v_cmp_gt_i32_e32 vcc_lo, v1, v5
	s_wait_dscnt 0x5
	v_cmp_gt_i32_e64 s1, v1, v8
	v_cndmask_b32_e64 v5, 0, 1, vcc_lo
	v_cmp_gt_i32_e32 vcc_lo, v1, v4
	v_cndmask_b32_e64 v4, 0, 1, vcc_lo
	v_cmp_gt_i32_e32 vcc_lo, v1, v6
	v_cndmask_b32_e64 v6, 0, 1, s1
	v_cmp_gt_i32_e64 s1, v1, v9
	s_delay_alu instid0(VALU_DEP_4) | instskip(NEXT) | instid1(VALU_DEP_2)
	v_add_co_ci_u32_e64 v2, null, v2, v4, vcc_lo
	v_cndmask_b32_e64 v8, 0, 1, s1
	s_wait_dscnt 0x4
	v_cmp_gt_i32_e64 s1, v1, v11
	s_wait_dscnt 0x2
	v_cmp_gt_i32_e32 vcc_lo, v1, v14
	s_delay_alu instid0(VALU_DEP_2) | instskip(SKIP_4) | instid1(VALU_DEP_3)
	v_cndmask_b32_e64 v9, 0, 1, s1
	v_cmp_gt_i32_e64 s1, v1, v10
	v_add_co_ci_u32_e64 v2, null, v2, v6, vcc_lo
	s_wait_dscnt 0x1
	v_cmp_gt_i32_e32 vcc_lo, v1, v16
	v_cndmask_b32_e64 v10, 0, 1, s1
	v_cmp_gt_i32_e64 s1, v1, v12
	s_delay_alu instid0(VALU_DEP_2) | instskip(NEXT) | instid1(VALU_DEP_2)
	v_add_co_ci_u32_e64 v2, null, v2, v10, vcc_lo
	v_cndmask_b32_e64 v11, 0, 1, s1
	v_cmp_gt_i32_e64 s1, v1, v13
	s_wait_dscnt 0x0
	v_cmp_gt_i32_e32 vcc_lo, v1, v18
	s_delay_alu instid0(VALU_DEP_2) | instskip(SKIP_2) | instid1(VALU_DEP_2)
	v_cndmask_b32_e64 v12, 0, 1, s1
	v_cmp_gt_i32_e64 s1, v1, v7
	v_add_co_ci_u32_e64 v2, null, v2, v11, vcc_lo
	v_add_co_ci_u32_e64 v3, null, v3, v5, s1
	v_cmp_gt_i32_e64 s1, v1, v15
	s_delay_alu instid0(VALU_DEP_1) | instskip(SKIP_1) | instid1(VALU_DEP_1)
	v_add_co_ci_u32_e64 v3, null, v3, v8, s1
	v_cmp_gt_i32_e64 s1, v1, v17
	v_add_co_ci_u32_e64 v3, null, v3, v9, s1
	v_cmp_gt_i32_e64 s1, v1, v19
	s_delay_alu instid0(VALU_DEP_1)
	v_add_co_ci_u32_e64 v3, null, v3, v12, s1
	s_cbranch_scc1 .LBB74_115
.LBB74_116:                             ;   in Loop: Header=BB74_112 Depth=1
	s_and_not1_b32 vcc_lo, exec_lo, s8
	s_cbranch_vccnz .LBB74_119
; %bb.117:                              ;   in Loop: Header=BB74_112 Depth=1
	s_lshl_b32 s1, s12, 2
	s_mov_b32 s12, s10
	s_add_co_i32 s1, s1, 0
.LBB74_118:                             ;   Parent Loop BB74_112 Depth=1
                                        ; =>  This Inner Loop Header: Depth=2
	s_delay_alu instid0(SALU_CYCLE_1)
	v_mov_b32_e32 v4, s1
	s_add_co_i32 s12, s12, -8
	s_add_co_i32 s1, s1, 8
	s_cmp_lg_u32 s12, 0
	ds_load_2addr_b32 v[4:5], v4 offset1:1
	s_wait_dscnt 0x0
	v_cmp_gt_i32_e32 vcc_lo, v1, v5
	v_add_co_ci_u32_e64 v3, null, 0, v3, vcc_lo
	v_cmp_gt_i32_e32 vcc_lo, v1, v4
	v_add_co_ci_u32_e64 v2, null, 0, v2, vcc_lo
	s_cbranch_scc1 .LBB74_118
.LBB74_119:                             ;   in Loop: Header=BB74_112 Depth=1
	s_delay_alu instid0(VALU_DEP_1)
	v_add_nc_u32_e32 v2, v2, v3
	s_mov_b32 s1, s5
	s_mov_b32 s12, s9
.LBB74_120:                             ;   in Loop: Header=BB74_112 Depth=1
	s_delay_alu instid0(SALU_CYCLE_1)
	s_and_b32 vcc_lo, exec_lo, s12
	s_cbranch_vccz .LBB74_111
; %bb.121:                              ;   in Loop: Header=BB74_112 Depth=1
	s_lshl_b32 s12, s1, 2
	s_delay_alu instid0(SALU_CYCLE_1)
	s_add_co_i32 s12, s12, 0
.LBB74_122:                             ;   Parent Loop BB74_112 Depth=1
                                        ; =>  This Inner Loop Header: Depth=2
	s_delay_alu instid0(SALU_CYCLE_1)
	v_mov_b32_e32 v3, s12
	s_add_co_i32 s1, s1, 1
	s_add_co_i32 s12, s12, 4
	s_cmp_ge_i32 s1, s4
	ds_load_b32 v3, v3
	s_wait_dscnt 0x0
	v_cmp_gt_i32_e32 vcc_lo, v1, v3
	v_add_co_ci_u32_e64 v2, null, 0, v2, vcc_lo
	s_cbranch_scc0 .LBB74_122
	s_branch .LBB74_111
.LBB74_123:
	s_endpgm
	.section	.rodata,"a",@progbits
	.p2align	6, 0x0
	.amdhsa_kernel _ZN9rocsparseL41csrgemm_numeric_fill_block_per_row_kernelILj1024ELj64ELj16384ELj137ELj32Eii21rocsparse_complex_numIdEEEvT5_PKS3_S5_NS_24const_host_device_scalarIT6_EEPKT4_S5_PKS7_SB_S5_SD_S8_SB_S5_SD_SB_S5_PS7_21rocsparse_index_base_SF_SF_SF_bbb
		.amdhsa_group_segment_fixed_size 0
		.amdhsa_private_segment_fixed_size 40
		.amdhsa_kernarg_size 172
		.amdhsa_user_sgpr_count 2
		.amdhsa_user_sgpr_dispatch_ptr 0
		.amdhsa_user_sgpr_queue_ptr 0
		.amdhsa_user_sgpr_kernarg_segment_ptr 1
		.amdhsa_user_sgpr_dispatch_id 0
		.amdhsa_user_sgpr_kernarg_preload_length 0
		.amdhsa_user_sgpr_kernarg_preload_offset 0
		.amdhsa_user_sgpr_private_segment_size 0
		.amdhsa_wavefront_size32 1
		.amdhsa_uses_dynamic_stack 0
		.amdhsa_enable_private_segment 1
		.amdhsa_system_sgpr_workgroup_id_x 1
		.amdhsa_system_sgpr_workgroup_id_y 0
		.amdhsa_system_sgpr_workgroup_id_z 0
		.amdhsa_system_sgpr_workgroup_info 0
		.amdhsa_system_vgpr_workitem_id 0
		.amdhsa_next_free_vgpr 29
		.amdhsa_next_free_sgpr 74
		.amdhsa_named_barrier_count 0
		.amdhsa_reserve_vcc 1
		.amdhsa_float_round_mode_32 0
		.amdhsa_float_round_mode_16_64 0
		.amdhsa_float_denorm_mode_32 3
		.amdhsa_float_denorm_mode_16_64 3
		.amdhsa_fp16_overflow 0
		.amdhsa_memory_ordered 1
		.amdhsa_forward_progress 1
		.amdhsa_inst_pref_size 40
		.amdhsa_round_robin_scheduling 0
		.amdhsa_exception_fp_ieee_invalid_op 0
		.amdhsa_exception_fp_denorm_src 0
		.amdhsa_exception_fp_ieee_div_zero 0
		.amdhsa_exception_fp_ieee_overflow 0
		.amdhsa_exception_fp_ieee_underflow 0
		.amdhsa_exception_fp_ieee_inexact 0
		.amdhsa_exception_int_div_zero 0
	.end_amdhsa_kernel
	.section	.text._ZN9rocsparseL41csrgemm_numeric_fill_block_per_row_kernelILj1024ELj64ELj16384ELj137ELj32Eii21rocsparse_complex_numIdEEEvT5_PKS3_S5_NS_24const_host_device_scalarIT6_EEPKT4_S5_PKS7_SB_S5_SD_S8_SB_S5_SD_SB_S5_PS7_21rocsparse_index_base_SF_SF_SF_bbb,"axG",@progbits,_ZN9rocsparseL41csrgemm_numeric_fill_block_per_row_kernelILj1024ELj64ELj16384ELj137ELj32Eii21rocsparse_complex_numIdEEEvT5_PKS3_S5_NS_24const_host_device_scalarIT6_EEPKT4_S5_PKS7_SB_S5_SD_S8_SB_S5_SD_SB_S5_PS7_21rocsparse_index_base_SF_SF_SF_bbb,comdat
.Lfunc_end74:
	.size	_ZN9rocsparseL41csrgemm_numeric_fill_block_per_row_kernelILj1024ELj64ELj16384ELj137ELj32Eii21rocsparse_complex_numIdEEEvT5_PKS3_S5_NS_24const_host_device_scalarIT6_EEPKT4_S5_PKS7_SB_S5_SD_S8_SB_S5_SD_SB_S5_PS7_21rocsparse_index_base_SF_SF_SF_bbb, .Lfunc_end74-_ZN9rocsparseL41csrgemm_numeric_fill_block_per_row_kernelILj1024ELj64ELj16384ELj137ELj32Eii21rocsparse_complex_numIdEEEvT5_PKS3_S5_NS_24const_host_device_scalarIT6_EEPKT4_S5_PKS7_SB_S5_SD_S8_SB_S5_SD_SB_S5_PS7_21rocsparse_index_base_SF_SF_SF_bbb
                                        ; -- End function
	.set _ZN9rocsparseL41csrgemm_numeric_fill_block_per_row_kernelILj1024ELj64ELj16384ELj137ELj32Eii21rocsparse_complex_numIdEEEvT5_PKS3_S5_NS_24const_host_device_scalarIT6_EEPKT4_S5_PKS7_SB_S5_SD_S8_SB_S5_SD_SB_S5_PS7_21rocsparse_index_base_SF_SF_SF_bbb.num_vgpr, 29
	.set _ZN9rocsparseL41csrgemm_numeric_fill_block_per_row_kernelILj1024ELj64ELj16384ELj137ELj32Eii21rocsparse_complex_numIdEEEvT5_PKS3_S5_NS_24const_host_device_scalarIT6_EEPKT4_S5_PKS7_SB_S5_SD_S8_SB_S5_SD_SB_S5_PS7_21rocsparse_index_base_SF_SF_SF_bbb.num_agpr, 0
	.set _ZN9rocsparseL41csrgemm_numeric_fill_block_per_row_kernelILj1024ELj64ELj16384ELj137ELj32Eii21rocsparse_complex_numIdEEEvT5_PKS3_S5_NS_24const_host_device_scalarIT6_EEPKT4_S5_PKS7_SB_S5_SD_S8_SB_S5_SD_SB_S5_PS7_21rocsparse_index_base_SF_SF_SF_bbb.numbered_sgpr, 74
	.set _ZN9rocsparseL41csrgemm_numeric_fill_block_per_row_kernelILj1024ELj64ELj16384ELj137ELj32Eii21rocsparse_complex_numIdEEEvT5_PKS3_S5_NS_24const_host_device_scalarIT6_EEPKT4_S5_PKS7_SB_S5_SD_S8_SB_S5_SD_SB_S5_PS7_21rocsparse_index_base_SF_SF_SF_bbb.num_named_barrier, 0
	.set _ZN9rocsparseL41csrgemm_numeric_fill_block_per_row_kernelILj1024ELj64ELj16384ELj137ELj32Eii21rocsparse_complex_numIdEEEvT5_PKS3_S5_NS_24const_host_device_scalarIT6_EEPKT4_S5_PKS7_SB_S5_SD_S8_SB_S5_SD_SB_S5_PS7_21rocsparse_index_base_SF_SF_SF_bbb.private_seg_size, 40
	.set _ZN9rocsparseL41csrgemm_numeric_fill_block_per_row_kernelILj1024ELj64ELj16384ELj137ELj32Eii21rocsparse_complex_numIdEEEvT5_PKS3_S5_NS_24const_host_device_scalarIT6_EEPKT4_S5_PKS7_SB_S5_SD_S8_SB_S5_SD_SB_S5_PS7_21rocsparse_index_base_SF_SF_SF_bbb.uses_vcc, 1
	.set _ZN9rocsparseL41csrgemm_numeric_fill_block_per_row_kernelILj1024ELj64ELj16384ELj137ELj32Eii21rocsparse_complex_numIdEEEvT5_PKS3_S5_NS_24const_host_device_scalarIT6_EEPKT4_S5_PKS7_SB_S5_SD_S8_SB_S5_SD_SB_S5_PS7_21rocsparse_index_base_SF_SF_SF_bbb.uses_flat_scratch, 1
	.set _ZN9rocsparseL41csrgemm_numeric_fill_block_per_row_kernelILj1024ELj64ELj16384ELj137ELj32Eii21rocsparse_complex_numIdEEEvT5_PKS3_S5_NS_24const_host_device_scalarIT6_EEPKT4_S5_PKS7_SB_S5_SD_S8_SB_S5_SD_SB_S5_PS7_21rocsparse_index_base_SF_SF_SF_bbb.has_dyn_sized_stack, 0
	.set _ZN9rocsparseL41csrgemm_numeric_fill_block_per_row_kernelILj1024ELj64ELj16384ELj137ELj32Eii21rocsparse_complex_numIdEEEvT5_PKS3_S5_NS_24const_host_device_scalarIT6_EEPKT4_S5_PKS7_SB_S5_SD_S8_SB_S5_SD_SB_S5_PS7_21rocsparse_index_base_SF_SF_SF_bbb.has_recursion, 0
	.set _ZN9rocsparseL41csrgemm_numeric_fill_block_per_row_kernelILj1024ELj64ELj16384ELj137ELj32Eii21rocsparse_complex_numIdEEEvT5_PKS3_S5_NS_24const_host_device_scalarIT6_EEPKT4_S5_PKS7_SB_S5_SD_S8_SB_S5_SD_SB_S5_PS7_21rocsparse_index_base_SF_SF_SF_bbb.has_indirect_call, 0
	.section	.AMDGPU.csdata,"",@progbits
; Kernel info:
; codeLenInByte = 5008
; TotalNumSgprs: 76
; NumVgprs: 29
; ScratchSize: 40
; MemoryBound: 0
; FloatMode: 240
; IeeeMode: 1
; LDSByteSize: 0 bytes/workgroup (compile time only)
; SGPRBlocks: 0
; VGPRBlocks: 1
; NumSGPRsForWavesPerEU: 76
; NumVGPRsForWavesPerEU: 29
; NamedBarCnt: 0
; Occupancy: 16
; WaveLimiterHint : 1
; COMPUTE_PGM_RSRC2:SCRATCH_EN: 1
; COMPUTE_PGM_RSRC2:USER_SGPR: 2
; COMPUTE_PGM_RSRC2:TRAP_HANDLER: 0
; COMPUTE_PGM_RSRC2:TGID_X_EN: 1
; COMPUTE_PGM_RSRC2:TGID_Y_EN: 0
; COMPUTE_PGM_RSRC2:TGID_Z_EN: 0
; COMPUTE_PGM_RSRC2:TIDIG_COMP_CNT: 0
	.section	.text._ZN9rocsparseL41csrgemm_numeric_fill_block_per_row_kernelILj1024ELj64ELj16384ELj137ELj64Eii21rocsparse_complex_numIdEEEvT5_PKS3_S5_NS_24const_host_device_scalarIT6_EEPKT4_S5_PKS7_SB_S5_SD_S8_SB_S5_SD_SB_S5_PS7_21rocsparse_index_base_SF_SF_SF_bbb,"axG",@progbits,_ZN9rocsparseL41csrgemm_numeric_fill_block_per_row_kernelILj1024ELj64ELj16384ELj137ELj64Eii21rocsparse_complex_numIdEEEvT5_PKS3_S5_NS_24const_host_device_scalarIT6_EEPKT4_S5_PKS7_SB_S5_SD_S8_SB_S5_SD_SB_S5_PS7_21rocsparse_index_base_SF_SF_SF_bbb,comdat
	.globl	_ZN9rocsparseL41csrgemm_numeric_fill_block_per_row_kernelILj1024ELj64ELj16384ELj137ELj64Eii21rocsparse_complex_numIdEEEvT5_PKS3_S5_NS_24const_host_device_scalarIT6_EEPKT4_S5_PKS7_SB_S5_SD_S8_SB_S5_SD_SB_S5_PS7_21rocsparse_index_base_SF_SF_SF_bbb ; -- Begin function _ZN9rocsparseL41csrgemm_numeric_fill_block_per_row_kernelILj1024ELj64ELj16384ELj137ELj64Eii21rocsparse_complex_numIdEEEvT5_PKS3_S5_NS_24const_host_device_scalarIT6_EEPKT4_S5_PKS7_SB_S5_SD_S8_SB_S5_SD_SB_S5_PS7_21rocsparse_index_base_SF_SF_SF_bbb
	.p2align	8
	.type	_ZN9rocsparseL41csrgemm_numeric_fill_block_per_row_kernelILj1024ELj64ELj16384ELj137ELj64Eii21rocsparse_complex_numIdEEEvT5_PKS3_S5_NS_24const_host_device_scalarIT6_EEPKT4_S5_PKS7_SB_S5_SD_S8_SB_S5_SD_SB_S5_PS7_21rocsparse_index_base_SF_SF_SF_bbb,@function
_ZN9rocsparseL41csrgemm_numeric_fill_block_per_row_kernelILj1024ELj64ELj16384ELj137ELj64Eii21rocsparse_complex_numIdEEEvT5_PKS3_S5_NS_24const_host_device_scalarIT6_EEPKT4_S5_PKS7_SB_S5_SD_S8_SB_S5_SD_SB_S5_PS7_21rocsparse_index_base_SF_SF_SF_bbb: ; @_ZN9rocsparseL41csrgemm_numeric_fill_block_per_row_kernelILj1024ELj64ELj16384ELj137ELj64Eii21rocsparse_complex_numIdEEEvT5_PKS3_S5_NS_24const_host_device_scalarIT6_EEPKT4_S5_PKS7_SB_S5_SD_S8_SB_S5_SD_SB_S5_PS7_21rocsparse_index_base_SF_SF_SF_bbb
; %bb.0:
	s_clause 0x3
	s_load_b32 s3, s[0:1], 0xa8
	s_load_b128 s[4:7], s[0:1], 0x18
	s_load_b128 s[12:15], s[0:1], 0x58
	;; [unrolled: 1-line block ×3, first 2 shown]
	v_mov_b64_e32 v[6:7], 0
	v_mov_b64_e32 v[10:11], 0
	v_mov_b64_e32 v[12:13], 0
	v_mbcnt_lo_u32_b32 v21, -1, 0
	s_wait_kmcnt 0x0
	s_bitcmp1_b32 s3, 0
	v_mov_b64_e32 v[2:3], s[4:5]
	s_cselect_b32 s35, -1, 0
	s_bitcmp1_b32 s3, 16
	v_mov_b64_e32 v[4:5], s[12:13]
	s_cselect_b32 s2, -1, 0
	s_clause 0x1
	scratch_store_b64 off, v[2:3], off offset:16
	scratch_store_b64 off, v[4:5], off offset:24
	s_xor_b32 s26, s2, -1
	s_bitcmp0_b32 s3, 0
	v_cndmask_b32_e64 v1, 0, 1, s26
	s_delay_alu instid0(VALU_DEP_1)
	v_cmp_ne_u32_e32 vcc_lo, 1, v1
	s_cbranch_scc1 .LBB75_3
; %bb.1:
	s_wait_xcnt 0x1
	v_dual_mov_b32 v2, 16 :: v_dual_lshlrev_b32 v3, 20, v21
	v_mov_b64_e32 v[12:13], s[6:7]
	s_and_b32 vcc_lo, exec_lo, vcc_lo
	s_delay_alu instid0(VALU_DEP_2) | instskip(NEXT) | instid1(VALU_DEP_1)
	v_add_nc_u64_e32 v[2:3], src_flat_scratch_base_lo, v[2:3]
	v_cndmask_b32_e64 v3, s5, v3, s2
	s_delay_alu instid0(VALU_DEP_2)
	v_cndmask_b32_e64 v2, s4, v2, s2
	flat_load_b64 v[10:11], v[2:3]
	s_cbranch_vccnz .LBB75_3
; %bb.2:
	v_mov_b32_e32 v1, 0
	flat_load_b64 v[12:13], v1, s[4:5] offset:8
.LBB75_3:
	s_clause 0x4
	s_load_b64 s[24:25], s[0:1], 0x90
	s_load_b128 s[4:7], s[0:1], 0x70
	s_load_b128 s[8:11], s[0:1], 0x48
	;; [unrolled: 1-line block ×3, first 2 shown]
	s_load_b64 s[28:29], s[0:1], 0x30
	v_mov_b64_e32 v[8:9], 0
	s_bitcmp1_b32 s3, 8
	s_cselect_b32 s34, -1, 0
	s_bfe_u32 s3, s3, 0x10008
	s_delay_alu instid0(SALU_CYCLE_1)
	s_cmp_eq_u32 s3, 0
	s_cbranch_scc1 .LBB75_6
; %bb.4:
	v_dual_mov_b32 v2, 24 :: v_dual_lshlrev_b32 v3, 20, v21
	v_mov_b64_e32 v[6:7], s[14:15]
	s_and_not1_b32 vcc_lo, exec_lo, s26
	s_delay_alu instid0(VALU_DEP_2) | instskip(NEXT) | instid1(VALU_DEP_1)
	v_add_nc_u64_e32 v[2:3], src_flat_scratch_base_lo, v[2:3]
	v_cndmask_b32_e64 v3, s13, v3, s2
	s_delay_alu instid0(VALU_DEP_2)
	v_cndmask_b32_e64 v2, s12, v2, s2
	flat_load_b64 v[8:9], v[2:3]
	s_cbranch_vccnz .LBB75_6
; %bb.5:
	v_mov_b32_e32 v1, 0
	flat_load_b64 v[6:7], v1, s[12:13] offset:8
.LBB75_6:
	s_clause 0x4
	s_load_b32 s33, s[0:1], 0x0
	s_load_b64 s[30:31], s[0:1], 0x28
	s_load_b64 s[26:27], s[0:1], 0x80
	;; [unrolled: 1-line block ×3, first 2 shown]
	s_load_b128 s[12:15], s[0:1], 0x38
	s_wait_xcnt 0x0
	s_mov_b32 s0, 0
	v_or_b32_e32 v1, 0xfffffc00, v0
	v_lshl_add_u32 v20, v0, 2, 0
	v_lshlrev_b32_e32 v22, 4, v0
	s_mov_b32 s1, s0
	s_mov_b32 s36, s0
	;; [unrolled: 1-line block ×3, first 2 shown]
	v_mov_b64_e32 v[2:3], s[0:1]
	v_mov_b64_e32 v[4:5], s[36:37]
	v_mov_b32_e32 v15, v20
	v_add3_u32 v14, v22, 0, 0x10008
	s_wait_kmcnt 0x0
	v_dual_mov_b32 v17, v1 :: v_dual_mov_b32 v16, s33
.LBB75_7:                               ; =>This Inner Loop Header: Depth=1
	s_delay_alu instid0(VALU_DEP_1)
	v_add_nc_u32_e32 v17, 0x400, v17
	ds_store_b32 v15, v16
	v_add_nc_u32_e32 v18, -8, v14
	v_add_nc_u32_e32 v14, 0x4000, v14
	v_add_nc_u32_e32 v15, 0x1000, v15
	v_cmp_lt_u32_e32 vcc_lo, 0x3bff, v17
	ds_store_2addr_b64 v18, v[2:3], v[4:5] offset1:1
	s_or_b32 s0, vcc_lo, s0
	s_delay_alu instid0(SALU_CYCLE_1)
	s_and_not1_b32 exec_lo, exec_lo, s0
	s_cbranch_execnz .LBB75_7
; %bb.8:
	s_or_b32 exec_lo, exec_lo, s0
	s_wait_storecnt 0x0
	s_wait_loadcnt_dscnt 0x0
	s_barrier_signal -1
	s_barrier_wait -1
	s_load_b32 s0, s[20:21], 0x0
	s_bfe_u32 s1, ttmp6, 0x4000c
	s_wait_xcnt 0x0
	s_and_b32 s20, ttmp6, 15
	s_add_co_i32 s1, s1, 1
	s_getreg_b32 s21, hwreg(HW_REG_IB_STS2, 6, 4)
	s_mul_i32 s1, ttmp9, s1
	v_lshrrev_b32_e32 v23, 6, v0
	s_add_co_i32 s20, s20, s1
	s_cmp_eq_u32 s21, 0
	s_cselect_b32 s1, ttmp9, s20
	s_and_b32 vcc_lo, exec_lo, s35
	s_wait_kmcnt 0x0
	s_add_co_i32 s0, s0, s1
	s_load_b32 s20, s[22:23], s0 offset:0x0 scale_offset
	s_cbranch_vccz .LBB75_26
; %bb.9:
	s_wait_kmcnt 0x0
	s_ashr_i32 s21, s20, 31
	v_subrev_nc_u32_e32 v2, s16, v23
	s_lshl_b64 s[0:1], s[20:21], 2
	s_delay_alu instid0(SALU_CYCLE_1)
	s_add_nc_u64 s[0:1], s[30:31], s[0:1]
	s_load_b64 s[22:23], s[0:1], 0x0
	s_wait_xcnt 0x0
	s_mov_b32 s1, exec_lo
	s_wait_kmcnt 0x0
	v_add_nc_u32_e32 v14, s22, v2
	s_sub_co_i32 s0, s23, s16
	s_delay_alu instid0(VALU_DEP_1) | instid1(SALU_CYCLE_1)
	v_cmpx_gt_i32_e64 s0, v14
	s_cbranch_execz .LBB75_25
; %bb.10:
	v_and_b32_e32 v2, 63, v0
	s_mov_b32 s21, 0
	s_delay_alu instid0(VALU_DEP_1)
	v_subrev_nc_u32_e32 v24, s17, v2
	s_branch .LBB75_12
.LBB75_11:                              ;   in Loop: Header=BB75_12 Depth=1
	s_or_b32 exec_lo, exec_lo, s22
	v_add_nc_u32_e32 v14, 16, v14
	s_delay_alu instid0(VALU_DEP_1) | instskip(SKIP_1) | instid1(SALU_CYCLE_1)
	v_cmp_le_i32_e32 vcc_lo, s0, v14
	s_or_b32 s21, vcc_lo, s21
	s_and_not1_b32 exec_lo, exec_lo, s21
	s_cbranch_execz .LBB75_25
.LBB75_12:                              ; =>This Loop Header: Depth=1
                                        ;     Child Loop BB75_16 Depth 2
                                        ;       Child Loop BB75_19 Depth 3
	global_load_b32 v2, v14, s[28:29] scale_offset
	s_mov_b32 s22, exec_lo
	s_wait_loadcnt 0x0
	v_subrev_nc_u32_e32 v2, s16, v2
	s_delay_alu instid0(VALU_DEP_1) | instskip(NEXT) | instid1(VALU_DEP_1)
	v_ashrrev_i32_e32 v3, 31, v2
	v_lshl_add_u64 v[2:3], v[2:3], 2, s[14:15]
	global_load_b64 v[2:3], v[2:3], off
	s_wait_loadcnt 0x0
	v_subrev_nc_u32_e32 v25, s17, v3
	v_add_nc_u32_e32 v26, v2, v24
	s_wait_xcnt 0x0
	s_delay_alu instid0(VALU_DEP_1)
	v_cmpx_lt_i32_e64 v26, v25
	s_cbranch_execz .LBB75_11
; %bb.13:                               ;   in Loop: Header=BB75_12 Depth=1
	v_ashrrev_i32_e32 v15, 31, v14
	s_mov_b32 s23, 0
	s_delay_alu instid0(VALU_DEP_1) | instskip(SKIP_4) | instid1(VALU_DEP_2)
	v_lshl_add_u64 v[2:3], v[14:15], 4, s[12:13]
	global_load_b128 v[2:5], v[2:3], off
	s_wait_loadcnt 0x0
	v_mul_f64_e64 v[16:17], v[4:5], -v[12:13]
	v_mul_f64_e32 v[18:19], v[10:11], v[4:5]
	v_fmac_f64_e32 v[16:17], v[10:11], v[2:3]
	s_delay_alu instid0(VALU_DEP_2)
	v_fmac_f64_e32 v[18:19], v[12:13], v[2:3]
	s_branch .LBB75_16
.LBB75_14:                              ;   in Loop: Header=BB75_16 Depth=2
	s_or_b32 exec_lo, exec_lo, s31
.LBB75_15:                              ;   in Loop: Header=BB75_16 Depth=2
	s_delay_alu instid0(SALU_CYCLE_1) | instskip(SKIP_3) | instid1(VALU_DEP_1)
	s_or_b32 exec_lo, exec_lo, s30
	s_wait_loadcnt 0x0
	v_mul_f64_e64 v[28:29], v[4:5], -v[18:19]
	v_dual_mul_f64 v[4:5], v[16:17], v[4:5] :: v_dual_add_nc_u32 v26, 64, v26
	v_cmp_ge_i32_e32 vcc_lo, v26, v25
	s_or_b32 s23, vcc_lo, s23
	s_delay_alu instid0(VALU_DEP_3) | instskip(NEXT) | instid1(VALU_DEP_3)
	v_fmac_f64_e32 v[28:29], v[16:17], v[2:3]
	v_fmac_f64_e32 v[4:5], v[18:19], v[2:3]
	v_lshlrev_b32_e32 v2, 4, v15
	s_delay_alu instid0(VALU_DEP_1)
	v_add3_u32 v2, 0, v2, 0x10000
	ds_add_f64 v2, v[28:29]
	ds_add_f64 v2, v[4:5] offset:8
	s_and_not1_b32 exec_lo, exec_lo, s23
	s_cbranch_execz .LBB75_11
.LBB75_16:                              ;   Parent Loop BB75_12 Depth=1
                                        ; =>  This Loop Header: Depth=2
                                        ;       Child Loop BB75_19 Depth 3
	s_clause 0x1
	global_load_b32 v15, v26, s[8:9] scale_offset
	global_load_b128 v[2:5], v26, s[10:11] scale_offset
	s_mov_b32 s30, exec_lo
	s_wait_loadcnt 0x1
	v_subrev_nc_u32_e32 v27, s17, v15
	s_delay_alu instid0(VALU_DEP_1) | instskip(NEXT) | instid1(VALU_DEP_1)
	v_mul_lo_u32 v15, 0x89, v27
	v_and_b32_e32 v15, 0x3fff, v15
	s_delay_alu instid0(VALU_DEP_1)
	v_lshl_add_u32 v28, v15, 2, 0
	ds_load_b32 v29, v28
	s_wait_dscnt 0x0
	s_wait_xcnt 0x0
	v_cmpx_ne_u32_e64 v29, v27
	s_cbranch_execz .LBB75_15
; %bb.17:                               ;   in Loop: Header=BB75_16 Depth=2
	s_mov_b32 s31, 0
	s_branch .LBB75_19
.LBB75_18:                              ;   in Loop: Header=BB75_19 Depth=3
	s_or_b32 exec_lo, exec_lo, s37
	s_delay_alu instid0(SALU_CYCLE_1) | instskip(NEXT) | instid1(SALU_CYCLE_1)
	s_and_b32 s35, exec_lo, s36
	s_or_b32 s31, s35, s31
	s_delay_alu instid0(SALU_CYCLE_1)
	s_and_not1_b32 exec_lo, exec_lo, s31
	s_cbranch_execz .LBB75_14
.LBB75_19:                              ;   Parent Loop BB75_12 Depth=1
                                        ;     Parent Loop BB75_16 Depth=2
                                        ; =>    This Inner Loop Header: Depth=3
	s_mov_b32 s35, 0
	s_mov_b32 s36, exec_lo
	v_cmpx_ne_u32_e64 s33, v29
	s_xor_b32 s36, exec_lo, s36
	s_cbranch_execz .LBB75_21
; %bb.20:                               ;   in Loop: Header=BB75_19 Depth=3
	v_add_nc_u32_e32 v15, 1, v15
	s_mov_b32 s35, exec_lo
                                        ; implicit-def: $vgpr28
	s_delay_alu instid0(VALU_DEP_1)
	v_and_b32_e32 v15, 0x3fff, v15
	s_and_not1_saveexec_b32 s36, s36
	s_cbranch_execz .LBB75_23
	s_branch .LBB75_22
.LBB75_21:                              ;   in Loop: Header=BB75_19 Depth=3
	s_and_not1_saveexec_b32 s36, s36
	s_cbranch_execz .LBB75_23
.LBB75_22:                              ;   in Loop: Header=BB75_19 Depth=3
	v_mov_b32_e32 v29, s33
	s_and_not1_b32 s35, s35, exec_lo
	ds_cmpstore_rtn_b32 v28, v28, v27, v29
	s_wait_dscnt 0x0
	v_cmp_ne_u32_e32 vcc_lo, s33, v28
	s_and_b32 s37, vcc_lo, exec_lo
	s_delay_alu instid0(SALU_CYCLE_1)
	s_or_b32 s35, s35, s37
.LBB75_23:                              ;   in Loop: Header=BB75_19 Depth=3
	s_or_b32 exec_lo, exec_lo, s36
	s_mov_b32 s36, -1
                                        ; implicit-def: $vgpr28
                                        ; implicit-def: $vgpr29
	s_and_saveexec_b32 s37, s35
	s_cbranch_execz .LBB75_18
; %bb.24:                               ;   in Loop: Header=BB75_19 Depth=3
	v_lshl_add_u32 v28, v15, 2, 0
	ds_load_b32 v29, v28
	s_wait_dscnt 0x0
	v_cmp_eq_u32_e32 vcc_lo, v29, v27
	s_or_not1_b32 s36, vcc_lo, exec_lo
	s_branch .LBB75_18
.LBB75_25:
	s_or_b32 exec_lo, exec_lo, s1
.LBB75_26:
	s_delay_alu instid0(SALU_CYCLE_1)
	s_and_not1_b32 vcc_lo, exec_lo, s34
	s_cbranch_vccnz .LBB75_41
; %bb.27:
	s_wait_kmcnt 0x0
	s_ashr_i32 s21, s20, 31
	v_subrev_nc_u32_e32 v2, s19, v0
	s_lshl_b64 s[0:1], s[20:21], 2
	s_delay_alu instid0(SALU_CYCLE_1)
	s_add_nc_u64 s[0:1], s[2:3], s[0:1]
	s_load_b64 s[2:3], s[0:1], 0x0
	s_wait_xcnt 0x0
	s_mov_b32 s1, exec_lo
	s_wait_kmcnt 0x0
	v_add_nc_u32_e32 v10, s2, v2
	s_sub_co_i32 s0, s3, s19
	s_delay_alu instid0(VALU_DEP_1) | instid1(SALU_CYCLE_1)
	v_cmpx_gt_i32_e64 s0, v10
	s_cbranch_execz .LBB75_40
; %bb.28:
	s_mov_b32 s2, 0
	s_branch .LBB75_31
.LBB75_29:                              ;   in Loop: Header=BB75_31 Depth=1
	s_or_b32 exec_lo, exec_lo, s8
.LBB75_30:                              ;   in Loop: Header=BB75_31 Depth=1
	s_delay_alu instid0(SALU_CYCLE_1) | instskip(SKIP_4) | instid1(VALU_DEP_1)
	s_or_b32 exec_lo, exec_lo, s3
	s_wait_loadcnt 0x0
	v_mul_f64_e64 v[12:13], v[4:5], -v[6:7]
	v_mul_f64_e32 v[4:5], v[8:9], v[4:5]
	v_add_nc_u32_e32 v10, 0x400, v10
	v_cmp_le_i32_e32 vcc_lo, s0, v10
	s_or_b32 s2, vcc_lo, s2
	s_delay_alu instid0(VALU_DEP_4) | instskip(NEXT) | instid1(VALU_DEP_4)
	v_fmac_f64_e32 v[12:13], v[8:9], v[2:3]
	v_fmac_f64_e32 v[4:5], v[6:7], v[2:3]
	v_lshlrev_b32_e32 v2, 4, v11
	s_delay_alu instid0(VALU_DEP_1)
	v_add3_u32 v2, 0, v2, 0x10000
	ds_add_f64 v2, v[12:13]
	ds_add_f64 v2, v[4:5] offset:8
	s_and_not1_b32 exec_lo, exec_lo, s2
	s_cbranch_execz .LBB75_40
.LBB75_31:                              ; =>This Loop Header: Depth=1
                                        ;     Child Loop BB75_34 Depth 2
	s_clause 0x1
	global_load_b32 v11, v10, s[4:5] scale_offset
	global_load_b128 v[2:5], v10, s[6:7] scale_offset
	s_mov_b32 s3, exec_lo
	s_wait_loadcnt 0x1
	v_subrev_nc_u32_e32 v12, s19, v11
	s_delay_alu instid0(VALU_DEP_1) | instskip(NEXT) | instid1(VALU_DEP_1)
	v_mul_lo_u32 v11, 0x89, v12
	v_and_b32_e32 v11, 0x3fff, v11
	s_delay_alu instid0(VALU_DEP_1)
	v_lshl_add_u32 v13, v11, 2, 0
	ds_load_b32 v14, v13
	s_wait_dscnt 0x0
	s_wait_xcnt 0x0
	v_cmpx_ne_u32_e64 v14, v12
	s_cbranch_execz .LBB75_30
; %bb.32:                               ;   in Loop: Header=BB75_31 Depth=1
	s_mov_b32 s8, 0
	s_branch .LBB75_34
.LBB75_33:                              ;   in Loop: Header=BB75_34 Depth=2
	s_or_b32 exec_lo, exec_lo, s11
	s_delay_alu instid0(SALU_CYCLE_1) | instskip(NEXT) | instid1(SALU_CYCLE_1)
	s_and_b32 s9, exec_lo, s10
	s_or_b32 s8, s9, s8
	s_delay_alu instid0(SALU_CYCLE_1)
	s_and_not1_b32 exec_lo, exec_lo, s8
	s_cbranch_execz .LBB75_29
.LBB75_34:                              ;   Parent Loop BB75_31 Depth=1
                                        ; =>  This Inner Loop Header: Depth=2
	s_mov_b32 s9, 0
	s_mov_b32 s10, exec_lo
	v_cmpx_ne_u32_e64 s33, v14
	s_xor_b32 s10, exec_lo, s10
	s_cbranch_execz .LBB75_36
; %bb.35:                               ;   in Loop: Header=BB75_34 Depth=2
	v_add_nc_u32_e32 v11, 1, v11
	s_mov_b32 s9, exec_lo
                                        ; implicit-def: $vgpr13
	s_delay_alu instid0(VALU_DEP_1)
	v_and_b32_e32 v11, 0x3fff, v11
	s_and_not1_saveexec_b32 s10, s10
	s_cbranch_execz .LBB75_38
	s_branch .LBB75_37
.LBB75_36:                              ;   in Loop: Header=BB75_34 Depth=2
	s_and_not1_saveexec_b32 s10, s10
	s_cbranch_execz .LBB75_38
.LBB75_37:                              ;   in Loop: Header=BB75_34 Depth=2
	v_mov_b32_e32 v14, s33
	s_and_not1_b32 s9, s9, exec_lo
	ds_cmpstore_rtn_b32 v13, v13, v12, v14
	s_wait_dscnt 0x0
	v_cmp_ne_u32_e32 vcc_lo, s33, v13
	s_and_b32 s11, vcc_lo, exec_lo
	s_delay_alu instid0(SALU_CYCLE_1)
	s_or_b32 s9, s9, s11
.LBB75_38:                              ;   in Loop: Header=BB75_34 Depth=2
	s_or_b32 exec_lo, exec_lo, s10
	s_mov_b32 s10, -1
                                        ; implicit-def: $vgpr13
                                        ; implicit-def: $vgpr14
	s_and_saveexec_b32 s11, s9
	s_cbranch_execz .LBB75_33
; %bb.39:                               ;   in Loop: Header=BB75_34 Depth=2
	v_lshl_add_u32 v13, v11, 2, 0
	ds_load_b32 v14, v13
	s_wait_dscnt 0x0
	v_cmp_eq_u32_e32 vcc_lo, v14, v12
	s_or_not1_b32 s10, vcc_lo, exec_lo
	s_branch .LBB75_33
.LBB75_40:
	s_or_b32 exec_lo, exec_lo, s1
.LBB75_41:
	v_dual_lshlrev_b32 v4, 2, v23 :: v_dual_bitop2_b32 v2, 31, v21 bitop3:0x14
	s_add_co_i32 s36, 0, 0x5003c
	s_delay_alu instid0(SALU_CYCLE_1) | instskip(NEXT) | instid1(VALU_DEP_2)
	v_dual_mov_b32 v3, 0 :: v_dual_mov_b32 v6, s36
	v_lshrrev_b32_e64 v2, v2, -1
	s_delay_alu instid0(VALU_DEP_3)
	v_add3_u32 v4, 0x50000, 0, v4
	s_wait_xcnt 0x0
	v_cmp_lt_u32_e64 s0, 63, v0
	v_cmp_lt_u32_e64 s1, 0x7f, v0
	;; [unrolled: 1-line block ×15, first 2 shown]
	v_add3_u32 v5, v22, 0, 0x10000
	s_mov_b32 s16, 0
	s_add_co_i32 s17, 0, 0x50000
	s_add_co_i32 s19, 0, 0x50004
	;; [unrolled: 1-line block ×15, first 2 shown]
	s_wait_dscnt 0x0
	s_barrier_signal -1
	s_barrier_wait -1
	v_cmp_eq_u32_e32 vcc_lo, 0x3ff, v0
	s_branch .LBB75_43
.LBB75_42:                              ;   in Loop: Header=BB75_43 Depth=1
	s_or_b32 exec_lo, exec_lo, s15
	s_wait_dscnt 0x0
	s_barrier_signal -1
	s_barrier_wait -1
	ds_load_b32 v7, v6
	v_add_nc_u32_e32 v1, 0x400, v1
	v_add_nc_u32_e32 v5, 0x4000, v5
	;; [unrolled: 1-line block ×3, first 2 shown]
	s_delay_alu instid0(VALU_DEP_3)
	v_cmp_lt_u32_e64 s15, 0x3bff, v1
	s_or_b32 s16, s15, s16
	s_wait_dscnt 0x0
	v_add_nc_u32_e32 v3, v7, v3
	s_and_not1_b32 exec_lo, exec_lo, s16
	s_cbranch_execz .LBB75_77
.LBB75_43:                              ; =>This Inner Loop Header: Depth=1
	ds_load_b32 v7, v20
	ds_load_2addr_b64 v[8:11], v5 offset1:1
	s_wait_dscnt 0x1
	v_cmp_gt_i32_e64 s15, s33, v7
	s_wait_dscnt 0x0
	scratch_store_b128 off, v[8:11], off
	s_wait_storecnt 0x0
	s_barrier_signal -1
	s_barrier_wait -1
	s_bcnt1_i32_b32 s41, s15
	s_wait_xcnt 0x0
	v_dual_mov_b32 v9, s41 :: v_dual_bitop2_b32 v8, s15, v2 bitop3:0x40
	s_delay_alu instid0(VALU_DEP_1)
	v_bcnt_u32_b32 v8, v8, 0
	ds_store_b32 v4, v9
	s_wait_dscnt 0x0
	s_barrier_signal -1
	s_barrier_wait -1
	s_and_saveexec_b32 s41, s0
	s_cbranch_execz .LBB75_60
; %bb.44:                               ;   in Loop: Header=BB75_43 Depth=1
	v_mov_b32_e32 v9, s17
	ds_load_b32 v9, v9
	s_wait_dscnt 0x0
	v_add_nc_u32_e32 v8, v9, v8
	s_or_b32 exec_lo, exec_lo, s41
	s_and_saveexec_b32 s41, s1
	s_cbranch_execnz .LBB75_61
.LBB75_45:                              ;   in Loop: Header=BB75_43 Depth=1
	s_or_b32 exec_lo, exec_lo, s41
	s_and_saveexec_b32 s41, s2
	s_cbranch_execz .LBB75_62
.LBB75_46:                              ;   in Loop: Header=BB75_43 Depth=1
	v_mov_b32_e32 v9, s21
	ds_load_b32 v9, v9
	s_wait_dscnt 0x0
	v_add_nc_u32_e32 v8, v9, v8
	s_or_b32 exec_lo, exec_lo, s41
	s_and_saveexec_b32 s41, s3
	s_cbranch_execnz .LBB75_63
.LBB75_47:                              ;   in Loop: Header=BB75_43 Depth=1
	s_or_b32 exec_lo, exec_lo, s41
	s_and_saveexec_b32 s41, s4
	s_cbranch_execz .LBB75_64
.LBB75_48:                              ;   in Loop: Header=BB75_43 Depth=1
	v_mov_b32_e32 v9, s23
	ds_load_b32 v9, v9
	s_wait_dscnt 0x0
	v_add_nc_u32_e32 v8, v9, v8
	s_or_b32 exec_lo, exec_lo, s41
	s_and_saveexec_b32 s41, s5
	s_cbranch_execnz .LBB75_65
.LBB75_49:                              ;   in Loop: Header=BB75_43 Depth=1
	s_or_b32 exec_lo, exec_lo, s41
	s_and_saveexec_b32 s41, s6
	s_cbranch_execz .LBB75_66
.LBB75_50:                              ;   in Loop: Header=BB75_43 Depth=1
	v_mov_b32_e32 v9, s29
	ds_load_b32 v9, v9
	s_wait_dscnt 0x0
	v_add_nc_u32_e32 v8, v9, v8
	s_or_b32 exec_lo, exec_lo, s41
	s_and_saveexec_b32 s41, s7
	s_cbranch_execnz .LBB75_67
.LBB75_51:                              ;   in Loop: Header=BB75_43 Depth=1
	s_or_b32 exec_lo, exec_lo, s41
	s_and_saveexec_b32 s41, s8
	s_cbranch_execz .LBB75_68
.LBB75_52:                              ;   in Loop: Header=BB75_43 Depth=1
	v_mov_b32_e32 v9, s31
	ds_load_b32 v9, v9
	s_wait_dscnt 0x0
	v_add_nc_u32_e32 v8, v9, v8
	s_or_b32 exec_lo, exec_lo, s41
	s_and_saveexec_b32 s41, s9
	s_cbranch_execnz .LBB75_69
.LBB75_53:                              ;   in Loop: Header=BB75_43 Depth=1
	s_or_b32 exec_lo, exec_lo, s41
	s_and_saveexec_b32 s41, s10
	s_cbranch_execz .LBB75_70
.LBB75_54:                              ;   in Loop: Header=BB75_43 Depth=1
	v_mov_b32_e32 v9, s35
	ds_load_b32 v9, v9
	s_wait_dscnt 0x0
	v_add_nc_u32_e32 v8, v9, v8
	s_or_b32 exec_lo, exec_lo, s41
	s_and_saveexec_b32 s41, s11
	s_cbranch_execnz .LBB75_71
.LBB75_55:                              ;   in Loop: Header=BB75_43 Depth=1
	s_or_b32 exec_lo, exec_lo, s41
	s_and_saveexec_b32 s41, s12
	s_cbranch_execz .LBB75_72
.LBB75_56:                              ;   in Loop: Header=BB75_43 Depth=1
	v_mov_b32_e32 v9, s38
	ds_load_b32 v9, v9
	s_wait_dscnt 0x0
	v_add_nc_u32_e32 v8, v9, v8
	s_or_b32 exec_lo, exec_lo, s41
	s_and_saveexec_b32 s41, s13
	s_cbranch_execnz .LBB75_73
.LBB75_57:                              ;   in Loop: Header=BB75_43 Depth=1
	s_or_b32 exec_lo, exec_lo, s41
	s_and_saveexec_b32 s41, s14
	s_cbranch_execz .LBB75_74
.LBB75_58:                              ;   in Loop: Header=BB75_43 Depth=1
	v_mov_b32_e32 v9, s40
	ds_load_b32 v9, v9
	s_wait_dscnt 0x0
	v_add_nc_u32_e32 v8, v9, v8
	s_or_b32 exec_lo, exec_lo, s41
	s_and_saveexec_b32 s41, s15
	s_cbranch_execnz .LBB75_75
.LBB75_59:                              ;   in Loop: Header=BB75_43 Depth=1
	s_or_b32 exec_lo, exec_lo, s41
	s_and_saveexec_b32 s15, vcc_lo
	s_cbranch_execz .LBB75_42
	s_branch .LBB75_76
.LBB75_60:                              ;   in Loop: Header=BB75_43 Depth=1
	s_or_b32 exec_lo, exec_lo, s41
	s_and_saveexec_b32 s41, s1
	s_cbranch_execz .LBB75_45
.LBB75_61:                              ;   in Loop: Header=BB75_43 Depth=1
	v_mov_b32_e32 v9, s19
	ds_load_b32 v9, v9
	s_wait_dscnt 0x0
	v_add_nc_u32_e32 v8, v9, v8
	s_or_b32 exec_lo, exec_lo, s41
	s_and_saveexec_b32 s41, s2
	s_cbranch_execnz .LBB75_46
.LBB75_62:                              ;   in Loop: Header=BB75_43 Depth=1
	s_or_b32 exec_lo, exec_lo, s41
	s_and_saveexec_b32 s41, s3
	s_cbranch_execz .LBB75_47
.LBB75_63:                              ;   in Loop: Header=BB75_43 Depth=1
	v_mov_b32_e32 v9, s22
	ds_load_b32 v9, v9
	s_wait_dscnt 0x0
	v_add_nc_u32_e32 v8, v9, v8
	s_or_b32 exec_lo, exec_lo, s41
	s_and_saveexec_b32 s41, s4
	s_cbranch_execnz .LBB75_48
.LBB75_64:                              ;   in Loop: Header=BB75_43 Depth=1
	s_or_b32 exec_lo, exec_lo, s41
	s_and_saveexec_b32 s41, s5
	s_cbranch_execz .LBB75_49
.LBB75_65:                              ;   in Loop: Header=BB75_43 Depth=1
	v_mov_b32_e32 v9, s28
	ds_load_b32 v9, v9
	s_wait_dscnt 0x0
	v_add_nc_u32_e32 v8, v9, v8
	s_or_b32 exec_lo, exec_lo, s41
	s_and_saveexec_b32 s41, s6
	s_cbranch_execnz .LBB75_50
.LBB75_66:                              ;   in Loop: Header=BB75_43 Depth=1
	s_or_b32 exec_lo, exec_lo, s41
	s_and_saveexec_b32 s41, s7
	s_cbranch_execz .LBB75_51
.LBB75_67:                              ;   in Loop: Header=BB75_43 Depth=1
	v_mov_b32_e32 v9, s30
	ds_load_b32 v9, v9
	s_wait_dscnt 0x0
	v_add_nc_u32_e32 v8, v9, v8
	s_or_b32 exec_lo, exec_lo, s41
	s_and_saveexec_b32 s41, s8
	s_cbranch_execnz .LBB75_52
.LBB75_68:                              ;   in Loop: Header=BB75_43 Depth=1
	s_or_b32 exec_lo, exec_lo, s41
	s_and_saveexec_b32 s41, s9
	s_cbranch_execz .LBB75_53
.LBB75_69:                              ;   in Loop: Header=BB75_43 Depth=1
	v_mov_b32_e32 v9, s34
	ds_load_b32 v9, v9
	s_wait_dscnt 0x0
	v_add_nc_u32_e32 v8, v9, v8
	s_or_b32 exec_lo, exec_lo, s41
	s_and_saveexec_b32 s41, s10
	s_cbranch_execnz .LBB75_54
.LBB75_70:                              ;   in Loop: Header=BB75_43 Depth=1
	s_or_b32 exec_lo, exec_lo, s41
	s_and_saveexec_b32 s41, s11
	s_cbranch_execz .LBB75_55
.LBB75_71:                              ;   in Loop: Header=BB75_43 Depth=1
	v_mov_b32_e32 v9, s37
	ds_load_b32 v9, v9
	s_wait_dscnt 0x0
	v_add_nc_u32_e32 v8, v9, v8
	s_or_b32 exec_lo, exec_lo, s41
	s_and_saveexec_b32 s41, s12
	s_cbranch_execnz .LBB75_56
.LBB75_72:                              ;   in Loop: Header=BB75_43 Depth=1
	s_or_b32 exec_lo, exec_lo, s41
	s_and_saveexec_b32 s41, s13
	s_cbranch_execz .LBB75_57
.LBB75_73:                              ;   in Loop: Header=BB75_43 Depth=1
	v_mov_b32_e32 v9, s39
	ds_load_b32 v9, v9
	s_wait_dscnt 0x0
	v_add_nc_u32_e32 v8, v9, v8
	s_or_b32 exec_lo, exec_lo, s41
	s_and_saveexec_b32 s41, s14
	s_cbranch_execnz .LBB75_58
.LBB75_74:                              ;   in Loop: Header=BB75_43 Depth=1
	s_or_b32 exec_lo, exec_lo, s41
	s_and_saveexec_b32 s41, s15
	s_cbranch_execz .LBB75_59
.LBB75_75:                              ;   in Loop: Header=BB75_43 Depth=1
	scratch_load_b128 v[10:13], off, off
	v_add3_u32 v9, v3, -1, v8
	v_add_lshl_u32 v14, v3, v8, 4
	s_delay_alu instid0(VALU_DEP_2) | instskip(NEXT) | instid1(VALU_DEP_2)
	v_lshl_add_u32 v9, v9, 2, 0
	v_add3_u32 v14, 0, v14, 0xfff0
	ds_store_b32 v9, v7
	s_wait_loadcnt 0x0
	ds_store_2addr_b64 v14, v[10:11], v[12:13] offset1:1
	s_or_b32 exec_lo, exec_lo, s41
	s_and_saveexec_b32 s15, vcc_lo
	s_cbranch_execz .LBB75_42
.LBB75_76:                              ;   in Loop: Header=BB75_43 Depth=1
	v_mov_b32_e32 v7, s36
	ds_store_b32 v7, v8
	s_branch .LBB75_42
.LBB75_77:
	s_or_b32 exec_lo, exec_lo, s16
	s_wait_kmcnt 0x0
	s_ashr_i32 s21, s20, 31
	s_delay_alu instid0(SALU_CYCLE_1) | instskip(NEXT) | instid1(SALU_CYCLE_1)
	s_lshl_b64 s[0:1], s[20:21], 2
	s_add_nc_u64 s[2:3], s[26:27], s[0:1]
	s_load_b64 s[0:1], s[2:3], 0x0
	s_wait_kmcnt 0x0
	s_sub_co_i32 s4, s1, s0
	s_mov_b32 s1, exec_lo
	v_cmpx_gt_i32_e64 s4, v0
	s_cbranch_execz .LBB75_91
; %bb.78:
	v_sub_co_u32 v1, s1, s4, 2
	s_sub_co_i32 s2, s0, s18
	s_xor_b32 s6, s1, -1
	s_and_b32 s5, s4, -2
	v_readfirstlane_b32 s3, v1
	s_lshr_b32 s0, s3, 1
	s_mov_b32 s3, 0
	s_add_co_i32 s0, s0, 1
	s_mov_b32 s11, s3
	s_and_b32 s1, s0, 7
	s_and_b32 s7, s0, -8
	s_cmp_lg_u32 s1, 0
	v_cmp_lt_u32_e64 s0, 13, v1
	s_cselect_b32 s8, -1, 0
	s_cmp_lg_u32 s4, s5
	s_cselect_b32 s9, -1, 0
	s_lshl_b32 s10, s1, 3
	s_branch .LBB75_80
.LBB75_79:                              ;   in Loop: Header=BB75_80 Depth=1
	s_wait_dscnt 0x0
	v_lshlrev_b32_e32 v1, 4, v0
	v_add_nc_u32_e32 v0, 0x400, v0
	s_delay_alu instid0(VALU_DEP_2) | instskip(NEXT) | instid1(VALU_DEP_2)
	v_add3_u32 v1, 0, v1, 0x10000
	v_cmp_le_i32_e32 vcc_lo, s4, v0
	ds_load_2addr_b64 v[4:7], v1 offset1:1
	s_or_b32 s11, vcc_lo, s11
	s_wait_dscnt 0x0
	global_store_b128 v2, v[4:7], s[24:25] scale_offset
	s_wait_xcnt 0x0
	s_and_not1_b32 exec_lo, exec_lo, s11
	s_cbranch_execz .LBB75_91
.LBB75_80:                              ; =>This Loop Header: Depth=1
                                        ;     Child Loop BB75_83 Depth 2
                                        ;     Child Loop BB75_86 Depth 2
	;; [unrolled: 1-line block ×3, first 2 shown]
	v_lshl_add_u32 v1, v0, 2, 0
	v_mov_b32_e32 v2, s2
	s_and_not1_b32 vcc_lo, exec_lo, s6
	s_mov_b32 s1, 0
	s_mov_b32 s12, -1
	ds_load_b32 v1, v1
	s_cbranch_vccnz .LBB75_88
; %bb.81:                               ;   in Loop: Header=BB75_80 Depth=1
	v_mov_b64_e32 v[2:3], s[2:3]
	s_and_not1_b32 vcc_lo, exec_lo, s0
	s_mov_b32 s12, 0
	s_cbranch_vccnz .LBB75_84
; %bb.82:                               ;   in Loop: Header=BB75_80 Depth=1
	v_dual_mov_b32 v2, s2 :: v_dual_mov_b32 v3, 0
	s_mov_b32 s13, 0
	s_mov_b32 s14, s7
.LBB75_83:                              ;   Parent Loop BB75_80 Depth=1
                                        ; =>  This Inner Loop Header: Depth=2
	v_mov_b32_e32 v18, s13
	s_add_co_i32 s14, s14, -8
	s_add_co_i32 s12, s12, 16
	s_add_co_i32 s13, s13, 64
	s_cmp_lg_u32 s14, 0
	ds_load_2addr_b32 v[4:5], v18 offset1:1
	ds_load_2addr_b32 v[6:7], v18 offset0:2 offset1:3
	ds_load_2addr_b32 v[8:9], v18 offset0:4 offset1:5
	ds_load_2addr_b32 v[10:11], v18 offset0:8 offset1:9
	ds_load_2addr_b32 v[12:13], v18 offset0:12 offset1:13
	ds_load_2addr_b32 v[14:15], v18 offset0:6 offset1:7
	ds_load_2addr_b32 v[16:17], v18 offset0:10 offset1:11
	ds_load_2addr_b32 v[18:19], v18 offset0:14 offset1:15
	s_wait_dscnt 0x7
	v_cmp_gt_i32_e32 vcc_lo, v1, v5
	s_wait_dscnt 0x5
	v_cmp_gt_i32_e64 s1, v1, v8
	v_cndmask_b32_e64 v5, 0, 1, vcc_lo
	v_cmp_gt_i32_e32 vcc_lo, v1, v4
	v_cndmask_b32_e64 v4, 0, 1, vcc_lo
	v_cmp_gt_i32_e32 vcc_lo, v1, v6
	v_cndmask_b32_e64 v6, 0, 1, s1
	v_cmp_gt_i32_e64 s1, v1, v9
	s_delay_alu instid0(VALU_DEP_4) | instskip(NEXT) | instid1(VALU_DEP_2)
	v_add_co_ci_u32_e64 v2, null, v2, v4, vcc_lo
	v_cndmask_b32_e64 v8, 0, 1, s1
	s_wait_dscnt 0x4
	v_cmp_gt_i32_e64 s1, v1, v11
	s_wait_dscnt 0x2
	v_cmp_gt_i32_e32 vcc_lo, v1, v14
	s_delay_alu instid0(VALU_DEP_2) | instskip(SKIP_4) | instid1(VALU_DEP_3)
	v_cndmask_b32_e64 v9, 0, 1, s1
	v_cmp_gt_i32_e64 s1, v1, v10
	v_add_co_ci_u32_e64 v2, null, v2, v6, vcc_lo
	s_wait_dscnt 0x1
	v_cmp_gt_i32_e32 vcc_lo, v1, v16
	v_cndmask_b32_e64 v10, 0, 1, s1
	v_cmp_gt_i32_e64 s1, v1, v12
	s_delay_alu instid0(VALU_DEP_2) | instskip(NEXT) | instid1(VALU_DEP_2)
	v_add_co_ci_u32_e64 v2, null, v2, v10, vcc_lo
	v_cndmask_b32_e64 v11, 0, 1, s1
	v_cmp_gt_i32_e64 s1, v1, v13
	s_wait_dscnt 0x0
	v_cmp_gt_i32_e32 vcc_lo, v1, v18
	s_delay_alu instid0(VALU_DEP_2) | instskip(SKIP_2) | instid1(VALU_DEP_2)
	v_cndmask_b32_e64 v12, 0, 1, s1
	v_cmp_gt_i32_e64 s1, v1, v7
	v_add_co_ci_u32_e64 v2, null, v2, v11, vcc_lo
	v_add_co_ci_u32_e64 v3, null, v3, v5, s1
	v_cmp_gt_i32_e64 s1, v1, v15
	s_delay_alu instid0(VALU_DEP_1) | instskip(SKIP_1) | instid1(VALU_DEP_1)
	v_add_co_ci_u32_e64 v3, null, v3, v8, s1
	v_cmp_gt_i32_e64 s1, v1, v17
	v_add_co_ci_u32_e64 v3, null, v3, v9, s1
	v_cmp_gt_i32_e64 s1, v1, v19
	s_delay_alu instid0(VALU_DEP_1)
	v_add_co_ci_u32_e64 v3, null, v3, v12, s1
	s_cbranch_scc1 .LBB75_83
.LBB75_84:                              ;   in Loop: Header=BB75_80 Depth=1
	s_and_not1_b32 vcc_lo, exec_lo, s8
	s_cbranch_vccnz .LBB75_87
; %bb.85:                               ;   in Loop: Header=BB75_80 Depth=1
	s_lshl_b32 s1, s12, 2
	s_mov_b32 s12, s10
	s_add_co_i32 s1, s1, 0
.LBB75_86:                              ;   Parent Loop BB75_80 Depth=1
                                        ; =>  This Inner Loop Header: Depth=2
	s_delay_alu instid0(SALU_CYCLE_1)
	v_mov_b32_e32 v4, s1
	s_add_co_i32 s12, s12, -8
	s_add_co_i32 s1, s1, 8
	s_cmp_lg_u32 s12, 0
	ds_load_2addr_b32 v[4:5], v4 offset1:1
	s_wait_dscnt 0x0
	v_cmp_gt_i32_e32 vcc_lo, v1, v5
	v_add_co_ci_u32_e64 v3, null, 0, v3, vcc_lo
	v_cmp_gt_i32_e32 vcc_lo, v1, v4
	v_add_co_ci_u32_e64 v2, null, 0, v2, vcc_lo
	s_cbranch_scc1 .LBB75_86
.LBB75_87:                              ;   in Loop: Header=BB75_80 Depth=1
	s_delay_alu instid0(VALU_DEP_1)
	v_add_nc_u32_e32 v2, v2, v3
	s_mov_b32 s1, s5
	s_mov_b32 s12, s9
.LBB75_88:                              ;   in Loop: Header=BB75_80 Depth=1
	s_delay_alu instid0(SALU_CYCLE_1)
	s_and_b32 vcc_lo, exec_lo, s12
	s_cbranch_vccz .LBB75_79
; %bb.89:                               ;   in Loop: Header=BB75_80 Depth=1
	s_lshl_b32 s12, s1, 2
	s_delay_alu instid0(SALU_CYCLE_1)
	s_add_co_i32 s12, s12, 0
.LBB75_90:                              ;   Parent Loop BB75_80 Depth=1
                                        ; =>  This Inner Loop Header: Depth=2
	s_delay_alu instid0(SALU_CYCLE_1)
	v_mov_b32_e32 v3, s12
	s_add_co_i32 s1, s1, 1
	s_add_co_i32 s12, s12, 4
	s_cmp_ge_i32 s1, s4
	ds_load_b32 v3, v3
	s_wait_dscnt 0x0
	v_cmp_gt_i32_e32 vcc_lo, v1, v3
	v_add_co_ci_u32_e64 v2, null, 0, v2, vcc_lo
	s_cbranch_scc0 .LBB75_90
	s_branch .LBB75_79
.LBB75_91:
	s_endpgm
	.section	.rodata,"a",@progbits
	.p2align	6, 0x0
	.amdhsa_kernel _ZN9rocsparseL41csrgemm_numeric_fill_block_per_row_kernelILj1024ELj64ELj16384ELj137ELj64Eii21rocsparse_complex_numIdEEEvT5_PKS3_S5_NS_24const_host_device_scalarIT6_EEPKT4_S5_PKS7_SB_S5_SD_S8_SB_S5_SD_SB_S5_PS7_21rocsparse_index_base_SF_SF_SF_bbb
		.amdhsa_group_segment_fixed_size 0
		.amdhsa_private_segment_fixed_size 40
		.amdhsa_kernarg_size 172
		.amdhsa_user_sgpr_count 2
		.amdhsa_user_sgpr_dispatch_ptr 0
		.amdhsa_user_sgpr_queue_ptr 0
		.amdhsa_user_sgpr_kernarg_segment_ptr 1
		.amdhsa_user_sgpr_dispatch_id 0
		.amdhsa_user_sgpr_kernarg_preload_length 0
		.amdhsa_user_sgpr_kernarg_preload_offset 0
		.amdhsa_user_sgpr_private_segment_size 0
		.amdhsa_wavefront_size32 1
		.amdhsa_uses_dynamic_stack 0
		.amdhsa_enable_private_segment 1
		.amdhsa_system_sgpr_workgroup_id_x 1
		.amdhsa_system_sgpr_workgroup_id_y 0
		.amdhsa_system_sgpr_workgroup_id_z 0
		.amdhsa_system_sgpr_workgroup_info 0
		.amdhsa_system_vgpr_workitem_id 0
		.amdhsa_next_free_vgpr 30
		.amdhsa_next_free_sgpr 42
		.amdhsa_named_barrier_count 0
		.amdhsa_reserve_vcc 1
		.amdhsa_float_round_mode_32 0
		.amdhsa_float_round_mode_16_64 0
		.amdhsa_float_denorm_mode_32 3
		.amdhsa_float_denorm_mode_16_64 3
		.amdhsa_fp16_overflow 0
		.amdhsa_memory_ordered 1
		.amdhsa_forward_progress 1
		.amdhsa_inst_pref_size 32
		.amdhsa_round_robin_scheduling 0
		.amdhsa_exception_fp_ieee_invalid_op 0
		.amdhsa_exception_fp_denorm_src 0
		.amdhsa_exception_fp_ieee_div_zero 0
		.amdhsa_exception_fp_ieee_overflow 0
		.amdhsa_exception_fp_ieee_underflow 0
		.amdhsa_exception_fp_ieee_inexact 0
		.amdhsa_exception_int_div_zero 0
	.end_amdhsa_kernel
	.section	.text._ZN9rocsparseL41csrgemm_numeric_fill_block_per_row_kernelILj1024ELj64ELj16384ELj137ELj64Eii21rocsparse_complex_numIdEEEvT5_PKS3_S5_NS_24const_host_device_scalarIT6_EEPKT4_S5_PKS7_SB_S5_SD_S8_SB_S5_SD_SB_S5_PS7_21rocsparse_index_base_SF_SF_SF_bbb,"axG",@progbits,_ZN9rocsparseL41csrgemm_numeric_fill_block_per_row_kernelILj1024ELj64ELj16384ELj137ELj64Eii21rocsparse_complex_numIdEEEvT5_PKS3_S5_NS_24const_host_device_scalarIT6_EEPKT4_S5_PKS7_SB_S5_SD_S8_SB_S5_SD_SB_S5_PS7_21rocsparse_index_base_SF_SF_SF_bbb,comdat
.Lfunc_end75:
	.size	_ZN9rocsparseL41csrgemm_numeric_fill_block_per_row_kernelILj1024ELj64ELj16384ELj137ELj64Eii21rocsparse_complex_numIdEEEvT5_PKS3_S5_NS_24const_host_device_scalarIT6_EEPKT4_S5_PKS7_SB_S5_SD_S8_SB_S5_SD_SB_S5_PS7_21rocsparse_index_base_SF_SF_SF_bbb, .Lfunc_end75-_ZN9rocsparseL41csrgemm_numeric_fill_block_per_row_kernelILj1024ELj64ELj16384ELj137ELj64Eii21rocsparse_complex_numIdEEEvT5_PKS3_S5_NS_24const_host_device_scalarIT6_EEPKT4_S5_PKS7_SB_S5_SD_S8_SB_S5_SD_SB_S5_PS7_21rocsparse_index_base_SF_SF_SF_bbb
                                        ; -- End function
	.set _ZN9rocsparseL41csrgemm_numeric_fill_block_per_row_kernelILj1024ELj64ELj16384ELj137ELj64Eii21rocsparse_complex_numIdEEEvT5_PKS3_S5_NS_24const_host_device_scalarIT6_EEPKT4_S5_PKS7_SB_S5_SD_S8_SB_S5_SD_SB_S5_PS7_21rocsparse_index_base_SF_SF_SF_bbb.num_vgpr, 30
	.set _ZN9rocsparseL41csrgemm_numeric_fill_block_per_row_kernelILj1024ELj64ELj16384ELj137ELj64Eii21rocsparse_complex_numIdEEEvT5_PKS3_S5_NS_24const_host_device_scalarIT6_EEPKT4_S5_PKS7_SB_S5_SD_S8_SB_S5_SD_SB_S5_PS7_21rocsparse_index_base_SF_SF_SF_bbb.num_agpr, 0
	.set _ZN9rocsparseL41csrgemm_numeric_fill_block_per_row_kernelILj1024ELj64ELj16384ELj137ELj64Eii21rocsparse_complex_numIdEEEvT5_PKS3_S5_NS_24const_host_device_scalarIT6_EEPKT4_S5_PKS7_SB_S5_SD_S8_SB_S5_SD_SB_S5_PS7_21rocsparse_index_base_SF_SF_SF_bbb.numbered_sgpr, 42
	.set _ZN9rocsparseL41csrgemm_numeric_fill_block_per_row_kernelILj1024ELj64ELj16384ELj137ELj64Eii21rocsparse_complex_numIdEEEvT5_PKS3_S5_NS_24const_host_device_scalarIT6_EEPKT4_S5_PKS7_SB_S5_SD_S8_SB_S5_SD_SB_S5_PS7_21rocsparse_index_base_SF_SF_SF_bbb.num_named_barrier, 0
	.set _ZN9rocsparseL41csrgemm_numeric_fill_block_per_row_kernelILj1024ELj64ELj16384ELj137ELj64Eii21rocsparse_complex_numIdEEEvT5_PKS3_S5_NS_24const_host_device_scalarIT6_EEPKT4_S5_PKS7_SB_S5_SD_S8_SB_S5_SD_SB_S5_PS7_21rocsparse_index_base_SF_SF_SF_bbb.private_seg_size, 40
	.set _ZN9rocsparseL41csrgemm_numeric_fill_block_per_row_kernelILj1024ELj64ELj16384ELj137ELj64Eii21rocsparse_complex_numIdEEEvT5_PKS3_S5_NS_24const_host_device_scalarIT6_EEPKT4_S5_PKS7_SB_S5_SD_S8_SB_S5_SD_SB_S5_PS7_21rocsparse_index_base_SF_SF_SF_bbb.uses_vcc, 1
	.set _ZN9rocsparseL41csrgemm_numeric_fill_block_per_row_kernelILj1024ELj64ELj16384ELj137ELj64Eii21rocsparse_complex_numIdEEEvT5_PKS3_S5_NS_24const_host_device_scalarIT6_EEPKT4_S5_PKS7_SB_S5_SD_S8_SB_S5_SD_SB_S5_PS7_21rocsparse_index_base_SF_SF_SF_bbb.uses_flat_scratch, 1
	.set _ZN9rocsparseL41csrgemm_numeric_fill_block_per_row_kernelILj1024ELj64ELj16384ELj137ELj64Eii21rocsparse_complex_numIdEEEvT5_PKS3_S5_NS_24const_host_device_scalarIT6_EEPKT4_S5_PKS7_SB_S5_SD_S8_SB_S5_SD_SB_S5_PS7_21rocsparse_index_base_SF_SF_SF_bbb.has_dyn_sized_stack, 0
	.set _ZN9rocsparseL41csrgemm_numeric_fill_block_per_row_kernelILj1024ELj64ELj16384ELj137ELj64Eii21rocsparse_complex_numIdEEEvT5_PKS3_S5_NS_24const_host_device_scalarIT6_EEPKT4_S5_PKS7_SB_S5_SD_S8_SB_S5_SD_SB_S5_PS7_21rocsparse_index_base_SF_SF_SF_bbb.has_recursion, 0
	.set _ZN9rocsparseL41csrgemm_numeric_fill_block_per_row_kernelILj1024ELj64ELj16384ELj137ELj64Eii21rocsparse_complex_numIdEEEvT5_PKS3_S5_NS_24const_host_device_scalarIT6_EEPKT4_S5_PKS7_SB_S5_SD_S8_SB_S5_SD_SB_S5_PS7_21rocsparse_index_base_SF_SF_SF_bbb.has_indirect_call, 0
	.section	.AMDGPU.csdata,"",@progbits
; Kernel info:
; codeLenInByte = 3992
; TotalNumSgprs: 44
; NumVgprs: 30
; ScratchSize: 40
; MemoryBound: 0
; FloatMode: 240
; IeeeMode: 1
; LDSByteSize: 0 bytes/workgroup (compile time only)
; SGPRBlocks: 0
; VGPRBlocks: 1
; NumSGPRsForWavesPerEU: 44
; NumVGPRsForWavesPerEU: 30
; NamedBarCnt: 0
; Occupancy: 16
; WaveLimiterHint : 1
; COMPUTE_PGM_RSRC2:SCRATCH_EN: 1
; COMPUTE_PGM_RSRC2:USER_SGPR: 2
; COMPUTE_PGM_RSRC2:TRAP_HANDLER: 0
; COMPUTE_PGM_RSRC2:TGID_X_EN: 1
; COMPUTE_PGM_RSRC2:TGID_Y_EN: 0
; COMPUTE_PGM_RSRC2:TGID_Z_EN: 0
; COMPUTE_PGM_RSRC2:TIDIG_COMP_CNT: 0
	.section	.text._ZN9rocsparseL41csrgemm_numeric_fill_block_per_row_kernelILj1024ELj64ELj32768ELj137ELj32Eii21rocsparse_complex_numIdEEEvT5_PKS3_S5_NS_24const_host_device_scalarIT6_EEPKT4_S5_PKS7_SB_S5_SD_S8_SB_S5_SD_SB_S5_PS7_21rocsparse_index_base_SF_SF_SF_bbb,"axG",@progbits,_ZN9rocsparseL41csrgemm_numeric_fill_block_per_row_kernelILj1024ELj64ELj32768ELj137ELj32Eii21rocsparse_complex_numIdEEEvT5_PKS3_S5_NS_24const_host_device_scalarIT6_EEPKT4_S5_PKS7_SB_S5_SD_S8_SB_S5_SD_SB_S5_PS7_21rocsparse_index_base_SF_SF_SF_bbb,comdat
	.globl	_ZN9rocsparseL41csrgemm_numeric_fill_block_per_row_kernelILj1024ELj64ELj32768ELj137ELj32Eii21rocsparse_complex_numIdEEEvT5_PKS3_S5_NS_24const_host_device_scalarIT6_EEPKT4_S5_PKS7_SB_S5_SD_S8_SB_S5_SD_SB_S5_PS7_21rocsparse_index_base_SF_SF_SF_bbb ; -- Begin function _ZN9rocsparseL41csrgemm_numeric_fill_block_per_row_kernelILj1024ELj64ELj32768ELj137ELj32Eii21rocsparse_complex_numIdEEEvT5_PKS3_S5_NS_24const_host_device_scalarIT6_EEPKT4_S5_PKS7_SB_S5_SD_S8_SB_S5_SD_SB_S5_PS7_21rocsparse_index_base_SF_SF_SF_bbb
	.p2align	8
	.type	_ZN9rocsparseL41csrgemm_numeric_fill_block_per_row_kernelILj1024ELj64ELj32768ELj137ELj32Eii21rocsparse_complex_numIdEEEvT5_PKS3_S5_NS_24const_host_device_scalarIT6_EEPKT4_S5_PKS7_SB_S5_SD_S8_SB_S5_SD_SB_S5_PS7_21rocsparse_index_base_SF_SF_SF_bbb,@function
_ZN9rocsparseL41csrgemm_numeric_fill_block_per_row_kernelILj1024ELj64ELj32768ELj137ELj32Eii21rocsparse_complex_numIdEEEvT5_PKS3_S5_NS_24const_host_device_scalarIT6_EEPKT4_S5_PKS7_SB_S5_SD_S8_SB_S5_SD_SB_S5_PS7_21rocsparse_index_base_SF_SF_SF_bbb: ; @_ZN9rocsparseL41csrgemm_numeric_fill_block_per_row_kernelILj1024ELj64ELj32768ELj137ELj32Eii21rocsparse_complex_numIdEEEvT5_PKS3_S5_NS_24const_host_device_scalarIT6_EEPKT4_S5_PKS7_SB_S5_SD_S8_SB_S5_SD_SB_S5_PS7_21rocsparse_index_base_SF_SF_SF_bbb
; %bb.0:
	s_clause 0x3
	s_load_b32 s3, s[0:1], 0xa8
	s_load_b128 s[4:7], s[0:1], 0x18
	s_load_b128 s[12:15], s[0:1], 0x58
	;; [unrolled: 1-line block ×3, first 2 shown]
	v_mov_b64_e32 v[6:7], 0
	v_mov_b64_e32 v[10:11], 0
	;; [unrolled: 1-line block ×3, first 2 shown]
	v_mbcnt_lo_u32_b32 v21, -1, 0
	s_wait_kmcnt 0x0
	s_bitcmp1_b32 s3, 0
	v_mov_b64_e32 v[2:3], s[4:5]
	s_cselect_b32 s25, -1, 0
	s_bitcmp1_b32 s3, 16
	v_mov_b64_e32 v[4:5], s[12:13]
	s_cselect_b32 s2, -1, 0
	s_clause 0x1
	scratch_store_b64 off, v[2:3], off offset:16
	scratch_store_b64 off, v[4:5], off offset:24
	s_xor_b32 s22, s2, -1
	s_bitcmp0_b32 s3, 0
	v_cndmask_b32_e64 v1, 0, 1, s22
	s_delay_alu instid0(VALU_DEP_1)
	v_cmp_ne_u32_e32 vcc_lo, 1, v1
	s_cbranch_scc1 .LBB76_3
; %bb.1:
	s_wait_xcnt 0x1
	v_dual_mov_b32 v2, 16 :: v_dual_lshlrev_b32 v3, 20, v21
	v_mov_b64_e32 v[12:13], s[6:7]
	s_and_b32 vcc_lo, exec_lo, vcc_lo
	s_delay_alu instid0(VALU_DEP_2) | instskip(NEXT) | instid1(VALU_DEP_1)
	v_add_nc_u64_e32 v[2:3], src_flat_scratch_base_lo, v[2:3]
	v_cndmask_b32_e64 v3, s5, v3, s2
	s_delay_alu instid0(VALU_DEP_2)
	v_cndmask_b32_e64 v2, s4, v2, s2
	flat_load_b64 v[10:11], v[2:3]
	s_cbranch_vccnz .LBB76_3
; %bb.2:
	v_mov_b32_e32 v1, 0
	flat_load_b64 v[12:13], v1, s[4:5] offset:8
.LBB76_3:
	s_clause 0x4
	s_load_b64 s[34:35], s[0:1], 0x90
	s_load_b128 s[4:7], s[0:1], 0x70
	s_load_b128 s[8:11], s[0:1], 0x48
	s_load_b128 s[16:19], s[0:1], 0x8
	s_load_b64 s[20:21], s[0:1], 0x30
	v_mov_b64_e32 v[8:9], 0
	s_bitcmp1_b32 s3, 8
	s_cselect_b32 s24, -1, 0
	s_bfe_u32 s3, s3, 0x10008
	s_delay_alu instid0(SALU_CYCLE_1)
	s_cmp_eq_u32 s3, 0
	s_cbranch_scc1 .LBB76_6
; %bb.4:
	v_dual_mov_b32 v2, 24 :: v_dual_lshlrev_b32 v3, 20, v21
	v_mov_b64_e32 v[6:7], s[14:15]
	s_and_not1_b32 vcc_lo, exec_lo, s22
	s_delay_alu instid0(VALU_DEP_2) | instskip(NEXT) | instid1(VALU_DEP_1)
	v_add_nc_u64_e32 v[2:3], src_flat_scratch_base_lo, v[2:3]
	v_cndmask_b32_e64 v3, s13, v3, s2
	s_delay_alu instid0(VALU_DEP_2)
	v_cndmask_b32_e64 v2, s12, v2, s2
	flat_load_b64 v[8:9], v[2:3]
	s_cbranch_vccnz .LBB76_6
; %bb.5:
	v_mov_b32_e32 v1, 0
	flat_load_b64 v[6:7], v1, s[12:13] offset:8
.LBB76_6:
	s_clause 0x4
	s_load_b32 s33, s[0:1], 0x0
	s_load_b64 s[22:23], s[0:1], 0x28
	s_load_b64 s[40:41], s[0:1], 0x80
	;; [unrolled: 1-line block ×3, first 2 shown]
	s_load_b128 s[12:15], s[0:1], 0x38
	s_wait_xcnt 0x0
	s_mov_b32 s0, 0
	v_or_b32_e32 v1, 0xfffffc00, v0
	v_lshl_add_u32 v20, v0, 2, 0
	v_lshlrev_b32_e32 v22, 4, v0
	s_mov_b32 s1, s0
	s_mov_b32 s26, s0
	;; [unrolled: 1-line block ×3, first 2 shown]
	v_mov_b64_e32 v[2:3], s[0:1]
	v_mov_b64_e32 v[4:5], s[26:27]
	v_mov_b32_e32 v15, v20
	v_add3_u32 v14, v22, 0, 0x20008
	s_wait_kmcnt 0x0
	v_dual_mov_b32 v17, v1 :: v_dual_mov_b32 v16, s33
.LBB76_7:                               ; =>This Inner Loop Header: Depth=1
	s_delay_alu instid0(VALU_DEP_1)
	v_add_nc_u32_e32 v17, 0x400, v17
	ds_store_b32 v15, v16
	v_add_nc_u32_e32 v18, -8, v14
	v_add_nc_u32_e32 v14, 0x4000, v14
	v_add_nc_u32_e32 v15, 0x1000, v15
	v_cmp_lt_u32_e32 vcc_lo, 0x7bff, v17
	ds_store_2addr_b64 v18, v[2:3], v[4:5] offset1:1
	s_or_b32 s0, vcc_lo, s0
	s_delay_alu instid0(SALU_CYCLE_1)
	s_and_not1_b32 exec_lo, exec_lo, s0
	s_cbranch_execnz .LBB76_7
; %bb.8:
	s_or_b32 exec_lo, exec_lo, s0
	s_wait_storecnt 0x0
	s_wait_loadcnt_dscnt 0x0
	s_barrier_signal -1
	s_barrier_wait -1
	s_load_b32 s0, s[16:17], 0x0
	s_bfe_u32 s1, ttmp6, 0x4000c
	s_wait_xcnt 0x0
	s_and_b32 s16, ttmp6, 15
	s_add_co_i32 s1, s1, 1
	s_getreg_b32 s17, hwreg(HW_REG_IB_STS2, 6, 4)
	s_mul_i32 s1, ttmp9, s1
	s_delay_alu instid0(SALU_CYCLE_1)
	s_add_co_i32 s16, s16, s1
	s_cmp_eq_u32 s17, 0
	s_cselect_b32 s1, ttmp9, s16
	s_and_b32 vcc_lo, exec_lo, s25
	s_wait_kmcnt 0x0
	s_add_co_i32 s0, s0, s1
	s_load_b32 s42, s[18:19], s0 offset:0x0 scale_offset
	s_cbranch_vccz .LBB76_26
; %bb.9:
	s_wait_kmcnt 0x0
	s_ashr_i32 s43, s42, 31
	v_lshrrev_b32_e32 v2, 6, v0
	s_lshl_b64 s[0:1], s[42:43], 2
	s_delay_alu instid0(SALU_CYCLE_1) | instskip(NEXT) | instid1(VALU_DEP_1)
	s_add_nc_u64 s[0:1], s[22:23], s[0:1]
	v_subrev_nc_u32_e32 v2, s36, v2
	s_load_b64 s[16:17], s[0:1], 0x0
	s_wait_xcnt 0x0
	s_mov_b32 s1, exec_lo
	s_wait_kmcnt 0x0
	v_add_nc_u32_e32 v14, s16, v2
	s_sub_co_i32 s0, s17, s36
	s_delay_alu instid0(VALU_DEP_1) | instid1(SALU_CYCLE_1)
	v_cmpx_gt_i32_e64 s0, v14
	s_cbranch_execz .LBB76_25
; %bb.10:
	v_and_b32_e32 v2, 63, v0
	s_mov_b32 s16, 0
	s_delay_alu instid0(VALU_DEP_1)
	v_subrev_nc_u32_e32 v23, s37, v2
	s_branch .LBB76_12
.LBB76_11:                              ;   in Loop: Header=BB76_12 Depth=1
	s_or_b32 exec_lo, exec_lo, s17
	v_add_nc_u32_e32 v14, 16, v14
	s_delay_alu instid0(VALU_DEP_1) | instskip(SKIP_1) | instid1(SALU_CYCLE_1)
	v_cmp_le_i32_e32 vcc_lo, s0, v14
	s_or_b32 s16, vcc_lo, s16
	s_and_not1_b32 exec_lo, exec_lo, s16
	s_cbranch_execz .LBB76_25
.LBB76_12:                              ; =>This Loop Header: Depth=1
                                        ;     Child Loop BB76_16 Depth 2
                                        ;       Child Loop BB76_19 Depth 3
	global_load_b32 v2, v14, s[20:21] scale_offset
	s_mov_b32 s17, exec_lo
	s_wait_loadcnt 0x0
	v_subrev_nc_u32_e32 v2, s36, v2
	s_delay_alu instid0(VALU_DEP_1) | instskip(NEXT) | instid1(VALU_DEP_1)
	v_ashrrev_i32_e32 v3, 31, v2
	v_lshl_add_u64 v[2:3], v[2:3], 2, s[14:15]
	global_load_b64 v[2:3], v[2:3], off
	s_wait_loadcnt 0x0
	v_subrev_nc_u32_e32 v24, s37, v3
	v_add_nc_u32_e32 v25, v2, v23
	s_wait_xcnt 0x0
	s_delay_alu instid0(VALU_DEP_1)
	v_cmpx_lt_i32_e64 v25, v24
	s_cbranch_execz .LBB76_11
; %bb.13:                               ;   in Loop: Header=BB76_12 Depth=1
	v_ashrrev_i32_e32 v15, 31, v14
	s_mov_b32 s18, 0
	s_delay_alu instid0(VALU_DEP_1) | instskip(SKIP_4) | instid1(VALU_DEP_2)
	v_lshl_add_u64 v[2:3], v[14:15], 4, s[12:13]
	global_load_b128 v[2:5], v[2:3], off
	s_wait_loadcnt 0x0
	v_mul_f64_e64 v[16:17], v[4:5], -v[12:13]
	v_mul_f64_e32 v[18:19], v[10:11], v[4:5]
	v_fmac_f64_e32 v[16:17], v[10:11], v[2:3]
	s_delay_alu instid0(VALU_DEP_2)
	v_fmac_f64_e32 v[18:19], v[12:13], v[2:3]
	s_branch .LBB76_16
.LBB76_14:                              ;   in Loop: Header=BB76_16 Depth=2
	s_or_b32 exec_lo, exec_lo, s22
.LBB76_15:                              ;   in Loop: Header=BB76_16 Depth=2
	s_delay_alu instid0(SALU_CYCLE_1) | instskip(SKIP_3) | instid1(VALU_DEP_2)
	s_or_b32 exec_lo, exec_lo, s19
	s_wait_loadcnt 0x0
	v_dual_mul_f64 v[26:27], v[4:5], -v[18:19] :: v_dual_add_nc_u32 v25, 64, v25
	v_mul_f64_e32 v[4:5], v[16:17], v[4:5]
	v_cmp_ge_i32_e32 vcc_lo, v25, v24
	s_or_b32 s18, vcc_lo, s18
	s_delay_alu instid0(VALU_DEP_3) | instskip(NEXT) | instid1(VALU_DEP_3)
	v_fmac_f64_e32 v[26:27], v[16:17], v[2:3]
	v_fmac_f64_e32 v[4:5], v[18:19], v[2:3]
	v_lshlrev_b32_e32 v2, 4, v15
	s_delay_alu instid0(VALU_DEP_1)
	v_add3_u32 v2, 0, v2, 0x20000
	ds_add_f64 v2, v[26:27]
	ds_add_f64 v2, v[4:5] offset:8
	s_and_not1_b32 exec_lo, exec_lo, s18
	s_cbranch_execz .LBB76_11
.LBB76_16:                              ;   Parent Loop BB76_12 Depth=1
                                        ; =>  This Loop Header: Depth=2
                                        ;       Child Loop BB76_19 Depth 3
	s_clause 0x1
	global_load_b32 v15, v25, s[8:9] scale_offset
	global_load_b128 v[2:5], v25, s[10:11] scale_offset
	s_mov_b32 s19, exec_lo
	s_wait_loadcnt 0x1
	v_subrev_nc_u32_e32 v26, s37, v15
	s_delay_alu instid0(VALU_DEP_1) | instskip(NEXT) | instid1(VALU_DEP_1)
	v_mul_lo_u32 v15, 0x89, v26
	v_and_b32_e32 v15, 0x7fff, v15
	s_delay_alu instid0(VALU_DEP_1)
	v_lshl_add_u32 v27, v15, 2, 0
	ds_load_b32 v28, v27
	s_wait_dscnt 0x0
	s_wait_xcnt 0x0
	v_cmpx_ne_u32_e64 v28, v26
	s_cbranch_execz .LBB76_15
; %bb.17:                               ;   in Loop: Header=BB76_16 Depth=2
	s_mov_b32 s22, 0
	s_branch .LBB76_19
.LBB76_18:                              ;   in Loop: Header=BB76_19 Depth=3
	s_or_b32 exec_lo, exec_lo, s26
	s_delay_alu instid0(SALU_CYCLE_1) | instskip(NEXT) | instid1(SALU_CYCLE_1)
	s_and_b32 s23, exec_lo, s25
	s_or_b32 s22, s23, s22
	s_delay_alu instid0(SALU_CYCLE_1)
	s_and_not1_b32 exec_lo, exec_lo, s22
	s_cbranch_execz .LBB76_14
.LBB76_19:                              ;   Parent Loop BB76_12 Depth=1
                                        ;     Parent Loop BB76_16 Depth=2
                                        ; =>    This Inner Loop Header: Depth=3
	s_mov_b32 s23, 0
	s_mov_b32 s25, exec_lo
	v_cmpx_ne_u32_e64 s33, v28
	s_xor_b32 s25, exec_lo, s25
	s_cbranch_execz .LBB76_21
; %bb.20:                               ;   in Loop: Header=BB76_19 Depth=3
	v_add_nc_u32_e32 v15, 1, v15
	s_mov_b32 s23, exec_lo
                                        ; implicit-def: $vgpr27
	s_delay_alu instid0(VALU_DEP_1)
	v_and_b32_e32 v15, 0x7fff, v15
	s_and_not1_saveexec_b32 s25, s25
	s_cbranch_execz .LBB76_23
	s_branch .LBB76_22
.LBB76_21:                              ;   in Loop: Header=BB76_19 Depth=3
	s_and_not1_saveexec_b32 s25, s25
	s_cbranch_execz .LBB76_23
.LBB76_22:                              ;   in Loop: Header=BB76_19 Depth=3
	v_mov_b32_e32 v28, s33
	s_and_not1_b32 s23, s23, exec_lo
	ds_cmpstore_rtn_b32 v27, v27, v26, v28
	s_wait_dscnt 0x0
	v_cmp_ne_u32_e32 vcc_lo, s33, v27
	s_and_b32 s26, vcc_lo, exec_lo
	s_delay_alu instid0(SALU_CYCLE_1)
	s_or_b32 s23, s23, s26
.LBB76_23:                              ;   in Loop: Header=BB76_19 Depth=3
	s_or_b32 exec_lo, exec_lo, s25
	s_mov_b32 s25, -1
                                        ; implicit-def: $vgpr27
                                        ; implicit-def: $vgpr28
	s_and_saveexec_b32 s26, s23
	s_cbranch_execz .LBB76_18
; %bb.24:                               ;   in Loop: Header=BB76_19 Depth=3
	v_lshl_add_u32 v27, v15, 2, 0
	ds_load_b32 v28, v27
	s_wait_dscnt 0x0
	v_cmp_eq_u32_e32 vcc_lo, v28, v26
	s_or_not1_b32 s25, vcc_lo, exec_lo
	s_branch .LBB76_18
.LBB76_25:
	s_or_b32 exec_lo, exec_lo, s1
.LBB76_26:
	s_delay_alu instid0(SALU_CYCLE_1)
	s_and_not1_b32 vcc_lo, exec_lo, s24
	s_cbranch_vccnz .LBB76_41
; %bb.27:
	s_wait_kmcnt 0x0
	s_ashr_i32 s43, s42, 31
	v_subrev_nc_u32_e32 v2, s39, v0
	s_lshl_b64 s[0:1], s[42:43], 2
	s_delay_alu instid0(SALU_CYCLE_1)
	s_add_nc_u64 s[0:1], s[2:3], s[0:1]
	s_load_b64 s[2:3], s[0:1], 0x0
	s_wait_xcnt 0x0
	s_mov_b32 s1, exec_lo
	s_wait_kmcnt 0x0
	v_add_nc_u32_e32 v10, s2, v2
	s_sub_co_i32 s0, s3, s39
	s_delay_alu instid0(VALU_DEP_1) | instid1(SALU_CYCLE_1)
	v_cmpx_gt_i32_e64 s0, v10
	s_cbranch_execz .LBB76_40
; %bb.28:
	s_mov_b32 s2, 0
	s_branch .LBB76_31
.LBB76_29:                              ;   in Loop: Header=BB76_31 Depth=1
	s_or_b32 exec_lo, exec_lo, s8
.LBB76_30:                              ;   in Loop: Header=BB76_31 Depth=1
	s_delay_alu instid0(SALU_CYCLE_1) | instskip(SKIP_4) | instid1(VALU_DEP_1)
	s_or_b32 exec_lo, exec_lo, s3
	s_wait_loadcnt 0x0
	v_mul_f64_e64 v[12:13], v[4:5], -v[6:7]
	v_mul_f64_e32 v[4:5], v[8:9], v[4:5]
	v_add_nc_u32_e32 v10, 0x400, v10
	v_cmp_le_i32_e32 vcc_lo, s0, v10
	s_or_b32 s2, vcc_lo, s2
	s_delay_alu instid0(VALU_DEP_4) | instskip(NEXT) | instid1(VALU_DEP_4)
	v_fmac_f64_e32 v[12:13], v[8:9], v[2:3]
	v_fmac_f64_e32 v[4:5], v[6:7], v[2:3]
	v_lshlrev_b32_e32 v2, 4, v11
	s_delay_alu instid0(VALU_DEP_1)
	v_add3_u32 v2, 0, v2, 0x20000
	ds_add_f64 v2, v[12:13]
	ds_add_f64 v2, v[4:5] offset:8
	s_and_not1_b32 exec_lo, exec_lo, s2
	s_cbranch_execz .LBB76_40
.LBB76_31:                              ; =>This Loop Header: Depth=1
                                        ;     Child Loop BB76_34 Depth 2
	s_clause 0x1
	global_load_b32 v11, v10, s[4:5] scale_offset
	global_load_b128 v[2:5], v10, s[6:7] scale_offset
	s_mov_b32 s3, exec_lo
	s_wait_loadcnt 0x1
	v_subrev_nc_u32_e32 v12, s39, v11
	s_delay_alu instid0(VALU_DEP_1) | instskip(NEXT) | instid1(VALU_DEP_1)
	v_mul_lo_u32 v11, 0x89, v12
	v_and_b32_e32 v11, 0x7fff, v11
	s_delay_alu instid0(VALU_DEP_1)
	v_lshl_add_u32 v13, v11, 2, 0
	ds_load_b32 v14, v13
	s_wait_dscnt 0x0
	s_wait_xcnt 0x0
	v_cmpx_ne_u32_e64 v14, v12
	s_cbranch_execz .LBB76_30
; %bb.32:                               ;   in Loop: Header=BB76_31 Depth=1
	s_mov_b32 s8, 0
	s_branch .LBB76_34
.LBB76_33:                              ;   in Loop: Header=BB76_34 Depth=2
	s_or_b32 exec_lo, exec_lo, s11
	s_delay_alu instid0(SALU_CYCLE_1) | instskip(NEXT) | instid1(SALU_CYCLE_1)
	s_and_b32 s9, exec_lo, s10
	s_or_b32 s8, s9, s8
	s_delay_alu instid0(SALU_CYCLE_1)
	s_and_not1_b32 exec_lo, exec_lo, s8
	s_cbranch_execz .LBB76_29
.LBB76_34:                              ;   Parent Loop BB76_31 Depth=1
                                        ; =>  This Inner Loop Header: Depth=2
	s_mov_b32 s9, 0
	s_mov_b32 s10, exec_lo
	v_cmpx_ne_u32_e64 s33, v14
	s_xor_b32 s10, exec_lo, s10
	s_cbranch_execz .LBB76_36
; %bb.35:                               ;   in Loop: Header=BB76_34 Depth=2
	v_add_nc_u32_e32 v11, 1, v11
	s_mov_b32 s9, exec_lo
                                        ; implicit-def: $vgpr13
	s_delay_alu instid0(VALU_DEP_1)
	v_and_b32_e32 v11, 0x7fff, v11
	s_and_not1_saveexec_b32 s10, s10
	s_cbranch_execz .LBB76_38
	s_branch .LBB76_37
.LBB76_36:                              ;   in Loop: Header=BB76_34 Depth=2
	s_and_not1_saveexec_b32 s10, s10
	s_cbranch_execz .LBB76_38
.LBB76_37:                              ;   in Loop: Header=BB76_34 Depth=2
	v_mov_b32_e32 v14, s33
	s_and_not1_b32 s9, s9, exec_lo
	ds_cmpstore_rtn_b32 v13, v13, v12, v14
	s_wait_dscnt 0x0
	v_cmp_ne_u32_e32 vcc_lo, s33, v13
	s_and_b32 s11, vcc_lo, exec_lo
	s_delay_alu instid0(SALU_CYCLE_1)
	s_or_b32 s9, s9, s11
.LBB76_38:                              ;   in Loop: Header=BB76_34 Depth=2
	s_or_b32 exec_lo, exec_lo, s10
	s_mov_b32 s10, -1
                                        ; implicit-def: $vgpr13
                                        ; implicit-def: $vgpr14
	s_and_saveexec_b32 s11, s9
	s_cbranch_execz .LBB76_33
; %bb.39:                               ;   in Loop: Header=BB76_34 Depth=2
	v_lshl_add_u32 v13, v11, 2, 0
	ds_load_b32 v14, v13
	s_wait_dscnt 0x0
	v_cmp_eq_u32_e32 vcc_lo, v14, v12
	s_or_not1_b32 s10, vcc_lo, exec_lo
	s_branch .LBB76_33
.LBB76_40:
	s_or_b32 exec_lo, exec_lo, s1
.LBB76_41:
	v_dual_lshrrev_b32 v2, 3, v0 :: v_dual_bitop2_b32 v4, 31, v21 bitop3:0x14
	v_mov_b32_e32 v3, 0
	s_wait_xcnt 0x0
	v_cmp_lt_u32_e64 s0, 31, v0
	v_cmp_lt_u32_e64 s1, 63, v0
	v_and_b32_e32 v5, 0x7c, v2
	v_lshrrev_b32_e64 v2, v4, -1
	v_cmp_lt_u32_e64 s2, 0x5f, v0
	v_cmp_lt_u32_e64 s3, 0x7f, v0
	;; [unrolled: 1-line block ×3, first 2 shown]
	v_add3_u32 v4, 0xa0000, 0, v5
	v_cmp_lt_u32_e64 s5, 0xbf, v0
	v_cmp_lt_u32_e64 s6, 0xdf, v0
	;; [unrolled: 1-line block ×26, first 2 shown]
	v_add3_u32 v5, v22, 0, 0x20000
	s_mov_b32 s36, 0
	s_add_co_i32 s37, 0, 0xa0000
	s_add_co_i32 s39, 0, 0xa0004
	;; [unrolled: 1-line block ×32, first 2 shown]
	s_wait_dscnt 0x0
	s_barrier_signal -1
	s_barrier_wait -1
	v_cmp_eq_u32_e32 vcc_lo, 0x3ff, v0
	s_branch .LBB76_43
.LBB76_42:                              ;   in Loop: Header=BB76_43 Depth=1
	s_or_b32 exec_lo, exec_lo, s31
	v_dual_mov_b32 v6, s72 :: v_dual_add_nc_u32 v1, 0x400, v1
	s_wait_dscnt 0x0
	s_barrier_signal -1
	s_barrier_wait -1
	ds_load_b32 v6, v6
	v_cmp_lt_u32_e64 s31, 0x7bff, v1
	v_add_nc_u32_e32 v5, 0x4000, v5
	v_add_nc_u32_e32 v20, 0x1000, v20
	s_or_b32 s36, s31, s36
	s_wait_dscnt 0x0
	v_add_nc_u32_e32 v3, v6, v3
	s_and_not1_b32 exec_lo, exec_lo, s36
	s_cbranch_execz .LBB76_109
.LBB76_43:                              ; =>This Inner Loop Header: Depth=1
	ds_load_b32 v6, v20
	ds_load_2addr_b64 v[8:11], v5 offset1:1
	s_wait_dscnt 0x1
	v_cmp_gt_i32_e64 s31, s33, v6
	s_wait_dscnt 0x0
	scratch_store_b128 off, v[8:11], off
	s_wait_storecnt 0x0
	s_barrier_signal -1
	s_barrier_wait -1
	s_bcnt1_i32_b32 s73, s31
	s_wait_xcnt 0x0
	v_dual_mov_b32 v8, s73 :: v_dual_bitop2_b32 v7, s31, v2 bitop3:0x40
	s_delay_alu instid0(VALU_DEP_1)
	v_bcnt_u32_b32 v7, v7, 0
	ds_store_b32 v4, v8
	s_wait_dscnt 0x0
	s_barrier_signal -1
	s_barrier_wait -1
	s_and_saveexec_b32 s73, s0
	s_cbranch_execz .LBB76_76
; %bb.44:                               ;   in Loop: Header=BB76_43 Depth=1
	v_mov_b32_e32 v8, s37
	ds_load_b32 v8, v8
	s_wait_dscnt 0x0
	v_add_nc_u32_e32 v7, v8, v7
	s_or_b32 exec_lo, exec_lo, s73
	s_and_saveexec_b32 s73, s1
	s_cbranch_execnz .LBB76_77
.LBB76_45:                              ;   in Loop: Header=BB76_43 Depth=1
	s_or_b32 exec_lo, exec_lo, s73
	s_and_saveexec_b32 s73, s2
	s_cbranch_execz .LBB76_78
.LBB76_46:                              ;   in Loop: Header=BB76_43 Depth=1
	v_mov_b32_e32 v8, s43
	ds_load_b32 v8, v8
	s_wait_dscnt 0x0
	v_add_nc_u32_e32 v7, v8, v7
	s_or_b32 exec_lo, exec_lo, s73
	s_and_saveexec_b32 s73, s3
	s_cbranch_execnz .LBB76_79
.LBB76_47:                              ;   in Loop: Header=BB76_43 Depth=1
	s_or_b32 exec_lo, exec_lo, s73
	s_and_saveexec_b32 s73, s4
	s_cbranch_execz .LBB76_80
.LBB76_48:                              ;   in Loop: Header=BB76_43 Depth=1
	v_mov_b32_e32 v8, s45
	ds_load_b32 v8, v8
	s_wait_dscnt 0x0
	v_add_nc_u32_e32 v7, v8, v7
	s_or_b32 exec_lo, exec_lo, s73
	s_and_saveexec_b32 s73, s5
	s_cbranch_execnz .LBB76_81
.LBB76_49:                              ;   in Loop: Header=BB76_43 Depth=1
	s_or_b32 exec_lo, exec_lo, s73
	s_and_saveexec_b32 s73, s6
	s_cbranch_execz .LBB76_82
.LBB76_50:                              ;   in Loop: Header=BB76_43 Depth=1
	v_mov_b32_e32 v8, s47
	ds_load_b32 v8, v8
	s_wait_dscnt 0x0
	v_add_nc_u32_e32 v7, v8, v7
	s_or_b32 exec_lo, exec_lo, s73
	s_and_saveexec_b32 s73, s7
	s_cbranch_execnz .LBB76_83
.LBB76_51:                              ;   in Loop: Header=BB76_43 Depth=1
	s_or_b32 exec_lo, exec_lo, s73
	s_and_saveexec_b32 s73, s8
	s_cbranch_execz .LBB76_84
.LBB76_52:                              ;   in Loop: Header=BB76_43 Depth=1
	v_mov_b32_e32 v8, s49
	ds_load_b32 v8, v8
	s_wait_dscnt 0x0
	v_add_nc_u32_e32 v7, v8, v7
	s_or_b32 exec_lo, exec_lo, s73
	s_and_saveexec_b32 s73, s9
	s_cbranch_execnz .LBB76_85
.LBB76_53:                              ;   in Loop: Header=BB76_43 Depth=1
	s_or_b32 exec_lo, exec_lo, s73
	s_and_saveexec_b32 s73, s10
	s_cbranch_execz .LBB76_86
.LBB76_54:                              ;   in Loop: Header=BB76_43 Depth=1
	v_mov_b32_e32 v8, s51
	ds_load_b32 v8, v8
	s_wait_dscnt 0x0
	v_add_nc_u32_e32 v7, v8, v7
	s_or_b32 exec_lo, exec_lo, s73
	s_and_saveexec_b32 s73, s11
	s_cbranch_execnz .LBB76_87
.LBB76_55:                              ;   in Loop: Header=BB76_43 Depth=1
	s_or_b32 exec_lo, exec_lo, s73
	s_and_saveexec_b32 s73, s12
	s_cbranch_execz .LBB76_88
.LBB76_56:                              ;   in Loop: Header=BB76_43 Depth=1
	v_mov_b32_e32 v8, s53
	ds_load_b32 v8, v8
	s_wait_dscnt 0x0
	v_add_nc_u32_e32 v7, v8, v7
	s_or_b32 exec_lo, exec_lo, s73
	s_and_saveexec_b32 s73, s13
	s_cbranch_execnz .LBB76_89
.LBB76_57:                              ;   in Loop: Header=BB76_43 Depth=1
	s_or_b32 exec_lo, exec_lo, s73
	s_and_saveexec_b32 s73, s14
	s_cbranch_execz .LBB76_90
.LBB76_58:                              ;   in Loop: Header=BB76_43 Depth=1
	v_mov_b32_e32 v8, s55
	ds_load_b32 v8, v8
	s_wait_dscnt 0x0
	v_add_nc_u32_e32 v7, v8, v7
	s_or_b32 exec_lo, exec_lo, s73
	s_and_saveexec_b32 s73, s15
	s_cbranch_execnz .LBB76_91
.LBB76_59:                              ;   in Loop: Header=BB76_43 Depth=1
	s_or_b32 exec_lo, exec_lo, s73
	s_and_saveexec_b32 s73, s16
	s_cbranch_execz .LBB76_92
.LBB76_60:                              ;   in Loop: Header=BB76_43 Depth=1
	v_mov_b32_e32 v8, s57
	ds_load_b32 v8, v8
	s_wait_dscnt 0x0
	v_add_nc_u32_e32 v7, v8, v7
	s_or_b32 exec_lo, exec_lo, s73
	s_and_saveexec_b32 s73, s17
	s_cbranch_execnz .LBB76_93
.LBB76_61:                              ;   in Loop: Header=BB76_43 Depth=1
	s_or_b32 exec_lo, exec_lo, s73
	s_and_saveexec_b32 s73, s18
	s_cbranch_execz .LBB76_94
.LBB76_62:                              ;   in Loop: Header=BB76_43 Depth=1
	v_mov_b32_e32 v8, s59
	ds_load_b32 v8, v8
	s_wait_dscnt 0x0
	v_add_nc_u32_e32 v7, v8, v7
	s_or_b32 exec_lo, exec_lo, s73
	s_and_saveexec_b32 s73, s19
	s_cbranch_execnz .LBB76_95
.LBB76_63:                              ;   in Loop: Header=BB76_43 Depth=1
	s_or_b32 exec_lo, exec_lo, s73
	s_and_saveexec_b32 s73, s20
	s_cbranch_execz .LBB76_96
.LBB76_64:                              ;   in Loop: Header=BB76_43 Depth=1
	v_mov_b32_e32 v8, s61
	ds_load_b32 v8, v8
	s_wait_dscnt 0x0
	v_add_nc_u32_e32 v7, v8, v7
	s_or_b32 exec_lo, exec_lo, s73
	s_and_saveexec_b32 s73, s21
	s_cbranch_execnz .LBB76_97
.LBB76_65:                              ;   in Loop: Header=BB76_43 Depth=1
	s_or_b32 exec_lo, exec_lo, s73
	s_and_saveexec_b32 s73, s22
	s_cbranch_execz .LBB76_98
.LBB76_66:                              ;   in Loop: Header=BB76_43 Depth=1
	v_mov_b32_e32 v8, s63
	ds_load_b32 v8, v8
	s_wait_dscnt 0x0
	v_add_nc_u32_e32 v7, v8, v7
	s_or_b32 exec_lo, exec_lo, s73
	s_and_saveexec_b32 s73, s23
	s_cbranch_execnz .LBB76_99
.LBB76_67:                              ;   in Loop: Header=BB76_43 Depth=1
	s_or_b32 exec_lo, exec_lo, s73
	s_and_saveexec_b32 s73, s24
	s_cbranch_execz .LBB76_100
.LBB76_68:                              ;   in Loop: Header=BB76_43 Depth=1
	v_mov_b32_e32 v8, s65
	ds_load_b32 v8, v8
	s_wait_dscnt 0x0
	v_add_nc_u32_e32 v7, v8, v7
	s_or_b32 exec_lo, exec_lo, s73
	s_and_saveexec_b32 s73, s25
	s_cbranch_execnz .LBB76_101
.LBB76_69:                              ;   in Loop: Header=BB76_43 Depth=1
	s_or_b32 exec_lo, exec_lo, s73
	s_and_saveexec_b32 s73, s26
	s_cbranch_execz .LBB76_102
.LBB76_70:                              ;   in Loop: Header=BB76_43 Depth=1
	v_mov_b32_e32 v8, s67
	ds_load_b32 v8, v8
	s_wait_dscnt 0x0
	v_add_nc_u32_e32 v7, v8, v7
	s_or_b32 exec_lo, exec_lo, s73
	s_and_saveexec_b32 s73, s27
	s_cbranch_execnz .LBB76_103
.LBB76_71:                              ;   in Loop: Header=BB76_43 Depth=1
	s_or_b32 exec_lo, exec_lo, s73
	s_and_saveexec_b32 s73, s28
	s_cbranch_execz .LBB76_104
.LBB76_72:                              ;   in Loop: Header=BB76_43 Depth=1
	v_mov_b32_e32 v8, s69
	ds_load_b32 v8, v8
	s_wait_dscnt 0x0
	v_add_nc_u32_e32 v7, v8, v7
	s_or_b32 exec_lo, exec_lo, s73
	s_and_saveexec_b32 s73, s29
	s_cbranch_execnz .LBB76_105
.LBB76_73:                              ;   in Loop: Header=BB76_43 Depth=1
	s_or_b32 exec_lo, exec_lo, s73
	s_and_saveexec_b32 s73, s30
	s_cbranch_execz .LBB76_106
.LBB76_74:                              ;   in Loop: Header=BB76_43 Depth=1
	v_mov_b32_e32 v8, s71
	ds_load_b32 v8, v8
	s_wait_dscnt 0x0
	v_add_nc_u32_e32 v7, v8, v7
	s_or_b32 exec_lo, exec_lo, s73
	s_and_saveexec_b32 s73, s31
	s_cbranch_execnz .LBB76_107
.LBB76_75:                              ;   in Loop: Header=BB76_43 Depth=1
	s_or_b32 exec_lo, exec_lo, s73
	s_and_saveexec_b32 s31, vcc_lo
	s_cbranch_execz .LBB76_42
	s_branch .LBB76_108
.LBB76_76:                              ;   in Loop: Header=BB76_43 Depth=1
	s_or_b32 exec_lo, exec_lo, s73
	s_and_saveexec_b32 s73, s1
	s_cbranch_execz .LBB76_45
.LBB76_77:                              ;   in Loop: Header=BB76_43 Depth=1
	v_mov_b32_e32 v8, s39
	ds_load_b32 v8, v8
	s_wait_dscnt 0x0
	v_add_nc_u32_e32 v7, v8, v7
	s_or_b32 exec_lo, exec_lo, s73
	s_and_saveexec_b32 s73, s2
	s_cbranch_execnz .LBB76_46
.LBB76_78:                              ;   in Loop: Header=BB76_43 Depth=1
	s_or_b32 exec_lo, exec_lo, s73
	s_and_saveexec_b32 s73, s3
	s_cbranch_execz .LBB76_47
.LBB76_79:                              ;   in Loop: Header=BB76_43 Depth=1
	v_mov_b32_e32 v8, s44
	ds_load_b32 v8, v8
	s_wait_dscnt 0x0
	v_add_nc_u32_e32 v7, v8, v7
	s_or_b32 exec_lo, exec_lo, s73
	s_and_saveexec_b32 s73, s4
	s_cbranch_execnz .LBB76_48
.LBB76_80:                              ;   in Loop: Header=BB76_43 Depth=1
	s_or_b32 exec_lo, exec_lo, s73
	s_and_saveexec_b32 s73, s5
	s_cbranch_execz .LBB76_49
.LBB76_81:                              ;   in Loop: Header=BB76_43 Depth=1
	v_mov_b32_e32 v8, s46
	ds_load_b32 v8, v8
	s_wait_dscnt 0x0
	v_add_nc_u32_e32 v7, v8, v7
	s_or_b32 exec_lo, exec_lo, s73
	s_and_saveexec_b32 s73, s6
	s_cbranch_execnz .LBB76_50
.LBB76_82:                              ;   in Loop: Header=BB76_43 Depth=1
	s_or_b32 exec_lo, exec_lo, s73
	s_and_saveexec_b32 s73, s7
	s_cbranch_execz .LBB76_51
.LBB76_83:                              ;   in Loop: Header=BB76_43 Depth=1
	v_mov_b32_e32 v8, s48
	ds_load_b32 v8, v8
	s_wait_dscnt 0x0
	v_add_nc_u32_e32 v7, v8, v7
	s_or_b32 exec_lo, exec_lo, s73
	s_and_saveexec_b32 s73, s8
	s_cbranch_execnz .LBB76_52
.LBB76_84:                              ;   in Loop: Header=BB76_43 Depth=1
	s_or_b32 exec_lo, exec_lo, s73
	s_and_saveexec_b32 s73, s9
	s_cbranch_execz .LBB76_53
.LBB76_85:                              ;   in Loop: Header=BB76_43 Depth=1
	v_mov_b32_e32 v8, s50
	ds_load_b32 v8, v8
	s_wait_dscnt 0x0
	v_add_nc_u32_e32 v7, v8, v7
	s_or_b32 exec_lo, exec_lo, s73
	s_and_saveexec_b32 s73, s10
	s_cbranch_execnz .LBB76_54
.LBB76_86:                              ;   in Loop: Header=BB76_43 Depth=1
	s_or_b32 exec_lo, exec_lo, s73
	s_and_saveexec_b32 s73, s11
	s_cbranch_execz .LBB76_55
.LBB76_87:                              ;   in Loop: Header=BB76_43 Depth=1
	v_mov_b32_e32 v8, s52
	ds_load_b32 v8, v8
	s_wait_dscnt 0x0
	v_add_nc_u32_e32 v7, v8, v7
	s_or_b32 exec_lo, exec_lo, s73
	s_and_saveexec_b32 s73, s12
	s_cbranch_execnz .LBB76_56
.LBB76_88:                              ;   in Loop: Header=BB76_43 Depth=1
	s_or_b32 exec_lo, exec_lo, s73
	s_and_saveexec_b32 s73, s13
	s_cbranch_execz .LBB76_57
.LBB76_89:                              ;   in Loop: Header=BB76_43 Depth=1
	v_mov_b32_e32 v8, s54
	ds_load_b32 v8, v8
	s_wait_dscnt 0x0
	v_add_nc_u32_e32 v7, v8, v7
	s_or_b32 exec_lo, exec_lo, s73
	s_and_saveexec_b32 s73, s14
	s_cbranch_execnz .LBB76_58
.LBB76_90:                              ;   in Loop: Header=BB76_43 Depth=1
	s_or_b32 exec_lo, exec_lo, s73
	s_and_saveexec_b32 s73, s15
	s_cbranch_execz .LBB76_59
.LBB76_91:                              ;   in Loop: Header=BB76_43 Depth=1
	v_mov_b32_e32 v8, s56
	ds_load_b32 v8, v8
	s_wait_dscnt 0x0
	v_add_nc_u32_e32 v7, v8, v7
	s_or_b32 exec_lo, exec_lo, s73
	s_and_saveexec_b32 s73, s16
	s_cbranch_execnz .LBB76_60
.LBB76_92:                              ;   in Loop: Header=BB76_43 Depth=1
	s_or_b32 exec_lo, exec_lo, s73
	s_and_saveexec_b32 s73, s17
	s_cbranch_execz .LBB76_61
.LBB76_93:                              ;   in Loop: Header=BB76_43 Depth=1
	v_mov_b32_e32 v8, s58
	ds_load_b32 v8, v8
	s_wait_dscnt 0x0
	v_add_nc_u32_e32 v7, v8, v7
	s_or_b32 exec_lo, exec_lo, s73
	s_and_saveexec_b32 s73, s18
	s_cbranch_execnz .LBB76_62
.LBB76_94:                              ;   in Loop: Header=BB76_43 Depth=1
	s_or_b32 exec_lo, exec_lo, s73
	s_and_saveexec_b32 s73, s19
	s_cbranch_execz .LBB76_63
.LBB76_95:                              ;   in Loop: Header=BB76_43 Depth=1
	v_mov_b32_e32 v8, s60
	ds_load_b32 v8, v8
	s_wait_dscnt 0x0
	v_add_nc_u32_e32 v7, v8, v7
	s_or_b32 exec_lo, exec_lo, s73
	s_and_saveexec_b32 s73, s20
	s_cbranch_execnz .LBB76_64
.LBB76_96:                              ;   in Loop: Header=BB76_43 Depth=1
	s_or_b32 exec_lo, exec_lo, s73
	s_and_saveexec_b32 s73, s21
	s_cbranch_execz .LBB76_65
.LBB76_97:                              ;   in Loop: Header=BB76_43 Depth=1
	v_mov_b32_e32 v8, s62
	ds_load_b32 v8, v8
	s_wait_dscnt 0x0
	v_add_nc_u32_e32 v7, v8, v7
	s_or_b32 exec_lo, exec_lo, s73
	s_and_saveexec_b32 s73, s22
	s_cbranch_execnz .LBB76_66
.LBB76_98:                              ;   in Loop: Header=BB76_43 Depth=1
	s_or_b32 exec_lo, exec_lo, s73
	s_and_saveexec_b32 s73, s23
	s_cbranch_execz .LBB76_67
.LBB76_99:                              ;   in Loop: Header=BB76_43 Depth=1
	v_mov_b32_e32 v8, s64
	ds_load_b32 v8, v8
	s_wait_dscnt 0x0
	v_add_nc_u32_e32 v7, v8, v7
	s_or_b32 exec_lo, exec_lo, s73
	s_and_saveexec_b32 s73, s24
	s_cbranch_execnz .LBB76_68
.LBB76_100:                             ;   in Loop: Header=BB76_43 Depth=1
	s_or_b32 exec_lo, exec_lo, s73
	s_and_saveexec_b32 s73, s25
	s_cbranch_execz .LBB76_69
.LBB76_101:                             ;   in Loop: Header=BB76_43 Depth=1
	v_mov_b32_e32 v8, s66
	ds_load_b32 v8, v8
	s_wait_dscnt 0x0
	v_add_nc_u32_e32 v7, v8, v7
	s_or_b32 exec_lo, exec_lo, s73
	s_and_saveexec_b32 s73, s26
	s_cbranch_execnz .LBB76_70
.LBB76_102:                             ;   in Loop: Header=BB76_43 Depth=1
	s_or_b32 exec_lo, exec_lo, s73
	s_and_saveexec_b32 s73, s27
	s_cbranch_execz .LBB76_71
.LBB76_103:                             ;   in Loop: Header=BB76_43 Depth=1
	v_mov_b32_e32 v8, s68
	ds_load_b32 v8, v8
	s_wait_dscnt 0x0
	v_add_nc_u32_e32 v7, v8, v7
	s_or_b32 exec_lo, exec_lo, s73
	s_and_saveexec_b32 s73, s28
	s_cbranch_execnz .LBB76_72
.LBB76_104:                             ;   in Loop: Header=BB76_43 Depth=1
	s_or_b32 exec_lo, exec_lo, s73
	s_and_saveexec_b32 s73, s29
	s_cbranch_execz .LBB76_73
.LBB76_105:                             ;   in Loop: Header=BB76_43 Depth=1
	v_mov_b32_e32 v8, s70
	ds_load_b32 v8, v8
	s_wait_dscnt 0x0
	v_add_nc_u32_e32 v7, v8, v7
	s_or_b32 exec_lo, exec_lo, s73
	s_and_saveexec_b32 s73, s30
	s_cbranch_execnz .LBB76_74
.LBB76_106:                             ;   in Loop: Header=BB76_43 Depth=1
	s_or_b32 exec_lo, exec_lo, s73
	s_and_saveexec_b32 s73, s31
	s_cbranch_execz .LBB76_75
.LBB76_107:                             ;   in Loop: Header=BB76_43 Depth=1
	scratch_load_b128 v[8:11], off, off
	v_add3_u32 v12, v3, -1, v7
	s_delay_alu instid0(VALU_DEP_1) | instskip(SKIP_1) | instid1(VALU_DEP_2)
	v_lshlrev_b32_e32 v13, 4, v12
	v_lshl_add_u32 v12, v12, 2, 0
	v_add3_u32 v13, 0, v13, 0x20000
	ds_store_b32 v12, v6
	s_wait_loadcnt 0x0
	ds_store_2addr_b64 v13, v[8:9], v[10:11] offset1:1
	s_or_b32 exec_lo, exec_lo, s73
	s_and_saveexec_b32 s31, vcc_lo
	s_cbranch_execz .LBB76_42
.LBB76_108:                             ;   in Loop: Header=BB76_43 Depth=1
	v_mov_b32_e32 v6, s72
	ds_store_b32 v6, v7
	s_branch .LBB76_42
.LBB76_109:
	s_or_b32 exec_lo, exec_lo, s36
	s_wait_kmcnt 0x0
	s_ashr_i32 s43, s42, 31
	s_delay_alu instid0(SALU_CYCLE_1) | instskip(NEXT) | instid1(SALU_CYCLE_1)
	s_lshl_b64 s[0:1], s[42:43], 2
	s_add_nc_u64 s[2:3], s[40:41], s[0:1]
	s_load_b64 s[0:1], s[2:3], 0x0
	s_wait_kmcnt 0x0
	s_sub_co_i32 s4, s1, s0
	s_mov_b32 s1, exec_lo
	v_cmpx_gt_i32_e64 s4, v0
	s_cbranch_execz .LBB76_123
; %bb.110:
	v_sub_co_u32 v1, s1, s4, 2
	s_sub_co_i32 s2, s0, s38
	s_xor_b32 s6, s1, -1
	s_and_b32 s5, s4, -2
	v_readfirstlane_b32 s3, v1
	s_lshr_b32 s0, s3, 1
	s_mov_b32 s3, 0
	s_add_co_i32 s0, s0, 1
	s_mov_b32 s11, s3
	s_and_b32 s1, s0, 7
	s_and_b32 s7, s0, -8
	s_cmp_lg_u32 s1, 0
	v_cmp_lt_u32_e64 s0, 13, v1
	s_cselect_b32 s8, -1, 0
	s_cmp_lg_u32 s4, s5
	s_cselect_b32 s9, -1, 0
	s_lshl_b32 s10, s1, 3
	s_branch .LBB76_112
.LBB76_111:                             ;   in Loop: Header=BB76_112 Depth=1
	s_wait_dscnt 0x0
	v_lshlrev_b32_e32 v1, 4, v0
	v_add_nc_u32_e32 v0, 0x400, v0
	s_delay_alu instid0(VALU_DEP_2) | instskip(NEXT) | instid1(VALU_DEP_2)
	v_add3_u32 v1, 0, v1, 0x20000
	v_cmp_le_i32_e32 vcc_lo, s4, v0
	ds_load_2addr_b64 v[4:7], v1 offset1:1
	s_or_b32 s11, vcc_lo, s11
	s_wait_dscnt 0x0
	global_store_b128 v2, v[4:7], s[34:35] scale_offset
	s_wait_xcnt 0x0
	s_and_not1_b32 exec_lo, exec_lo, s11
	s_cbranch_execz .LBB76_123
.LBB76_112:                             ; =>This Loop Header: Depth=1
                                        ;     Child Loop BB76_115 Depth 2
                                        ;     Child Loop BB76_118 Depth 2
	;; [unrolled: 1-line block ×3, first 2 shown]
	v_lshl_add_u32 v1, v0, 2, 0
	v_mov_b32_e32 v2, s2
	s_and_not1_b32 vcc_lo, exec_lo, s6
	s_mov_b32 s1, 0
	s_mov_b32 s12, -1
	ds_load_b32 v1, v1
	s_cbranch_vccnz .LBB76_120
; %bb.113:                              ;   in Loop: Header=BB76_112 Depth=1
	v_mov_b64_e32 v[2:3], s[2:3]
	s_and_not1_b32 vcc_lo, exec_lo, s0
	s_mov_b32 s12, 0
	s_cbranch_vccnz .LBB76_116
; %bb.114:                              ;   in Loop: Header=BB76_112 Depth=1
	v_dual_mov_b32 v2, s2 :: v_dual_mov_b32 v3, 0
	s_mov_b32 s13, 0
	s_mov_b32 s14, s7
.LBB76_115:                             ;   Parent Loop BB76_112 Depth=1
                                        ; =>  This Inner Loop Header: Depth=2
	v_mov_b32_e32 v18, s13
	s_add_co_i32 s14, s14, -8
	s_add_co_i32 s12, s12, 16
	s_add_co_i32 s13, s13, 64
	s_cmp_lg_u32 s14, 0
	ds_load_2addr_b32 v[4:5], v18 offset1:1
	ds_load_2addr_b32 v[6:7], v18 offset0:2 offset1:3
	ds_load_2addr_b32 v[8:9], v18 offset0:4 offset1:5
	;; [unrolled: 1-line block ×7, first 2 shown]
	s_wait_dscnt 0x7
	v_cmp_gt_i32_e32 vcc_lo, v1, v5
	s_wait_dscnt 0x5
	v_cmp_gt_i32_e64 s1, v1, v8
	v_cndmask_b32_e64 v5, 0, 1, vcc_lo
	v_cmp_gt_i32_e32 vcc_lo, v1, v4
	v_cndmask_b32_e64 v4, 0, 1, vcc_lo
	v_cmp_gt_i32_e32 vcc_lo, v1, v6
	v_cndmask_b32_e64 v6, 0, 1, s1
	v_cmp_gt_i32_e64 s1, v1, v9
	s_delay_alu instid0(VALU_DEP_4) | instskip(NEXT) | instid1(VALU_DEP_2)
	v_add_co_ci_u32_e64 v2, null, v2, v4, vcc_lo
	v_cndmask_b32_e64 v8, 0, 1, s1
	s_wait_dscnt 0x4
	v_cmp_gt_i32_e64 s1, v1, v11
	s_wait_dscnt 0x2
	v_cmp_gt_i32_e32 vcc_lo, v1, v14
	s_delay_alu instid0(VALU_DEP_2) | instskip(SKIP_4) | instid1(VALU_DEP_3)
	v_cndmask_b32_e64 v9, 0, 1, s1
	v_cmp_gt_i32_e64 s1, v1, v10
	v_add_co_ci_u32_e64 v2, null, v2, v6, vcc_lo
	s_wait_dscnt 0x1
	v_cmp_gt_i32_e32 vcc_lo, v1, v16
	v_cndmask_b32_e64 v10, 0, 1, s1
	v_cmp_gt_i32_e64 s1, v1, v12
	s_delay_alu instid0(VALU_DEP_2) | instskip(NEXT) | instid1(VALU_DEP_2)
	v_add_co_ci_u32_e64 v2, null, v2, v10, vcc_lo
	v_cndmask_b32_e64 v11, 0, 1, s1
	v_cmp_gt_i32_e64 s1, v1, v13
	s_wait_dscnt 0x0
	v_cmp_gt_i32_e32 vcc_lo, v1, v18
	s_delay_alu instid0(VALU_DEP_2) | instskip(SKIP_2) | instid1(VALU_DEP_2)
	v_cndmask_b32_e64 v12, 0, 1, s1
	v_cmp_gt_i32_e64 s1, v1, v7
	v_add_co_ci_u32_e64 v2, null, v2, v11, vcc_lo
	v_add_co_ci_u32_e64 v3, null, v3, v5, s1
	v_cmp_gt_i32_e64 s1, v1, v15
	s_delay_alu instid0(VALU_DEP_1) | instskip(SKIP_1) | instid1(VALU_DEP_1)
	v_add_co_ci_u32_e64 v3, null, v3, v8, s1
	v_cmp_gt_i32_e64 s1, v1, v17
	v_add_co_ci_u32_e64 v3, null, v3, v9, s1
	v_cmp_gt_i32_e64 s1, v1, v19
	s_delay_alu instid0(VALU_DEP_1)
	v_add_co_ci_u32_e64 v3, null, v3, v12, s1
	s_cbranch_scc1 .LBB76_115
.LBB76_116:                             ;   in Loop: Header=BB76_112 Depth=1
	s_and_not1_b32 vcc_lo, exec_lo, s8
	s_cbranch_vccnz .LBB76_119
; %bb.117:                              ;   in Loop: Header=BB76_112 Depth=1
	s_lshl_b32 s1, s12, 2
	s_mov_b32 s12, s10
	s_add_co_i32 s1, s1, 0
.LBB76_118:                             ;   Parent Loop BB76_112 Depth=1
                                        ; =>  This Inner Loop Header: Depth=2
	s_delay_alu instid0(SALU_CYCLE_1)
	v_mov_b32_e32 v4, s1
	s_add_co_i32 s12, s12, -8
	s_add_co_i32 s1, s1, 8
	s_cmp_lg_u32 s12, 0
	ds_load_2addr_b32 v[4:5], v4 offset1:1
	s_wait_dscnt 0x0
	v_cmp_gt_i32_e32 vcc_lo, v1, v5
	v_add_co_ci_u32_e64 v3, null, 0, v3, vcc_lo
	v_cmp_gt_i32_e32 vcc_lo, v1, v4
	v_add_co_ci_u32_e64 v2, null, 0, v2, vcc_lo
	s_cbranch_scc1 .LBB76_118
.LBB76_119:                             ;   in Loop: Header=BB76_112 Depth=1
	s_delay_alu instid0(VALU_DEP_1)
	v_add_nc_u32_e32 v2, v2, v3
	s_mov_b32 s1, s5
	s_mov_b32 s12, s9
.LBB76_120:                             ;   in Loop: Header=BB76_112 Depth=1
	s_delay_alu instid0(SALU_CYCLE_1)
	s_and_b32 vcc_lo, exec_lo, s12
	s_cbranch_vccz .LBB76_111
; %bb.121:                              ;   in Loop: Header=BB76_112 Depth=1
	s_lshl_b32 s12, s1, 2
	s_delay_alu instid0(SALU_CYCLE_1)
	s_add_co_i32 s12, s12, 0
.LBB76_122:                             ;   Parent Loop BB76_112 Depth=1
                                        ; =>  This Inner Loop Header: Depth=2
	s_delay_alu instid0(SALU_CYCLE_1)
	v_mov_b32_e32 v3, s12
	s_add_co_i32 s1, s1, 1
	s_add_co_i32 s12, s12, 4
	s_cmp_ge_i32 s1, s4
	ds_load_b32 v3, v3
	s_wait_dscnt 0x0
	v_cmp_gt_i32_e32 vcc_lo, v1, v3
	v_add_co_ci_u32_e64 v2, null, 0, v2, vcc_lo
	s_cbranch_scc0 .LBB76_122
	s_branch .LBB76_111
.LBB76_123:
	s_endpgm
	.section	.rodata,"a",@progbits
	.p2align	6, 0x0
	.amdhsa_kernel _ZN9rocsparseL41csrgemm_numeric_fill_block_per_row_kernelILj1024ELj64ELj32768ELj137ELj32Eii21rocsparse_complex_numIdEEEvT5_PKS3_S5_NS_24const_host_device_scalarIT6_EEPKT4_S5_PKS7_SB_S5_SD_S8_SB_S5_SD_SB_S5_PS7_21rocsparse_index_base_SF_SF_SF_bbb
		.amdhsa_group_segment_fixed_size 0
		.amdhsa_private_segment_fixed_size 40
		.amdhsa_kernarg_size 172
		.amdhsa_user_sgpr_count 2
		.amdhsa_user_sgpr_dispatch_ptr 0
		.amdhsa_user_sgpr_queue_ptr 0
		.amdhsa_user_sgpr_kernarg_segment_ptr 1
		.amdhsa_user_sgpr_dispatch_id 0
		.amdhsa_user_sgpr_kernarg_preload_length 0
		.amdhsa_user_sgpr_kernarg_preload_offset 0
		.amdhsa_user_sgpr_private_segment_size 0
		.amdhsa_wavefront_size32 1
		.amdhsa_uses_dynamic_stack 0
		.amdhsa_enable_private_segment 1
		.amdhsa_system_sgpr_workgroup_id_x 1
		.amdhsa_system_sgpr_workgroup_id_y 0
		.amdhsa_system_sgpr_workgroup_id_z 0
		.amdhsa_system_sgpr_workgroup_info 0
		.amdhsa_system_vgpr_workitem_id 0
		.amdhsa_next_free_vgpr 29
		.amdhsa_next_free_sgpr 74
		.amdhsa_named_barrier_count 0
		.amdhsa_reserve_vcc 1
		.amdhsa_float_round_mode_32 0
		.amdhsa_float_round_mode_16_64 0
		.amdhsa_float_denorm_mode_32 3
		.amdhsa_float_denorm_mode_16_64 3
		.amdhsa_fp16_overflow 0
		.amdhsa_memory_ordered 1
		.amdhsa_forward_progress 1
		.amdhsa_inst_pref_size 40
		.amdhsa_round_robin_scheduling 0
		.amdhsa_exception_fp_ieee_invalid_op 0
		.amdhsa_exception_fp_denorm_src 0
		.amdhsa_exception_fp_ieee_div_zero 0
		.amdhsa_exception_fp_ieee_overflow 0
		.amdhsa_exception_fp_ieee_underflow 0
		.amdhsa_exception_fp_ieee_inexact 0
		.amdhsa_exception_int_div_zero 0
	.end_amdhsa_kernel
	.section	.text._ZN9rocsparseL41csrgemm_numeric_fill_block_per_row_kernelILj1024ELj64ELj32768ELj137ELj32Eii21rocsparse_complex_numIdEEEvT5_PKS3_S5_NS_24const_host_device_scalarIT6_EEPKT4_S5_PKS7_SB_S5_SD_S8_SB_S5_SD_SB_S5_PS7_21rocsparse_index_base_SF_SF_SF_bbb,"axG",@progbits,_ZN9rocsparseL41csrgemm_numeric_fill_block_per_row_kernelILj1024ELj64ELj32768ELj137ELj32Eii21rocsparse_complex_numIdEEEvT5_PKS3_S5_NS_24const_host_device_scalarIT6_EEPKT4_S5_PKS7_SB_S5_SD_S8_SB_S5_SD_SB_S5_PS7_21rocsparse_index_base_SF_SF_SF_bbb,comdat
.Lfunc_end76:
	.size	_ZN9rocsparseL41csrgemm_numeric_fill_block_per_row_kernelILj1024ELj64ELj32768ELj137ELj32Eii21rocsparse_complex_numIdEEEvT5_PKS3_S5_NS_24const_host_device_scalarIT6_EEPKT4_S5_PKS7_SB_S5_SD_S8_SB_S5_SD_SB_S5_PS7_21rocsparse_index_base_SF_SF_SF_bbb, .Lfunc_end76-_ZN9rocsparseL41csrgemm_numeric_fill_block_per_row_kernelILj1024ELj64ELj32768ELj137ELj32Eii21rocsparse_complex_numIdEEEvT5_PKS3_S5_NS_24const_host_device_scalarIT6_EEPKT4_S5_PKS7_SB_S5_SD_S8_SB_S5_SD_SB_S5_PS7_21rocsparse_index_base_SF_SF_SF_bbb
                                        ; -- End function
	.set _ZN9rocsparseL41csrgemm_numeric_fill_block_per_row_kernelILj1024ELj64ELj32768ELj137ELj32Eii21rocsparse_complex_numIdEEEvT5_PKS3_S5_NS_24const_host_device_scalarIT6_EEPKT4_S5_PKS7_SB_S5_SD_S8_SB_S5_SD_SB_S5_PS7_21rocsparse_index_base_SF_SF_SF_bbb.num_vgpr, 29
	.set _ZN9rocsparseL41csrgemm_numeric_fill_block_per_row_kernelILj1024ELj64ELj32768ELj137ELj32Eii21rocsparse_complex_numIdEEEvT5_PKS3_S5_NS_24const_host_device_scalarIT6_EEPKT4_S5_PKS7_SB_S5_SD_S8_SB_S5_SD_SB_S5_PS7_21rocsparse_index_base_SF_SF_SF_bbb.num_agpr, 0
	.set _ZN9rocsparseL41csrgemm_numeric_fill_block_per_row_kernelILj1024ELj64ELj32768ELj137ELj32Eii21rocsparse_complex_numIdEEEvT5_PKS3_S5_NS_24const_host_device_scalarIT6_EEPKT4_S5_PKS7_SB_S5_SD_S8_SB_S5_SD_SB_S5_PS7_21rocsparse_index_base_SF_SF_SF_bbb.numbered_sgpr, 74
	.set _ZN9rocsparseL41csrgemm_numeric_fill_block_per_row_kernelILj1024ELj64ELj32768ELj137ELj32Eii21rocsparse_complex_numIdEEEvT5_PKS3_S5_NS_24const_host_device_scalarIT6_EEPKT4_S5_PKS7_SB_S5_SD_S8_SB_S5_SD_SB_S5_PS7_21rocsparse_index_base_SF_SF_SF_bbb.num_named_barrier, 0
	.set _ZN9rocsparseL41csrgemm_numeric_fill_block_per_row_kernelILj1024ELj64ELj32768ELj137ELj32Eii21rocsparse_complex_numIdEEEvT5_PKS3_S5_NS_24const_host_device_scalarIT6_EEPKT4_S5_PKS7_SB_S5_SD_S8_SB_S5_SD_SB_S5_PS7_21rocsparse_index_base_SF_SF_SF_bbb.private_seg_size, 40
	.set _ZN9rocsparseL41csrgemm_numeric_fill_block_per_row_kernelILj1024ELj64ELj32768ELj137ELj32Eii21rocsparse_complex_numIdEEEvT5_PKS3_S5_NS_24const_host_device_scalarIT6_EEPKT4_S5_PKS7_SB_S5_SD_S8_SB_S5_SD_SB_S5_PS7_21rocsparse_index_base_SF_SF_SF_bbb.uses_vcc, 1
	.set _ZN9rocsparseL41csrgemm_numeric_fill_block_per_row_kernelILj1024ELj64ELj32768ELj137ELj32Eii21rocsparse_complex_numIdEEEvT5_PKS3_S5_NS_24const_host_device_scalarIT6_EEPKT4_S5_PKS7_SB_S5_SD_S8_SB_S5_SD_SB_S5_PS7_21rocsparse_index_base_SF_SF_SF_bbb.uses_flat_scratch, 1
	.set _ZN9rocsparseL41csrgemm_numeric_fill_block_per_row_kernelILj1024ELj64ELj32768ELj137ELj32Eii21rocsparse_complex_numIdEEEvT5_PKS3_S5_NS_24const_host_device_scalarIT6_EEPKT4_S5_PKS7_SB_S5_SD_S8_SB_S5_SD_SB_S5_PS7_21rocsparse_index_base_SF_SF_SF_bbb.has_dyn_sized_stack, 0
	.set _ZN9rocsparseL41csrgemm_numeric_fill_block_per_row_kernelILj1024ELj64ELj32768ELj137ELj32Eii21rocsparse_complex_numIdEEEvT5_PKS3_S5_NS_24const_host_device_scalarIT6_EEPKT4_S5_PKS7_SB_S5_SD_S8_SB_S5_SD_SB_S5_PS7_21rocsparse_index_base_SF_SF_SF_bbb.has_recursion, 0
	.set _ZN9rocsparseL41csrgemm_numeric_fill_block_per_row_kernelILj1024ELj64ELj32768ELj137ELj32Eii21rocsparse_complex_numIdEEEvT5_PKS3_S5_NS_24const_host_device_scalarIT6_EEPKT4_S5_PKS7_SB_S5_SD_S8_SB_S5_SD_SB_S5_PS7_21rocsparse_index_base_SF_SF_SF_bbb.has_indirect_call, 0
	.section	.AMDGPU.csdata,"",@progbits
; Kernel info:
; codeLenInByte = 5004
; TotalNumSgprs: 76
; NumVgprs: 29
; ScratchSize: 40
; MemoryBound: 0
; FloatMode: 240
; IeeeMode: 1
; LDSByteSize: 0 bytes/workgroup (compile time only)
; SGPRBlocks: 0
; VGPRBlocks: 1
; NumSGPRsForWavesPerEU: 76
; NumVGPRsForWavesPerEU: 29
; NamedBarCnt: 0
; Occupancy: 16
; WaveLimiterHint : 1
; COMPUTE_PGM_RSRC2:SCRATCH_EN: 1
; COMPUTE_PGM_RSRC2:USER_SGPR: 2
; COMPUTE_PGM_RSRC2:TRAP_HANDLER: 0
; COMPUTE_PGM_RSRC2:TGID_X_EN: 1
; COMPUTE_PGM_RSRC2:TGID_Y_EN: 0
; COMPUTE_PGM_RSRC2:TGID_Z_EN: 0
; COMPUTE_PGM_RSRC2:TIDIG_COMP_CNT: 0
	.section	.text._ZN9rocsparseL41csrgemm_numeric_fill_block_per_row_kernelILj1024ELj64ELj32768ELj137ELj64Eii21rocsparse_complex_numIdEEEvT5_PKS3_S5_NS_24const_host_device_scalarIT6_EEPKT4_S5_PKS7_SB_S5_SD_S8_SB_S5_SD_SB_S5_PS7_21rocsparse_index_base_SF_SF_SF_bbb,"axG",@progbits,_ZN9rocsparseL41csrgemm_numeric_fill_block_per_row_kernelILj1024ELj64ELj32768ELj137ELj64Eii21rocsparse_complex_numIdEEEvT5_PKS3_S5_NS_24const_host_device_scalarIT6_EEPKT4_S5_PKS7_SB_S5_SD_S8_SB_S5_SD_SB_S5_PS7_21rocsparse_index_base_SF_SF_SF_bbb,comdat
	.globl	_ZN9rocsparseL41csrgemm_numeric_fill_block_per_row_kernelILj1024ELj64ELj32768ELj137ELj64Eii21rocsparse_complex_numIdEEEvT5_PKS3_S5_NS_24const_host_device_scalarIT6_EEPKT4_S5_PKS7_SB_S5_SD_S8_SB_S5_SD_SB_S5_PS7_21rocsparse_index_base_SF_SF_SF_bbb ; -- Begin function _ZN9rocsparseL41csrgemm_numeric_fill_block_per_row_kernelILj1024ELj64ELj32768ELj137ELj64Eii21rocsparse_complex_numIdEEEvT5_PKS3_S5_NS_24const_host_device_scalarIT6_EEPKT4_S5_PKS7_SB_S5_SD_S8_SB_S5_SD_SB_S5_PS7_21rocsparse_index_base_SF_SF_SF_bbb
	.p2align	8
	.type	_ZN9rocsparseL41csrgemm_numeric_fill_block_per_row_kernelILj1024ELj64ELj32768ELj137ELj64Eii21rocsparse_complex_numIdEEEvT5_PKS3_S5_NS_24const_host_device_scalarIT6_EEPKT4_S5_PKS7_SB_S5_SD_S8_SB_S5_SD_SB_S5_PS7_21rocsparse_index_base_SF_SF_SF_bbb,@function
_ZN9rocsparseL41csrgemm_numeric_fill_block_per_row_kernelILj1024ELj64ELj32768ELj137ELj64Eii21rocsparse_complex_numIdEEEvT5_PKS3_S5_NS_24const_host_device_scalarIT6_EEPKT4_S5_PKS7_SB_S5_SD_S8_SB_S5_SD_SB_S5_PS7_21rocsparse_index_base_SF_SF_SF_bbb: ; @_ZN9rocsparseL41csrgemm_numeric_fill_block_per_row_kernelILj1024ELj64ELj32768ELj137ELj64Eii21rocsparse_complex_numIdEEEvT5_PKS3_S5_NS_24const_host_device_scalarIT6_EEPKT4_S5_PKS7_SB_S5_SD_S8_SB_S5_SD_SB_S5_PS7_21rocsparse_index_base_SF_SF_SF_bbb
; %bb.0:
	s_clause 0x3
	s_load_b32 s3, s[0:1], 0xa8
	s_load_b128 s[4:7], s[0:1], 0x18
	s_load_b128 s[12:15], s[0:1], 0x58
	s_load_b128 s[16:19], s[0:1], 0x98
	v_mov_b64_e32 v[6:7], 0
	v_mov_b64_e32 v[10:11], 0
	;; [unrolled: 1-line block ×3, first 2 shown]
	v_mbcnt_lo_u32_b32 v21, -1, 0
	s_wait_kmcnt 0x0
	s_bitcmp1_b32 s3, 0
	v_mov_b64_e32 v[2:3], s[4:5]
	s_cselect_b32 s35, -1, 0
	s_bitcmp1_b32 s3, 16
	v_mov_b64_e32 v[4:5], s[12:13]
	s_cselect_b32 s2, -1, 0
	s_clause 0x1
	scratch_store_b64 off, v[2:3], off offset:16
	scratch_store_b64 off, v[4:5], off offset:24
	s_xor_b32 s26, s2, -1
	s_bitcmp0_b32 s3, 0
	v_cndmask_b32_e64 v1, 0, 1, s26
	s_delay_alu instid0(VALU_DEP_1)
	v_cmp_ne_u32_e32 vcc_lo, 1, v1
	s_cbranch_scc1 .LBB77_3
; %bb.1:
	s_wait_xcnt 0x1
	v_dual_mov_b32 v2, 16 :: v_dual_lshlrev_b32 v3, 20, v21
	v_mov_b64_e32 v[12:13], s[6:7]
	s_and_b32 vcc_lo, exec_lo, vcc_lo
	s_delay_alu instid0(VALU_DEP_2) | instskip(NEXT) | instid1(VALU_DEP_1)
	v_add_nc_u64_e32 v[2:3], src_flat_scratch_base_lo, v[2:3]
	v_cndmask_b32_e64 v3, s5, v3, s2
	s_delay_alu instid0(VALU_DEP_2)
	v_cndmask_b32_e64 v2, s4, v2, s2
	flat_load_b64 v[10:11], v[2:3]
	s_cbranch_vccnz .LBB77_3
; %bb.2:
	v_mov_b32_e32 v1, 0
	flat_load_b64 v[12:13], v1, s[4:5] offset:8
.LBB77_3:
	s_clause 0x4
	s_load_b64 s[24:25], s[0:1], 0x90
	s_load_b128 s[4:7], s[0:1], 0x70
	s_load_b128 s[8:11], s[0:1], 0x48
	;; [unrolled: 1-line block ×3, first 2 shown]
	s_load_b64 s[28:29], s[0:1], 0x30
	v_mov_b64_e32 v[8:9], 0
	s_bitcmp1_b32 s3, 8
	s_cselect_b32 s34, -1, 0
	s_bfe_u32 s3, s3, 0x10008
	s_delay_alu instid0(SALU_CYCLE_1)
	s_cmp_eq_u32 s3, 0
	s_cbranch_scc1 .LBB77_6
; %bb.4:
	v_dual_mov_b32 v2, 24 :: v_dual_lshlrev_b32 v3, 20, v21
	v_mov_b64_e32 v[6:7], s[14:15]
	s_and_not1_b32 vcc_lo, exec_lo, s26
	s_delay_alu instid0(VALU_DEP_2) | instskip(NEXT) | instid1(VALU_DEP_1)
	v_add_nc_u64_e32 v[2:3], src_flat_scratch_base_lo, v[2:3]
	v_cndmask_b32_e64 v3, s13, v3, s2
	s_delay_alu instid0(VALU_DEP_2)
	v_cndmask_b32_e64 v2, s12, v2, s2
	flat_load_b64 v[8:9], v[2:3]
	s_cbranch_vccnz .LBB77_6
; %bb.5:
	v_mov_b32_e32 v1, 0
	flat_load_b64 v[6:7], v1, s[12:13] offset:8
.LBB77_6:
	s_clause 0x4
	s_load_b32 s33, s[0:1], 0x0
	s_load_b64 s[30:31], s[0:1], 0x28
	s_load_b64 s[26:27], s[0:1], 0x80
	;; [unrolled: 1-line block ×3, first 2 shown]
	s_load_b128 s[12:15], s[0:1], 0x38
	s_wait_xcnt 0x0
	s_mov_b32 s0, 0
	v_or_b32_e32 v1, 0xfffffc00, v0
	v_lshl_add_u32 v20, v0, 2, 0
	v_lshlrev_b32_e32 v22, 4, v0
	s_mov_b32 s1, s0
	s_mov_b32 s36, s0
	;; [unrolled: 1-line block ×3, first 2 shown]
	v_mov_b64_e32 v[2:3], s[0:1]
	v_mov_b64_e32 v[4:5], s[36:37]
	v_mov_b32_e32 v15, v20
	v_add3_u32 v14, v22, 0, 0x20008
	s_wait_kmcnt 0x0
	v_dual_mov_b32 v17, v1 :: v_dual_mov_b32 v16, s33
.LBB77_7:                               ; =>This Inner Loop Header: Depth=1
	s_delay_alu instid0(VALU_DEP_1)
	v_add_nc_u32_e32 v17, 0x400, v17
	ds_store_b32 v15, v16
	v_add_nc_u32_e32 v18, -8, v14
	v_add_nc_u32_e32 v14, 0x4000, v14
	v_add_nc_u32_e32 v15, 0x1000, v15
	v_cmp_lt_u32_e32 vcc_lo, 0x7bff, v17
	ds_store_2addr_b64 v18, v[2:3], v[4:5] offset1:1
	s_or_b32 s0, vcc_lo, s0
	s_delay_alu instid0(SALU_CYCLE_1)
	s_and_not1_b32 exec_lo, exec_lo, s0
	s_cbranch_execnz .LBB77_7
; %bb.8:
	s_or_b32 exec_lo, exec_lo, s0
	s_wait_storecnt 0x0
	s_wait_loadcnt_dscnt 0x0
	s_barrier_signal -1
	s_barrier_wait -1
	s_load_b32 s0, s[20:21], 0x0
	s_bfe_u32 s1, ttmp6, 0x4000c
	s_wait_xcnt 0x0
	s_and_b32 s20, ttmp6, 15
	s_add_co_i32 s1, s1, 1
	s_getreg_b32 s21, hwreg(HW_REG_IB_STS2, 6, 4)
	s_mul_i32 s1, ttmp9, s1
	v_lshrrev_b32_e32 v23, 6, v0
	s_add_co_i32 s20, s20, s1
	s_cmp_eq_u32 s21, 0
	s_cselect_b32 s1, ttmp9, s20
	s_and_b32 vcc_lo, exec_lo, s35
	s_wait_kmcnt 0x0
	s_add_co_i32 s0, s0, s1
	s_load_b32 s20, s[22:23], s0 offset:0x0 scale_offset
	s_cbranch_vccz .LBB77_26
; %bb.9:
	s_wait_kmcnt 0x0
	s_ashr_i32 s21, s20, 31
	v_subrev_nc_u32_e32 v2, s16, v23
	s_lshl_b64 s[0:1], s[20:21], 2
	s_delay_alu instid0(SALU_CYCLE_1)
	s_add_nc_u64 s[0:1], s[30:31], s[0:1]
	s_load_b64 s[22:23], s[0:1], 0x0
	s_wait_xcnt 0x0
	s_mov_b32 s1, exec_lo
	s_wait_kmcnt 0x0
	v_add_nc_u32_e32 v14, s22, v2
	s_sub_co_i32 s0, s23, s16
	s_delay_alu instid0(VALU_DEP_1) | instid1(SALU_CYCLE_1)
	v_cmpx_gt_i32_e64 s0, v14
	s_cbranch_execz .LBB77_25
; %bb.10:
	v_and_b32_e32 v2, 63, v0
	s_mov_b32 s21, 0
	s_delay_alu instid0(VALU_DEP_1)
	v_subrev_nc_u32_e32 v24, s17, v2
	s_branch .LBB77_12
.LBB77_11:                              ;   in Loop: Header=BB77_12 Depth=1
	s_or_b32 exec_lo, exec_lo, s22
	v_add_nc_u32_e32 v14, 16, v14
	s_delay_alu instid0(VALU_DEP_1) | instskip(SKIP_1) | instid1(SALU_CYCLE_1)
	v_cmp_le_i32_e32 vcc_lo, s0, v14
	s_or_b32 s21, vcc_lo, s21
	s_and_not1_b32 exec_lo, exec_lo, s21
	s_cbranch_execz .LBB77_25
.LBB77_12:                              ; =>This Loop Header: Depth=1
                                        ;     Child Loop BB77_16 Depth 2
                                        ;       Child Loop BB77_19 Depth 3
	global_load_b32 v2, v14, s[28:29] scale_offset
	s_mov_b32 s22, exec_lo
	s_wait_loadcnt 0x0
	v_subrev_nc_u32_e32 v2, s16, v2
	s_delay_alu instid0(VALU_DEP_1) | instskip(NEXT) | instid1(VALU_DEP_1)
	v_ashrrev_i32_e32 v3, 31, v2
	v_lshl_add_u64 v[2:3], v[2:3], 2, s[14:15]
	global_load_b64 v[2:3], v[2:3], off
	s_wait_loadcnt 0x0
	v_subrev_nc_u32_e32 v25, s17, v3
	v_add_nc_u32_e32 v26, v2, v24
	s_wait_xcnt 0x0
	s_delay_alu instid0(VALU_DEP_1)
	v_cmpx_lt_i32_e64 v26, v25
	s_cbranch_execz .LBB77_11
; %bb.13:                               ;   in Loop: Header=BB77_12 Depth=1
	v_ashrrev_i32_e32 v15, 31, v14
	s_mov_b32 s23, 0
	s_delay_alu instid0(VALU_DEP_1) | instskip(SKIP_4) | instid1(VALU_DEP_2)
	v_lshl_add_u64 v[2:3], v[14:15], 4, s[12:13]
	global_load_b128 v[2:5], v[2:3], off
	s_wait_loadcnt 0x0
	v_mul_f64_e64 v[16:17], v[4:5], -v[12:13]
	v_mul_f64_e32 v[18:19], v[10:11], v[4:5]
	v_fmac_f64_e32 v[16:17], v[10:11], v[2:3]
	s_delay_alu instid0(VALU_DEP_2)
	v_fmac_f64_e32 v[18:19], v[12:13], v[2:3]
	s_branch .LBB77_16
.LBB77_14:                              ;   in Loop: Header=BB77_16 Depth=2
	s_or_b32 exec_lo, exec_lo, s31
.LBB77_15:                              ;   in Loop: Header=BB77_16 Depth=2
	s_delay_alu instid0(SALU_CYCLE_1) | instskip(SKIP_3) | instid1(VALU_DEP_1)
	s_or_b32 exec_lo, exec_lo, s30
	s_wait_loadcnt 0x0
	v_mul_f64_e64 v[28:29], v[4:5], -v[18:19]
	v_dual_mul_f64 v[4:5], v[16:17], v[4:5] :: v_dual_add_nc_u32 v26, 64, v26
	v_cmp_ge_i32_e32 vcc_lo, v26, v25
	s_or_b32 s23, vcc_lo, s23
	s_delay_alu instid0(VALU_DEP_3) | instskip(NEXT) | instid1(VALU_DEP_3)
	v_fmac_f64_e32 v[28:29], v[16:17], v[2:3]
	v_fmac_f64_e32 v[4:5], v[18:19], v[2:3]
	v_lshlrev_b32_e32 v2, 4, v15
	s_delay_alu instid0(VALU_DEP_1)
	v_add3_u32 v2, 0, v2, 0x20000
	ds_add_f64 v2, v[28:29]
	ds_add_f64 v2, v[4:5] offset:8
	s_and_not1_b32 exec_lo, exec_lo, s23
	s_cbranch_execz .LBB77_11
.LBB77_16:                              ;   Parent Loop BB77_12 Depth=1
                                        ; =>  This Loop Header: Depth=2
                                        ;       Child Loop BB77_19 Depth 3
	s_clause 0x1
	global_load_b32 v15, v26, s[8:9] scale_offset
	global_load_b128 v[2:5], v26, s[10:11] scale_offset
	s_mov_b32 s30, exec_lo
	s_wait_loadcnt 0x1
	v_subrev_nc_u32_e32 v27, s17, v15
	s_delay_alu instid0(VALU_DEP_1) | instskip(NEXT) | instid1(VALU_DEP_1)
	v_mul_lo_u32 v15, 0x89, v27
	v_and_b32_e32 v15, 0x7fff, v15
	s_delay_alu instid0(VALU_DEP_1)
	v_lshl_add_u32 v28, v15, 2, 0
	ds_load_b32 v29, v28
	s_wait_dscnt 0x0
	s_wait_xcnt 0x0
	v_cmpx_ne_u32_e64 v29, v27
	s_cbranch_execz .LBB77_15
; %bb.17:                               ;   in Loop: Header=BB77_16 Depth=2
	s_mov_b32 s31, 0
	s_branch .LBB77_19
.LBB77_18:                              ;   in Loop: Header=BB77_19 Depth=3
	s_or_b32 exec_lo, exec_lo, s37
	s_delay_alu instid0(SALU_CYCLE_1) | instskip(NEXT) | instid1(SALU_CYCLE_1)
	s_and_b32 s35, exec_lo, s36
	s_or_b32 s31, s35, s31
	s_delay_alu instid0(SALU_CYCLE_1)
	s_and_not1_b32 exec_lo, exec_lo, s31
	s_cbranch_execz .LBB77_14
.LBB77_19:                              ;   Parent Loop BB77_12 Depth=1
                                        ;     Parent Loop BB77_16 Depth=2
                                        ; =>    This Inner Loop Header: Depth=3
	s_mov_b32 s35, 0
	s_mov_b32 s36, exec_lo
	v_cmpx_ne_u32_e64 s33, v29
	s_xor_b32 s36, exec_lo, s36
	s_cbranch_execz .LBB77_21
; %bb.20:                               ;   in Loop: Header=BB77_19 Depth=3
	v_add_nc_u32_e32 v15, 1, v15
	s_mov_b32 s35, exec_lo
                                        ; implicit-def: $vgpr28
	s_delay_alu instid0(VALU_DEP_1)
	v_and_b32_e32 v15, 0x7fff, v15
	s_and_not1_saveexec_b32 s36, s36
	s_cbranch_execz .LBB77_23
	s_branch .LBB77_22
.LBB77_21:                              ;   in Loop: Header=BB77_19 Depth=3
	s_and_not1_saveexec_b32 s36, s36
	s_cbranch_execz .LBB77_23
.LBB77_22:                              ;   in Loop: Header=BB77_19 Depth=3
	v_mov_b32_e32 v29, s33
	s_and_not1_b32 s35, s35, exec_lo
	ds_cmpstore_rtn_b32 v28, v28, v27, v29
	s_wait_dscnt 0x0
	v_cmp_ne_u32_e32 vcc_lo, s33, v28
	s_and_b32 s37, vcc_lo, exec_lo
	s_delay_alu instid0(SALU_CYCLE_1)
	s_or_b32 s35, s35, s37
.LBB77_23:                              ;   in Loop: Header=BB77_19 Depth=3
	s_or_b32 exec_lo, exec_lo, s36
	s_mov_b32 s36, -1
                                        ; implicit-def: $vgpr28
                                        ; implicit-def: $vgpr29
	s_and_saveexec_b32 s37, s35
	s_cbranch_execz .LBB77_18
; %bb.24:                               ;   in Loop: Header=BB77_19 Depth=3
	v_lshl_add_u32 v28, v15, 2, 0
	ds_load_b32 v29, v28
	s_wait_dscnt 0x0
	v_cmp_eq_u32_e32 vcc_lo, v29, v27
	s_or_not1_b32 s36, vcc_lo, exec_lo
	s_branch .LBB77_18
.LBB77_25:
	s_or_b32 exec_lo, exec_lo, s1
.LBB77_26:
	s_delay_alu instid0(SALU_CYCLE_1)
	s_and_not1_b32 vcc_lo, exec_lo, s34
	s_cbranch_vccnz .LBB77_41
; %bb.27:
	s_wait_kmcnt 0x0
	s_ashr_i32 s21, s20, 31
	v_subrev_nc_u32_e32 v2, s19, v0
	s_lshl_b64 s[0:1], s[20:21], 2
	s_delay_alu instid0(SALU_CYCLE_1)
	s_add_nc_u64 s[0:1], s[2:3], s[0:1]
	s_load_b64 s[2:3], s[0:1], 0x0
	s_wait_xcnt 0x0
	s_mov_b32 s1, exec_lo
	s_wait_kmcnt 0x0
	v_add_nc_u32_e32 v10, s2, v2
	s_sub_co_i32 s0, s3, s19
	s_delay_alu instid0(VALU_DEP_1) | instid1(SALU_CYCLE_1)
	v_cmpx_gt_i32_e64 s0, v10
	s_cbranch_execz .LBB77_40
; %bb.28:
	s_mov_b32 s2, 0
	s_branch .LBB77_31
.LBB77_29:                              ;   in Loop: Header=BB77_31 Depth=1
	s_or_b32 exec_lo, exec_lo, s8
.LBB77_30:                              ;   in Loop: Header=BB77_31 Depth=1
	s_delay_alu instid0(SALU_CYCLE_1) | instskip(SKIP_4) | instid1(VALU_DEP_1)
	s_or_b32 exec_lo, exec_lo, s3
	s_wait_loadcnt 0x0
	v_mul_f64_e64 v[12:13], v[4:5], -v[6:7]
	v_mul_f64_e32 v[4:5], v[8:9], v[4:5]
	v_add_nc_u32_e32 v10, 0x400, v10
	v_cmp_le_i32_e32 vcc_lo, s0, v10
	s_or_b32 s2, vcc_lo, s2
	s_delay_alu instid0(VALU_DEP_4) | instskip(NEXT) | instid1(VALU_DEP_4)
	v_fmac_f64_e32 v[12:13], v[8:9], v[2:3]
	v_fmac_f64_e32 v[4:5], v[6:7], v[2:3]
	v_lshlrev_b32_e32 v2, 4, v11
	s_delay_alu instid0(VALU_DEP_1)
	v_add3_u32 v2, 0, v2, 0x20000
	ds_add_f64 v2, v[12:13]
	ds_add_f64 v2, v[4:5] offset:8
	s_and_not1_b32 exec_lo, exec_lo, s2
	s_cbranch_execz .LBB77_40
.LBB77_31:                              ; =>This Loop Header: Depth=1
                                        ;     Child Loop BB77_34 Depth 2
	s_clause 0x1
	global_load_b32 v11, v10, s[4:5] scale_offset
	global_load_b128 v[2:5], v10, s[6:7] scale_offset
	s_mov_b32 s3, exec_lo
	s_wait_loadcnt 0x1
	v_subrev_nc_u32_e32 v12, s19, v11
	s_delay_alu instid0(VALU_DEP_1) | instskip(NEXT) | instid1(VALU_DEP_1)
	v_mul_lo_u32 v11, 0x89, v12
	v_and_b32_e32 v11, 0x7fff, v11
	s_delay_alu instid0(VALU_DEP_1)
	v_lshl_add_u32 v13, v11, 2, 0
	ds_load_b32 v14, v13
	s_wait_dscnt 0x0
	s_wait_xcnt 0x0
	v_cmpx_ne_u32_e64 v14, v12
	s_cbranch_execz .LBB77_30
; %bb.32:                               ;   in Loop: Header=BB77_31 Depth=1
	s_mov_b32 s8, 0
	s_branch .LBB77_34
.LBB77_33:                              ;   in Loop: Header=BB77_34 Depth=2
	s_or_b32 exec_lo, exec_lo, s11
	s_delay_alu instid0(SALU_CYCLE_1) | instskip(NEXT) | instid1(SALU_CYCLE_1)
	s_and_b32 s9, exec_lo, s10
	s_or_b32 s8, s9, s8
	s_delay_alu instid0(SALU_CYCLE_1)
	s_and_not1_b32 exec_lo, exec_lo, s8
	s_cbranch_execz .LBB77_29
.LBB77_34:                              ;   Parent Loop BB77_31 Depth=1
                                        ; =>  This Inner Loop Header: Depth=2
	s_mov_b32 s9, 0
	s_mov_b32 s10, exec_lo
	v_cmpx_ne_u32_e64 s33, v14
	s_xor_b32 s10, exec_lo, s10
	s_cbranch_execz .LBB77_36
; %bb.35:                               ;   in Loop: Header=BB77_34 Depth=2
	v_add_nc_u32_e32 v11, 1, v11
	s_mov_b32 s9, exec_lo
                                        ; implicit-def: $vgpr13
	s_delay_alu instid0(VALU_DEP_1)
	v_and_b32_e32 v11, 0x7fff, v11
	s_and_not1_saveexec_b32 s10, s10
	s_cbranch_execz .LBB77_38
	s_branch .LBB77_37
.LBB77_36:                              ;   in Loop: Header=BB77_34 Depth=2
	s_and_not1_saveexec_b32 s10, s10
	s_cbranch_execz .LBB77_38
.LBB77_37:                              ;   in Loop: Header=BB77_34 Depth=2
	v_mov_b32_e32 v14, s33
	s_and_not1_b32 s9, s9, exec_lo
	ds_cmpstore_rtn_b32 v13, v13, v12, v14
	s_wait_dscnt 0x0
	v_cmp_ne_u32_e32 vcc_lo, s33, v13
	s_and_b32 s11, vcc_lo, exec_lo
	s_delay_alu instid0(SALU_CYCLE_1)
	s_or_b32 s9, s9, s11
.LBB77_38:                              ;   in Loop: Header=BB77_34 Depth=2
	s_or_b32 exec_lo, exec_lo, s10
	s_mov_b32 s10, -1
                                        ; implicit-def: $vgpr13
                                        ; implicit-def: $vgpr14
	s_and_saveexec_b32 s11, s9
	s_cbranch_execz .LBB77_33
; %bb.39:                               ;   in Loop: Header=BB77_34 Depth=2
	v_lshl_add_u32 v13, v11, 2, 0
	ds_load_b32 v14, v13
	s_wait_dscnt 0x0
	v_cmp_eq_u32_e32 vcc_lo, v14, v12
	s_or_not1_b32 s10, vcc_lo, exec_lo
	s_branch .LBB77_33
.LBB77_40:
	s_or_b32 exec_lo, exec_lo, s1
.LBB77_41:
	v_dual_lshlrev_b32 v4, 2, v23 :: v_dual_bitop2_b32 v2, 31, v21 bitop3:0x14
	s_add_co_i32 s36, 0, 0xa003c
	s_delay_alu instid0(SALU_CYCLE_1) | instskip(NEXT) | instid1(VALU_DEP_2)
	v_dual_mov_b32 v3, 0 :: v_dual_mov_b32 v6, s36
	v_lshrrev_b32_e64 v2, v2, -1
	s_delay_alu instid0(VALU_DEP_3)
	v_add3_u32 v4, 0xa0000, 0, v4
	s_wait_xcnt 0x0
	v_cmp_lt_u32_e64 s0, 63, v0
	v_cmp_lt_u32_e64 s1, 0x7f, v0
	;; [unrolled: 1-line block ×15, first 2 shown]
	v_add3_u32 v5, v22, 0, 0x20000
	s_mov_b32 s16, 0
	s_add_co_i32 s17, 0, 0xa0000
	s_add_co_i32 s19, 0, 0xa0004
	;; [unrolled: 1-line block ×15, first 2 shown]
	s_wait_dscnt 0x0
	s_barrier_signal -1
	s_barrier_wait -1
	v_cmp_eq_u32_e32 vcc_lo, 0x3ff, v0
	s_branch .LBB77_43
.LBB77_42:                              ;   in Loop: Header=BB77_43 Depth=1
	s_or_b32 exec_lo, exec_lo, s15
	s_wait_dscnt 0x0
	s_barrier_signal -1
	s_barrier_wait -1
	ds_load_b32 v7, v6
	v_add_nc_u32_e32 v1, 0x400, v1
	v_add_nc_u32_e32 v5, 0x4000, v5
	;; [unrolled: 1-line block ×3, first 2 shown]
	s_delay_alu instid0(VALU_DEP_3)
	v_cmp_lt_u32_e64 s15, 0x7bff, v1
	s_or_b32 s16, s15, s16
	s_wait_dscnt 0x0
	v_add_nc_u32_e32 v3, v7, v3
	s_and_not1_b32 exec_lo, exec_lo, s16
	s_cbranch_execz .LBB77_77
.LBB77_43:                              ; =>This Inner Loop Header: Depth=1
	ds_load_b32 v7, v20
	ds_load_2addr_b64 v[8:11], v5 offset1:1
	s_wait_dscnt 0x1
	v_cmp_gt_i32_e64 s15, s33, v7
	s_wait_dscnt 0x0
	scratch_store_b128 off, v[8:11], off
	s_wait_storecnt 0x0
	s_barrier_signal -1
	s_barrier_wait -1
	s_bcnt1_i32_b32 s41, s15
	s_wait_xcnt 0x0
	v_dual_mov_b32 v9, s41 :: v_dual_bitop2_b32 v8, s15, v2 bitop3:0x40
	s_delay_alu instid0(VALU_DEP_1)
	v_bcnt_u32_b32 v8, v8, 0
	ds_store_b32 v4, v9
	s_wait_dscnt 0x0
	s_barrier_signal -1
	s_barrier_wait -1
	s_and_saveexec_b32 s41, s0
	s_cbranch_execz .LBB77_60
; %bb.44:                               ;   in Loop: Header=BB77_43 Depth=1
	v_mov_b32_e32 v9, s17
	ds_load_b32 v9, v9
	s_wait_dscnt 0x0
	v_add_nc_u32_e32 v8, v9, v8
	s_or_b32 exec_lo, exec_lo, s41
	s_and_saveexec_b32 s41, s1
	s_cbranch_execnz .LBB77_61
.LBB77_45:                              ;   in Loop: Header=BB77_43 Depth=1
	s_or_b32 exec_lo, exec_lo, s41
	s_and_saveexec_b32 s41, s2
	s_cbranch_execz .LBB77_62
.LBB77_46:                              ;   in Loop: Header=BB77_43 Depth=1
	v_mov_b32_e32 v9, s21
	ds_load_b32 v9, v9
	s_wait_dscnt 0x0
	v_add_nc_u32_e32 v8, v9, v8
	s_or_b32 exec_lo, exec_lo, s41
	s_and_saveexec_b32 s41, s3
	s_cbranch_execnz .LBB77_63
.LBB77_47:                              ;   in Loop: Header=BB77_43 Depth=1
	s_or_b32 exec_lo, exec_lo, s41
	s_and_saveexec_b32 s41, s4
	s_cbranch_execz .LBB77_64
.LBB77_48:                              ;   in Loop: Header=BB77_43 Depth=1
	v_mov_b32_e32 v9, s23
	ds_load_b32 v9, v9
	s_wait_dscnt 0x0
	v_add_nc_u32_e32 v8, v9, v8
	s_or_b32 exec_lo, exec_lo, s41
	s_and_saveexec_b32 s41, s5
	s_cbranch_execnz .LBB77_65
.LBB77_49:                              ;   in Loop: Header=BB77_43 Depth=1
	s_or_b32 exec_lo, exec_lo, s41
	s_and_saveexec_b32 s41, s6
	s_cbranch_execz .LBB77_66
.LBB77_50:                              ;   in Loop: Header=BB77_43 Depth=1
	v_mov_b32_e32 v9, s29
	ds_load_b32 v9, v9
	s_wait_dscnt 0x0
	v_add_nc_u32_e32 v8, v9, v8
	s_or_b32 exec_lo, exec_lo, s41
	s_and_saveexec_b32 s41, s7
	s_cbranch_execnz .LBB77_67
.LBB77_51:                              ;   in Loop: Header=BB77_43 Depth=1
	s_or_b32 exec_lo, exec_lo, s41
	s_and_saveexec_b32 s41, s8
	s_cbranch_execz .LBB77_68
.LBB77_52:                              ;   in Loop: Header=BB77_43 Depth=1
	v_mov_b32_e32 v9, s31
	ds_load_b32 v9, v9
	s_wait_dscnt 0x0
	v_add_nc_u32_e32 v8, v9, v8
	s_or_b32 exec_lo, exec_lo, s41
	s_and_saveexec_b32 s41, s9
	s_cbranch_execnz .LBB77_69
.LBB77_53:                              ;   in Loop: Header=BB77_43 Depth=1
	s_or_b32 exec_lo, exec_lo, s41
	s_and_saveexec_b32 s41, s10
	s_cbranch_execz .LBB77_70
.LBB77_54:                              ;   in Loop: Header=BB77_43 Depth=1
	v_mov_b32_e32 v9, s35
	ds_load_b32 v9, v9
	s_wait_dscnt 0x0
	v_add_nc_u32_e32 v8, v9, v8
	s_or_b32 exec_lo, exec_lo, s41
	s_and_saveexec_b32 s41, s11
	s_cbranch_execnz .LBB77_71
.LBB77_55:                              ;   in Loop: Header=BB77_43 Depth=1
	s_or_b32 exec_lo, exec_lo, s41
	s_and_saveexec_b32 s41, s12
	s_cbranch_execz .LBB77_72
.LBB77_56:                              ;   in Loop: Header=BB77_43 Depth=1
	v_mov_b32_e32 v9, s38
	ds_load_b32 v9, v9
	s_wait_dscnt 0x0
	v_add_nc_u32_e32 v8, v9, v8
	s_or_b32 exec_lo, exec_lo, s41
	s_and_saveexec_b32 s41, s13
	s_cbranch_execnz .LBB77_73
.LBB77_57:                              ;   in Loop: Header=BB77_43 Depth=1
	s_or_b32 exec_lo, exec_lo, s41
	s_and_saveexec_b32 s41, s14
	s_cbranch_execz .LBB77_74
.LBB77_58:                              ;   in Loop: Header=BB77_43 Depth=1
	v_mov_b32_e32 v9, s40
	ds_load_b32 v9, v9
	s_wait_dscnt 0x0
	v_add_nc_u32_e32 v8, v9, v8
	s_or_b32 exec_lo, exec_lo, s41
	s_and_saveexec_b32 s41, s15
	s_cbranch_execnz .LBB77_75
.LBB77_59:                              ;   in Loop: Header=BB77_43 Depth=1
	s_or_b32 exec_lo, exec_lo, s41
	s_and_saveexec_b32 s15, vcc_lo
	s_cbranch_execz .LBB77_42
	s_branch .LBB77_76
.LBB77_60:                              ;   in Loop: Header=BB77_43 Depth=1
	s_or_b32 exec_lo, exec_lo, s41
	s_and_saveexec_b32 s41, s1
	s_cbranch_execz .LBB77_45
.LBB77_61:                              ;   in Loop: Header=BB77_43 Depth=1
	v_mov_b32_e32 v9, s19
	ds_load_b32 v9, v9
	s_wait_dscnt 0x0
	v_add_nc_u32_e32 v8, v9, v8
	s_or_b32 exec_lo, exec_lo, s41
	s_and_saveexec_b32 s41, s2
	s_cbranch_execnz .LBB77_46
.LBB77_62:                              ;   in Loop: Header=BB77_43 Depth=1
	s_or_b32 exec_lo, exec_lo, s41
	s_and_saveexec_b32 s41, s3
	s_cbranch_execz .LBB77_47
.LBB77_63:                              ;   in Loop: Header=BB77_43 Depth=1
	v_mov_b32_e32 v9, s22
	ds_load_b32 v9, v9
	s_wait_dscnt 0x0
	v_add_nc_u32_e32 v8, v9, v8
	s_or_b32 exec_lo, exec_lo, s41
	s_and_saveexec_b32 s41, s4
	s_cbranch_execnz .LBB77_48
.LBB77_64:                              ;   in Loop: Header=BB77_43 Depth=1
	s_or_b32 exec_lo, exec_lo, s41
	s_and_saveexec_b32 s41, s5
	s_cbranch_execz .LBB77_49
.LBB77_65:                              ;   in Loop: Header=BB77_43 Depth=1
	v_mov_b32_e32 v9, s28
	ds_load_b32 v9, v9
	s_wait_dscnt 0x0
	v_add_nc_u32_e32 v8, v9, v8
	s_or_b32 exec_lo, exec_lo, s41
	s_and_saveexec_b32 s41, s6
	s_cbranch_execnz .LBB77_50
.LBB77_66:                              ;   in Loop: Header=BB77_43 Depth=1
	s_or_b32 exec_lo, exec_lo, s41
	s_and_saveexec_b32 s41, s7
	s_cbranch_execz .LBB77_51
.LBB77_67:                              ;   in Loop: Header=BB77_43 Depth=1
	v_mov_b32_e32 v9, s30
	ds_load_b32 v9, v9
	s_wait_dscnt 0x0
	v_add_nc_u32_e32 v8, v9, v8
	s_or_b32 exec_lo, exec_lo, s41
	s_and_saveexec_b32 s41, s8
	s_cbranch_execnz .LBB77_52
.LBB77_68:                              ;   in Loop: Header=BB77_43 Depth=1
	s_or_b32 exec_lo, exec_lo, s41
	s_and_saveexec_b32 s41, s9
	s_cbranch_execz .LBB77_53
.LBB77_69:                              ;   in Loop: Header=BB77_43 Depth=1
	v_mov_b32_e32 v9, s34
	ds_load_b32 v9, v9
	s_wait_dscnt 0x0
	v_add_nc_u32_e32 v8, v9, v8
	s_or_b32 exec_lo, exec_lo, s41
	s_and_saveexec_b32 s41, s10
	s_cbranch_execnz .LBB77_54
.LBB77_70:                              ;   in Loop: Header=BB77_43 Depth=1
	s_or_b32 exec_lo, exec_lo, s41
	s_and_saveexec_b32 s41, s11
	s_cbranch_execz .LBB77_55
.LBB77_71:                              ;   in Loop: Header=BB77_43 Depth=1
	v_mov_b32_e32 v9, s37
	ds_load_b32 v9, v9
	s_wait_dscnt 0x0
	v_add_nc_u32_e32 v8, v9, v8
	s_or_b32 exec_lo, exec_lo, s41
	s_and_saveexec_b32 s41, s12
	s_cbranch_execnz .LBB77_56
.LBB77_72:                              ;   in Loop: Header=BB77_43 Depth=1
	s_or_b32 exec_lo, exec_lo, s41
	s_and_saveexec_b32 s41, s13
	s_cbranch_execz .LBB77_57
.LBB77_73:                              ;   in Loop: Header=BB77_43 Depth=1
	v_mov_b32_e32 v9, s39
	ds_load_b32 v9, v9
	s_wait_dscnt 0x0
	v_add_nc_u32_e32 v8, v9, v8
	s_or_b32 exec_lo, exec_lo, s41
	s_and_saveexec_b32 s41, s14
	s_cbranch_execnz .LBB77_58
.LBB77_74:                              ;   in Loop: Header=BB77_43 Depth=1
	s_or_b32 exec_lo, exec_lo, s41
	s_and_saveexec_b32 s41, s15
	s_cbranch_execz .LBB77_59
.LBB77_75:                              ;   in Loop: Header=BB77_43 Depth=1
	scratch_load_b128 v[10:13], off, off
	v_add3_u32 v9, v3, -1, v8
	s_delay_alu instid0(VALU_DEP_1) | instskip(SKIP_1) | instid1(VALU_DEP_2)
	v_lshlrev_b32_e32 v14, 4, v9
	v_lshl_add_u32 v9, v9, 2, 0
	v_add3_u32 v14, 0, v14, 0x20000
	ds_store_b32 v9, v7
	s_wait_loadcnt 0x0
	ds_store_2addr_b64 v14, v[10:11], v[12:13] offset1:1
	s_or_b32 exec_lo, exec_lo, s41
	s_and_saveexec_b32 s15, vcc_lo
	s_cbranch_execz .LBB77_42
.LBB77_76:                              ;   in Loop: Header=BB77_43 Depth=1
	v_mov_b32_e32 v7, s36
	ds_store_b32 v7, v8
	s_branch .LBB77_42
.LBB77_77:
	s_or_b32 exec_lo, exec_lo, s16
	s_wait_kmcnt 0x0
	s_ashr_i32 s21, s20, 31
	s_delay_alu instid0(SALU_CYCLE_1) | instskip(NEXT) | instid1(SALU_CYCLE_1)
	s_lshl_b64 s[0:1], s[20:21], 2
	s_add_nc_u64 s[2:3], s[26:27], s[0:1]
	s_load_b64 s[0:1], s[2:3], 0x0
	s_wait_kmcnt 0x0
	s_sub_co_i32 s4, s1, s0
	s_mov_b32 s1, exec_lo
	v_cmpx_gt_i32_e64 s4, v0
	s_cbranch_execz .LBB77_91
; %bb.78:
	v_sub_co_u32 v1, s1, s4, 2
	s_sub_co_i32 s2, s0, s18
	s_xor_b32 s6, s1, -1
	s_and_b32 s5, s4, -2
	v_readfirstlane_b32 s3, v1
	s_lshr_b32 s0, s3, 1
	s_mov_b32 s3, 0
	s_add_co_i32 s0, s0, 1
	s_mov_b32 s11, s3
	s_and_b32 s1, s0, 7
	s_and_b32 s7, s0, -8
	s_cmp_lg_u32 s1, 0
	v_cmp_lt_u32_e64 s0, 13, v1
	s_cselect_b32 s8, -1, 0
	s_cmp_lg_u32 s4, s5
	s_cselect_b32 s9, -1, 0
	s_lshl_b32 s10, s1, 3
	s_branch .LBB77_80
.LBB77_79:                              ;   in Loop: Header=BB77_80 Depth=1
	s_wait_dscnt 0x0
	v_lshlrev_b32_e32 v1, 4, v0
	v_add_nc_u32_e32 v0, 0x400, v0
	s_delay_alu instid0(VALU_DEP_2) | instskip(NEXT) | instid1(VALU_DEP_2)
	v_add3_u32 v1, 0, v1, 0x20000
	v_cmp_le_i32_e32 vcc_lo, s4, v0
	ds_load_2addr_b64 v[4:7], v1 offset1:1
	s_or_b32 s11, vcc_lo, s11
	s_wait_dscnt 0x0
	global_store_b128 v2, v[4:7], s[24:25] scale_offset
	s_wait_xcnt 0x0
	s_and_not1_b32 exec_lo, exec_lo, s11
	s_cbranch_execz .LBB77_91
.LBB77_80:                              ; =>This Loop Header: Depth=1
                                        ;     Child Loop BB77_83 Depth 2
                                        ;     Child Loop BB77_86 Depth 2
	;; [unrolled: 1-line block ×3, first 2 shown]
	v_lshl_add_u32 v1, v0, 2, 0
	v_mov_b32_e32 v2, s2
	s_and_not1_b32 vcc_lo, exec_lo, s6
	s_mov_b32 s1, 0
	s_mov_b32 s12, -1
	ds_load_b32 v1, v1
	s_cbranch_vccnz .LBB77_88
; %bb.81:                               ;   in Loop: Header=BB77_80 Depth=1
	v_mov_b64_e32 v[2:3], s[2:3]
	s_and_not1_b32 vcc_lo, exec_lo, s0
	s_mov_b32 s12, 0
	s_cbranch_vccnz .LBB77_84
; %bb.82:                               ;   in Loop: Header=BB77_80 Depth=1
	v_dual_mov_b32 v2, s2 :: v_dual_mov_b32 v3, 0
	s_mov_b32 s13, 0
	s_mov_b32 s14, s7
.LBB77_83:                              ;   Parent Loop BB77_80 Depth=1
                                        ; =>  This Inner Loop Header: Depth=2
	v_mov_b32_e32 v18, s13
	s_add_co_i32 s14, s14, -8
	s_add_co_i32 s12, s12, 16
	s_add_co_i32 s13, s13, 64
	s_cmp_lg_u32 s14, 0
	ds_load_2addr_b32 v[4:5], v18 offset1:1
	ds_load_2addr_b32 v[6:7], v18 offset0:2 offset1:3
	ds_load_2addr_b32 v[8:9], v18 offset0:4 offset1:5
	;; [unrolled: 1-line block ×7, first 2 shown]
	s_wait_dscnt 0x7
	v_cmp_gt_i32_e32 vcc_lo, v1, v5
	s_wait_dscnt 0x5
	v_cmp_gt_i32_e64 s1, v1, v8
	v_cndmask_b32_e64 v5, 0, 1, vcc_lo
	v_cmp_gt_i32_e32 vcc_lo, v1, v4
	v_cndmask_b32_e64 v4, 0, 1, vcc_lo
	v_cmp_gt_i32_e32 vcc_lo, v1, v6
	v_cndmask_b32_e64 v6, 0, 1, s1
	v_cmp_gt_i32_e64 s1, v1, v9
	s_delay_alu instid0(VALU_DEP_4) | instskip(NEXT) | instid1(VALU_DEP_2)
	v_add_co_ci_u32_e64 v2, null, v2, v4, vcc_lo
	v_cndmask_b32_e64 v8, 0, 1, s1
	s_wait_dscnt 0x4
	v_cmp_gt_i32_e64 s1, v1, v11
	s_wait_dscnt 0x2
	v_cmp_gt_i32_e32 vcc_lo, v1, v14
	s_delay_alu instid0(VALU_DEP_2) | instskip(SKIP_4) | instid1(VALU_DEP_3)
	v_cndmask_b32_e64 v9, 0, 1, s1
	v_cmp_gt_i32_e64 s1, v1, v10
	v_add_co_ci_u32_e64 v2, null, v2, v6, vcc_lo
	s_wait_dscnt 0x1
	v_cmp_gt_i32_e32 vcc_lo, v1, v16
	v_cndmask_b32_e64 v10, 0, 1, s1
	v_cmp_gt_i32_e64 s1, v1, v12
	s_delay_alu instid0(VALU_DEP_2) | instskip(NEXT) | instid1(VALU_DEP_2)
	v_add_co_ci_u32_e64 v2, null, v2, v10, vcc_lo
	v_cndmask_b32_e64 v11, 0, 1, s1
	v_cmp_gt_i32_e64 s1, v1, v13
	s_wait_dscnt 0x0
	v_cmp_gt_i32_e32 vcc_lo, v1, v18
	s_delay_alu instid0(VALU_DEP_2) | instskip(SKIP_2) | instid1(VALU_DEP_2)
	v_cndmask_b32_e64 v12, 0, 1, s1
	v_cmp_gt_i32_e64 s1, v1, v7
	v_add_co_ci_u32_e64 v2, null, v2, v11, vcc_lo
	v_add_co_ci_u32_e64 v3, null, v3, v5, s1
	v_cmp_gt_i32_e64 s1, v1, v15
	s_delay_alu instid0(VALU_DEP_1) | instskip(SKIP_1) | instid1(VALU_DEP_1)
	v_add_co_ci_u32_e64 v3, null, v3, v8, s1
	v_cmp_gt_i32_e64 s1, v1, v17
	v_add_co_ci_u32_e64 v3, null, v3, v9, s1
	v_cmp_gt_i32_e64 s1, v1, v19
	s_delay_alu instid0(VALU_DEP_1)
	v_add_co_ci_u32_e64 v3, null, v3, v12, s1
	s_cbranch_scc1 .LBB77_83
.LBB77_84:                              ;   in Loop: Header=BB77_80 Depth=1
	s_and_not1_b32 vcc_lo, exec_lo, s8
	s_cbranch_vccnz .LBB77_87
; %bb.85:                               ;   in Loop: Header=BB77_80 Depth=1
	s_lshl_b32 s1, s12, 2
	s_mov_b32 s12, s10
	s_add_co_i32 s1, s1, 0
.LBB77_86:                              ;   Parent Loop BB77_80 Depth=1
                                        ; =>  This Inner Loop Header: Depth=2
	s_delay_alu instid0(SALU_CYCLE_1)
	v_mov_b32_e32 v4, s1
	s_add_co_i32 s12, s12, -8
	s_add_co_i32 s1, s1, 8
	s_cmp_lg_u32 s12, 0
	ds_load_2addr_b32 v[4:5], v4 offset1:1
	s_wait_dscnt 0x0
	v_cmp_gt_i32_e32 vcc_lo, v1, v5
	v_add_co_ci_u32_e64 v3, null, 0, v3, vcc_lo
	v_cmp_gt_i32_e32 vcc_lo, v1, v4
	v_add_co_ci_u32_e64 v2, null, 0, v2, vcc_lo
	s_cbranch_scc1 .LBB77_86
.LBB77_87:                              ;   in Loop: Header=BB77_80 Depth=1
	s_delay_alu instid0(VALU_DEP_1)
	v_add_nc_u32_e32 v2, v2, v3
	s_mov_b32 s1, s5
	s_mov_b32 s12, s9
.LBB77_88:                              ;   in Loop: Header=BB77_80 Depth=1
	s_delay_alu instid0(SALU_CYCLE_1)
	s_and_b32 vcc_lo, exec_lo, s12
	s_cbranch_vccz .LBB77_79
; %bb.89:                               ;   in Loop: Header=BB77_80 Depth=1
	s_lshl_b32 s12, s1, 2
	s_delay_alu instid0(SALU_CYCLE_1)
	s_add_co_i32 s12, s12, 0
.LBB77_90:                              ;   Parent Loop BB77_80 Depth=1
                                        ; =>  This Inner Loop Header: Depth=2
	s_delay_alu instid0(SALU_CYCLE_1)
	v_mov_b32_e32 v3, s12
	s_add_co_i32 s1, s1, 1
	s_add_co_i32 s12, s12, 4
	s_cmp_ge_i32 s1, s4
	ds_load_b32 v3, v3
	s_wait_dscnt 0x0
	v_cmp_gt_i32_e32 vcc_lo, v1, v3
	v_add_co_ci_u32_e64 v2, null, 0, v2, vcc_lo
	s_cbranch_scc0 .LBB77_90
	s_branch .LBB77_79
.LBB77_91:
	s_endpgm
	.section	.rodata,"a",@progbits
	.p2align	6, 0x0
	.amdhsa_kernel _ZN9rocsparseL41csrgemm_numeric_fill_block_per_row_kernelILj1024ELj64ELj32768ELj137ELj64Eii21rocsparse_complex_numIdEEEvT5_PKS3_S5_NS_24const_host_device_scalarIT6_EEPKT4_S5_PKS7_SB_S5_SD_S8_SB_S5_SD_SB_S5_PS7_21rocsparse_index_base_SF_SF_SF_bbb
		.amdhsa_group_segment_fixed_size 0
		.amdhsa_private_segment_fixed_size 40
		.amdhsa_kernarg_size 172
		.amdhsa_user_sgpr_count 2
		.amdhsa_user_sgpr_dispatch_ptr 0
		.amdhsa_user_sgpr_queue_ptr 0
		.amdhsa_user_sgpr_kernarg_segment_ptr 1
		.amdhsa_user_sgpr_dispatch_id 0
		.amdhsa_user_sgpr_kernarg_preload_length 0
		.amdhsa_user_sgpr_kernarg_preload_offset 0
		.amdhsa_user_sgpr_private_segment_size 0
		.amdhsa_wavefront_size32 1
		.amdhsa_uses_dynamic_stack 0
		.amdhsa_enable_private_segment 1
		.amdhsa_system_sgpr_workgroup_id_x 1
		.amdhsa_system_sgpr_workgroup_id_y 0
		.amdhsa_system_sgpr_workgroup_id_z 0
		.amdhsa_system_sgpr_workgroup_info 0
		.amdhsa_system_vgpr_workitem_id 0
		.amdhsa_next_free_vgpr 30
		.amdhsa_next_free_sgpr 42
		.amdhsa_named_barrier_count 0
		.amdhsa_reserve_vcc 1
		.amdhsa_float_round_mode_32 0
		.amdhsa_float_round_mode_16_64 0
		.amdhsa_float_denorm_mode_32 3
		.amdhsa_float_denorm_mode_16_64 3
		.amdhsa_fp16_overflow 0
		.amdhsa_memory_ordered 1
		.amdhsa_forward_progress 1
		.amdhsa_inst_pref_size 32
		.amdhsa_round_robin_scheduling 0
		.amdhsa_exception_fp_ieee_invalid_op 0
		.amdhsa_exception_fp_denorm_src 0
		.amdhsa_exception_fp_ieee_div_zero 0
		.amdhsa_exception_fp_ieee_overflow 0
		.amdhsa_exception_fp_ieee_underflow 0
		.amdhsa_exception_fp_ieee_inexact 0
		.amdhsa_exception_int_div_zero 0
	.end_amdhsa_kernel
	.section	.text._ZN9rocsparseL41csrgemm_numeric_fill_block_per_row_kernelILj1024ELj64ELj32768ELj137ELj64Eii21rocsparse_complex_numIdEEEvT5_PKS3_S5_NS_24const_host_device_scalarIT6_EEPKT4_S5_PKS7_SB_S5_SD_S8_SB_S5_SD_SB_S5_PS7_21rocsparse_index_base_SF_SF_SF_bbb,"axG",@progbits,_ZN9rocsparseL41csrgemm_numeric_fill_block_per_row_kernelILj1024ELj64ELj32768ELj137ELj64Eii21rocsparse_complex_numIdEEEvT5_PKS3_S5_NS_24const_host_device_scalarIT6_EEPKT4_S5_PKS7_SB_S5_SD_S8_SB_S5_SD_SB_S5_PS7_21rocsparse_index_base_SF_SF_SF_bbb,comdat
.Lfunc_end77:
	.size	_ZN9rocsparseL41csrgemm_numeric_fill_block_per_row_kernelILj1024ELj64ELj32768ELj137ELj64Eii21rocsparse_complex_numIdEEEvT5_PKS3_S5_NS_24const_host_device_scalarIT6_EEPKT4_S5_PKS7_SB_S5_SD_S8_SB_S5_SD_SB_S5_PS7_21rocsparse_index_base_SF_SF_SF_bbb, .Lfunc_end77-_ZN9rocsparseL41csrgemm_numeric_fill_block_per_row_kernelILj1024ELj64ELj32768ELj137ELj64Eii21rocsparse_complex_numIdEEEvT5_PKS3_S5_NS_24const_host_device_scalarIT6_EEPKT4_S5_PKS7_SB_S5_SD_S8_SB_S5_SD_SB_S5_PS7_21rocsparse_index_base_SF_SF_SF_bbb
                                        ; -- End function
	.set _ZN9rocsparseL41csrgemm_numeric_fill_block_per_row_kernelILj1024ELj64ELj32768ELj137ELj64Eii21rocsparse_complex_numIdEEEvT5_PKS3_S5_NS_24const_host_device_scalarIT6_EEPKT4_S5_PKS7_SB_S5_SD_S8_SB_S5_SD_SB_S5_PS7_21rocsparse_index_base_SF_SF_SF_bbb.num_vgpr, 30
	.set _ZN9rocsparseL41csrgemm_numeric_fill_block_per_row_kernelILj1024ELj64ELj32768ELj137ELj64Eii21rocsparse_complex_numIdEEEvT5_PKS3_S5_NS_24const_host_device_scalarIT6_EEPKT4_S5_PKS7_SB_S5_SD_S8_SB_S5_SD_SB_S5_PS7_21rocsparse_index_base_SF_SF_SF_bbb.num_agpr, 0
	.set _ZN9rocsparseL41csrgemm_numeric_fill_block_per_row_kernelILj1024ELj64ELj32768ELj137ELj64Eii21rocsparse_complex_numIdEEEvT5_PKS3_S5_NS_24const_host_device_scalarIT6_EEPKT4_S5_PKS7_SB_S5_SD_S8_SB_S5_SD_SB_S5_PS7_21rocsparse_index_base_SF_SF_SF_bbb.numbered_sgpr, 42
	.set _ZN9rocsparseL41csrgemm_numeric_fill_block_per_row_kernelILj1024ELj64ELj32768ELj137ELj64Eii21rocsparse_complex_numIdEEEvT5_PKS3_S5_NS_24const_host_device_scalarIT6_EEPKT4_S5_PKS7_SB_S5_SD_S8_SB_S5_SD_SB_S5_PS7_21rocsparse_index_base_SF_SF_SF_bbb.num_named_barrier, 0
	.set _ZN9rocsparseL41csrgemm_numeric_fill_block_per_row_kernelILj1024ELj64ELj32768ELj137ELj64Eii21rocsparse_complex_numIdEEEvT5_PKS3_S5_NS_24const_host_device_scalarIT6_EEPKT4_S5_PKS7_SB_S5_SD_S8_SB_S5_SD_SB_S5_PS7_21rocsparse_index_base_SF_SF_SF_bbb.private_seg_size, 40
	.set _ZN9rocsparseL41csrgemm_numeric_fill_block_per_row_kernelILj1024ELj64ELj32768ELj137ELj64Eii21rocsparse_complex_numIdEEEvT5_PKS3_S5_NS_24const_host_device_scalarIT6_EEPKT4_S5_PKS7_SB_S5_SD_S8_SB_S5_SD_SB_S5_PS7_21rocsparse_index_base_SF_SF_SF_bbb.uses_vcc, 1
	.set _ZN9rocsparseL41csrgemm_numeric_fill_block_per_row_kernelILj1024ELj64ELj32768ELj137ELj64Eii21rocsparse_complex_numIdEEEvT5_PKS3_S5_NS_24const_host_device_scalarIT6_EEPKT4_S5_PKS7_SB_S5_SD_S8_SB_S5_SD_SB_S5_PS7_21rocsparse_index_base_SF_SF_SF_bbb.uses_flat_scratch, 1
	.set _ZN9rocsparseL41csrgemm_numeric_fill_block_per_row_kernelILj1024ELj64ELj32768ELj137ELj64Eii21rocsparse_complex_numIdEEEvT5_PKS3_S5_NS_24const_host_device_scalarIT6_EEPKT4_S5_PKS7_SB_S5_SD_S8_SB_S5_SD_SB_S5_PS7_21rocsparse_index_base_SF_SF_SF_bbb.has_dyn_sized_stack, 0
	.set _ZN9rocsparseL41csrgemm_numeric_fill_block_per_row_kernelILj1024ELj64ELj32768ELj137ELj64Eii21rocsparse_complex_numIdEEEvT5_PKS3_S5_NS_24const_host_device_scalarIT6_EEPKT4_S5_PKS7_SB_S5_SD_S8_SB_S5_SD_SB_S5_PS7_21rocsparse_index_base_SF_SF_SF_bbb.has_recursion, 0
	.set _ZN9rocsparseL41csrgemm_numeric_fill_block_per_row_kernelILj1024ELj64ELj32768ELj137ELj64Eii21rocsparse_complex_numIdEEEvT5_PKS3_S5_NS_24const_host_device_scalarIT6_EEPKT4_S5_PKS7_SB_S5_SD_S8_SB_S5_SD_SB_S5_PS7_21rocsparse_index_base_SF_SF_SF_bbb.has_indirect_call, 0
	.section	.AMDGPU.csdata,"",@progbits
; Kernel info:
; codeLenInByte = 3988
; TotalNumSgprs: 44
; NumVgprs: 30
; ScratchSize: 40
; MemoryBound: 0
; FloatMode: 240
; IeeeMode: 1
; LDSByteSize: 0 bytes/workgroup (compile time only)
; SGPRBlocks: 0
; VGPRBlocks: 1
; NumSGPRsForWavesPerEU: 44
; NumVGPRsForWavesPerEU: 30
; NamedBarCnt: 0
; Occupancy: 16
; WaveLimiterHint : 1
; COMPUTE_PGM_RSRC2:SCRATCH_EN: 1
; COMPUTE_PGM_RSRC2:USER_SGPR: 2
; COMPUTE_PGM_RSRC2:TRAP_HANDLER: 0
; COMPUTE_PGM_RSRC2:TGID_X_EN: 1
; COMPUTE_PGM_RSRC2:TGID_Y_EN: 0
; COMPUTE_PGM_RSRC2:TGID_Z_EN: 0
; COMPUTE_PGM_RSRC2:TIDIG_COMP_CNT: 0
	.section	.text._ZN9rocsparseL51csrgemm_numeric_fill_block_per_row_multipass_kernelILj512ELj16ELj2048ELj32Eii21rocsparse_complex_numIdEEEvT4_PKS3_S5_NS_24const_host_device_scalarIT5_EEPKT3_S5_PKS7_SB_S5_SD_S8_SB_S5_SD_SB_S5_PS7_PS9_21rocsparse_index_base_SG_SG_SG_bbb,"axG",@progbits,_ZN9rocsparseL51csrgemm_numeric_fill_block_per_row_multipass_kernelILj512ELj16ELj2048ELj32Eii21rocsparse_complex_numIdEEEvT4_PKS3_S5_NS_24const_host_device_scalarIT5_EEPKT3_S5_PKS7_SB_S5_SD_S8_SB_S5_SD_SB_S5_PS7_PS9_21rocsparse_index_base_SG_SG_SG_bbb,comdat
	.globl	_ZN9rocsparseL51csrgemm_numeric_fill_block_per_row_multipass_kernelILj512ELj16ELj2048ELj32Eii21rocsparse_complex_numIdEEEvT4_PKS3_S5_NS_24const_host_device_scalarIT5_EEPKT3_S5_PKS7_SB_S5_SD_S8_SB_S5_SD_SB_S5_PS7_PS9_21rocsparse_index_base_SG_SG_SG_bbb ; -- Begin function _ZN9rocsparseL51csrgemm_numeric_fill_block_per_row_multipass_kernelILj512ELj16ELj2048ELj32Eii21rocsparse_complex_numIdEEEvT4_PKS3_S5_NS_24const_host_device_scalarIT5_EEPKT3_S5_PKS7_SB_S5_SD_S8_SB_S5_SD_SB_S5_PS7_PS9_21rocsparse_index_base_SG_SG_SG_bbb
	.p2align	8
	.type	_ZN9rocsparseL51csrgemm_numeric_fill_block_per_row_multipass_kernelILj512ELj16ELj2048ELj32Eii21rocsparse_complex_numIdEEEvT4_PKS3_S5_NS_24const_host_device_scalarIT5_EEPKT3_S5_PKS7_SB_S5_SD_S8_SB_S5_SD_SB_S5_PS7_PS9_21rocsparse_index_base_SG_SG_SG_bbb,@function
_ZN9rocsparseL51csrgemm_numeric_fill_block_per_row_multipass_kernelILj512ELj16ELj2048ELj32Eii21rocsparse_complex_numIdEEEvT4_PKS3_S5_NS_24const_host_device_scalarIT5_EEPKT3_S5_PKS7_SB_S5_SD_S8_SB_S5_SD_SB_S5_PS7_PS9_21rocsparse_index_base_SG_SG_SG_bbb: ; @_ZN9rocsparseL51csrgemm_numeric_fill_block_per_row_multipass_kernelILj512ELj16ELj2048ELj32Eii21rocsparse_complex_numIdEEEvT4_PKS3_S5_NS_24const_host_device_scalarIT5_EEPKT3_S5_PKS7_SB_S5_SD_S8_SB_S5_SD_SB_S5_PS7_PS9_21rocsparse_index_base_SG_SG_SG_bbb
; %bb.0:
	s_clause 0x3
	s_load_b32 s5, s[2:3], 0xb0
	s_load_b256 s[8:15], s[2:3], 0x8
	s_load_b128 s[16:19], s[2:3], 0x58
	s_load_b128 s[28:31], s[2:3], 0xa0
	v_mov_b64_e32 v[10:11], 0
	v_mov_b64_e32 v[8:9], 0
	;; [unrolled: 1-line block ×3, first 2 shown]
	v_mbcnt_lo_u32_b32 v1, -1, 0
	s_wait_kmcnt 0x0
	s_bitcmp1_b32 s5, 0
	v_mov_b64_e32 v[2:3], s[12:13]
	s_cselect_b32 s50, -1, 0
	s_bitcmp1_b32 s5, 16
	v_mov_b64_e32 v[4:5], s[16:17]
	s_cselect_b32 s4, -1, 0
	s_clause 0x1
	scratch_store_b64 off, v[2:3], off
	scratch_store_b64 off, v[4:5], off offset:8
	s_xor_b32 s6, s4, -1
	s_bitcmp0_b32 s5, 0
	s_cbranch_scc1 .LBB78_3
; %bb.1:
	s_wait_xcnt 0x1
	v_dual_mov_b32 v2, 0 :: v_dual_lshlrev_b32 v3, 20, v1
	v_mov_b64_e32 v[12:13], s[14:15]
	s_and_not1_b32 vcc_lo, exec_lo, s6
	s_delay_alu instid0(VALU_DEP_2) | instskip(NEXT) | instid1(VALU_DEP_1)
	v_add_nc_u64_e32 v[2:3], src_flat_scratch_base_lo, v[2:3]
	v_cndmask_b32_e64 v3, s13, v3, s4
	s_delay_alu instid0(VALU_DEP_2)
	v_cndmask_b32_e64 v2, s12, v2, s4
	flat_load_b64 v[8:9], v[2:3]
	s_cbranch_vccnz .LBB78_3
; %bb.2:
	s_wait_xcnt 0x0
	v_mov_b32_e32 v2, 0
	flat_load_b64 v[12:13], v2, s[12:13] offset:8
.LBB78_3:
	v_mov_b64_e32 v[14:15], 0
	s_bitcmp1_b32 s5, 8
	s_cselect_b32 s33, -1, 0
	s_bfe_u32 s5, s5, 0x10008
	s_delay_alu instid0(SALU_CYCLE_1)
	s_cmp_eq_u32 s5, 0
	s_cbranch_scc1 .LBB78_6
; %bb.4:
	s_wait_xcnt 0x0
	v_dual_mov_b32 v2, 8 :: v_dual_lshlrev_b32 v3, 20, v1
	v_mov_b64_e32 v[10:11], s[18:19]
	s_and_not1_b32 vcc_lo, exec_lo, s6
	s_delay_alu instid0(VALU_DEP_2) | instskip(NEXT) | instid1(VALU_DEP_1)
	v_add_nc_u64_e32 v[2:3], src_flat_scratch_base_lo, v[2:3]
	v_cndmask_b32_e64 v3, s17, v3, s4
	s_delay_alu instid0(VALU_DEP_2)
	v_cndmask_b32_e64 v2, s16, v2, s4
	flat_load_b64 v[14:15], v[2:3]
	s_cbranch_vccnz .LBB78_6
; %bb.5:
	s_wait_xcnt 0x0
	v_mov_b32_e32 v2, 0
	flat_load_b64 v[10:11], v2, s[16:17] offset:8
.LBB78_6:
	s_load_b32 s4, s[8:9], 0x0
	s_bfe_u32 s5, ttmp6, 0x4000c
	s_and_b32 s6, ttmp6, 15
	s_add_co_i32 s5, s5, 1
	s_getreg_b32 s7, hwreg(HW_REG_IB_STS2, 6, 4)
	s_mul_i32 s5, ttmp9, s5
	s_mov_b32 s48, 0
	s_add_co_i32 s6, s6, s5
	s_cmp_eq_u32 s7, 0
	s_wait_xcnt 0x0
	s_mov_b32 s8, 0
	s_cselect_b32 s5, ttmp9, s6
	s_and_not1_b32 vcc_lo, exec_lo, s50
	s_wait_kmcnt 0x0
	s_add_co_i32 s5, s4, s5
	s_load_b64 s[6:7], s[2:3], 0x28
	s_load_b32 s4, s[10:11], s5 offset:0x0 scale_offset
	s_cbranch_vccz .LBB78_9
; %bb.7:
	s_and_not1_b32 vcc_lo, exec_lo, s50
	s_cbranch_vccz .LBB78_10
.LBB78_8:
	s_load_b32 s49, s[2:3], 0x0
	s_wait_kmcnt 0x0
	s_cmp_lt_i32 s49, 1
	s_cbranch_scc0 .LBB78_11
	s_branch .LBB78_64
.LBB78_9:
	s_wait_kmcnt 0x0
	s_ashr_i32 s5, s4, 31
	s_delay_alu instid0(SALU_CYCLE_1) | instskip(NEXT) | instid1(SALU_CYCLE_1)
	s_lshl_b64 s[8:9], s[4:5], 2
	s_add_nc_u64 s[8:9], s[6:7], s[8:9]
	s_load_b32 s5, s[8:9], 0x0
	s_wait_kmcnt 0x0
	s_sub_co_i32 s8, s5, s28
	s_and_not1_b32 vcc_lo, exec_lo, s50
	s_cbranch_vccnz .LBB78_8
.LBB78_10:
	s_wait_kmcnt 0x0
	s_ashr_i32 s5, s4, 31
	s_delay_alu instid0(SALU_CYCLE_1) | instskip(NEXT) | instid1(SALU_CYCLE_1)
	s_lshl_b64 s[10:11], s[4:5], 2
	s_add_nc_u64 s[6:7], s[6:7], s[10:11]
	s_load_b32 s5, s[6:7], 0x4
	s_wait_kmcnt 0x0
	s_sub_co_i32 s48, s5, s28
	s_load_b32 s49, s[2:3], 0x0
	s_wait_kmcnt 0x0
	s_cmp_lt_i32 s49, 1
	s_cbranch_scc1 .LBB78_64
.LBB78_11:
	s_load_b256 s[20:27], s[2:3], 0x68
	s_load_b64 s[6:7], s[0:1], 0x4
	s_clause 0x2
	s_load_b128 s[44:47], s[2:3], 0x90
	s_load_b256 s[36:43], s[2:3], 0x30
	s_load_b64 s[34:35], s[2:3], 0x50
	v_bfe_u32 v2, v0, 4, 6
	v_xor_b32_e32 v6, 8, v1
	s_ashr_i32 s5, s4, 31
	v_and_b32_e32 v3, 0x3ff, v0
	s_lshl_b64 s[18:19], s[4:5], 2
	v_add_nc_u32_e32 v24, s8, v2
	v_cmp_gt_i32_e32 vcc_lo, 32, v6
	v_xor_b32_e32 v7, 4, v1
	v_dual_lshrrev_b32 v20, 3, v0 :: v_dual_bitop2_b32 v17, 15, v0 bitop3:0x40
	v_bfe_u32 v4, v0, 10, 10
	v_bfe_u32 v5, v0, 20, 10
	v_cndmask_b32_e32 v2, v1, v6, vcc_lo
	v_cmp_gt_i32_e32 vcc_lo, 32, v7
	v_xor_b32_e32 v16, 2, v1
	s_wait_kmcnt 0x0
	s_add_nc_u64 s[2:3], s[26:27], s[18:19]
	s_lshr_b32 s1, s6, 16
	s_load_b32 s2, s[2:3], 0x0
	s_wait_xcnt 0x0
	s_mul_i32 s3, s1, s7
	v_cndmask_b32_e32 v6, v1, v7, vcc_lo
	v_mul_lo_u32 v0, s3, v3
	v_mul_u32_u24_e32 v4, s7, v4
	v_cmp_gt_i32_e32 vcc_lo, 32, v16
	v_xor_b32_e32 v18, 1, v1
	v_cmp_eq_u32_e64 s0, 0, v3
	v_cmp_eq_u32_e64 s1, 15, v17
	v_subrev_nc_u32_e32 v25, s31, v3
	v_cndmask_b32_e32 v7, v1, v16, vcc_lo
	v_cmp_gt_i32_e32 vcc_lo, 32, v18
	v_dual_lshlrev_b32 v26, 2, v2 :: v_dual_bitop2_b32 v19, 31, v1 bitop3:0x14
	v_add3_u32 v0, v0, v4, v5
	s_delay_alu instid0(VALU_DEP_4) | instskip(SKIP_2) | instid1(VALU_DEP_4)
	v_dual_cndmask_b32 v1, v1, v18 :: v_dual_lshlrev_b32 v28, 2, v7
	v_cmp_gt_i32_e32 vcc_lo, s48, v24
	v_lshlrev_b32_e32 v27, 2, v6
	v_lshl_add_u32 v29, v0, 4, 0x8808
	v_dual_mov_b32 v0, 0 :: v_dual_bitop2_b32 v31, 60, v20 bitop3:0x40
	s_wait_kmcnt 0x0
	s_sub_co_i32 s26, s2, s30
	v_lshlrev_b32_e32 v30, 2, v1
	v_lshrrev_b32_e64 v16, v19, -1
	v_cmp_eq_u32_e64 s2, 0x1ff, v3
	v_cmp_gt_u32_e64 s3, 32, v3
	v_cmp_gt_u32_e64 s4, 64, v3
	;; [unrolled: 1-line block ×15, first 2 shown]
	v_or_b32_e32 v32, 0xfffffe00, v3
	v_dual_mov_b32 v36, 0x800 :: v_dual_lshlrev_b32 v33, 4, v3
	v_dual_mov_b32 v34, s26 :: v_dual_mov_b32 v1, v0
	v_dual_mov_b32 v2, v0 :: v_dual_mov_b32 v3, v0
	;; [unrolled: 1-line block ×3, first 2 shown]
	s_add_nc_u64 s[26:27], s[20:21], s[18:19]
	s_and_b32 s21, s50, vcc_lo
	s_branch .LBB78_13
.LBB78_12:                              ;   in Loop: Header=BB78_13 Depth=1
	s_or_b32 exec_lo, exec_lo, s18
	ds_load_b32 v37, v0 offset:34816
	s_wait_dscnt 0x0
	s_barrier_signal -1
	s_barrier_wait -1
	v_cmp_le_i32_e32 vcc_lo, s49, v37
	v_add_nc_u32_e32 v36, 0x800, v37
	s_cbranch_vccnz .LBB78_64
.LBB78_13:                              ; =>This Loop Header: Depth=1
                                        ;     Child Loop BB78_14 Depth 2
                                        ;     Child Loop BB78_20 Depth 2
                                        ;       Child Loop BB78_26 Depth 3
                                        ;     Child Loop BB78_43 Depth 2
                                        ;     Child Loop BB78_55 Depth 2
	;; [unrolled: 1-line block ×3, first 2 shown]
	v_dual_mov_b32 v4, v33 :: v_dual_mov_b32 v5, v32
	s_mov_b32 s18, 0
.LBB78_14:                              ;   Parent Loop BB78_13 Depth=1
                                        ; =>  This Inner Loop Header: Depth=2
	ds_store_b8 v5, v0 offset:33280
	v_add_nc_u32_e32 v5, 0x200, v5
	ds_store_b128 v4, v[0:3]
	v_add_nc_u32_e32 v4, 0x2000, v4
	v_cmp_lt_u32_e32 vcc_lo, 0x5ff, v5
	s_or_b32 s18, vcc_lo, s18
	s_delay_alu instid0(SALU_CYCLE_1)
	s_and_not1_b32 exec_lo, exec_lo, s18
	s_cbranch_execnz .LBB78_14
; %bb.15:                               ;   in Loop: Header=BB78_13 Depth=1
	s_or_b32 exec_lo, exec_lo, s18
	s_and_saveexec_b32 s18, s0
; %bb.16:                               ;   in Loop: Header=BB78_13 Depth=1
	v_mov_b32_e32 v4, s49
	ds_store_b32 v0, v4 offset:34816
; %bb.17:                               ;   in Loop: Header=BB78_13 Depth=1
	s_or_b32 exec_lo, exec_lo, s18
	v_mov_b32_e32 v38, s49
	s_wait_storecnt 0x0
	s_wait_loadcnt_dscnt 0x0
	s_barrier_signal -1
	s_barrier_wait -1
	s_and_saveexec_b32 s30, s21
	s_cbranch_execz .LBB78_39
; %bb.18:                               ;   in Loop: Header=BB78_13 Depth=1
	v_cmp_ne_u32_e64 s18, 0, v37
	v_dual_mov_b32 v38, s49 :: v_dual_mov_b32 v18, v24
	s_mov_b32 s50, 0
	s_branch .LBB78_20
.LBB78_19:                              ;   in Loop: Header=BB78_20 Depth=2
	s_wait_xcnt 0x0
	s_or_b32 exec_lo, exec_lo, s19
	v_add_nc_u32_e32 v18, 32, v18
	s_delay_alu instid0(VALU_DEP_1) | instskip(SKIP_1) | instid1(SALU_CYCLE_1)
	v_cmp_le_i32_e32 vcc_lo, s48, v18
	s_or_b32 s50, vcc_lo, s50
	s_and_not1_b32 exec_lo, exec_lo, s50
	s_cbranch_execz .LBB78_38
.LBB78_20:                              ;   Parent Loop BB78_13 Depth=1
                                        ; =>  This Loop Header: Depth=2
                                        ;       Child Loop BB78_26 Depth 3
	global_load_b32 v20, v18, s[36:37] scale_offset
	s_wait_dscnt 0x0
	global_load_b128 v[4:7], v18, s[38:39] scale_offset
	v_ashrrev_i32_e32 v19, 31, v18
	s_and_b32 vcc_lo, exec_lo, s18
	s_wait_loadcnt 0x1
	v_subrev_nc_u32_e32 v22, s28, v20
	s_delay_alu instid0(VALU_DEP_2) | instskip(NEXT) | instid1(VALU_DEP_2)
	v_lshl_add_u64 v[20:21], v[18:19], 2, s[46:47]
	v_ashrrev_i32_e32 v23, 31, v22
	s_cbranch_vccz .LBB78_37
; %bb.21:                               ;   in Loop: Header=BB78_20 Depth=2
	global_load_b32 v19, v[20:21], off
	s_cbranch_execnz .LBB78_23
.LBB78_22:                              ;   in Loop: Header=BB78_20 Depth=2
	s_wait_loadcnt 0x0
	global_load_b32 v19, v22, s[40:41] scale_offset
	s_wait_loadcnt 0x0
	v_subrev_nc_u32_e32 v19, s29, v19
.LBB78_23:                              ;   in Loop: Header=BB78_20 Depth=2
	s_wait_xcnt 0x0
	v_lshl_add_u64 v[22:23], v[22:23], 2, s[40:41]
	s_wait_loadcnt 0x0
	s_delay_alu instid0(VALU_DEP_2)
	v_add_nc_u32_e32 v19, v19, v17
	s_mov_b32 s51, exec_lo
	global_load_b32 v22, v[22:23], off offset:4
	s_wait_loadcnt 0x0
	v_subrev_nc_u32_e32 v39, s29, v22
	s_wait_xcnt 0x0
	s_delay_alu instid0(VALU_DEP_1)
	v_cmpx_lt_i32_e64 v19, v39
	s_cbranch_execz .LBB78_35
; %bb.24:                               ;   in Loop: Header=BB78_20 Depth=2
	v_mul_f64_e64 v[22:23], v[6:7], -v[12:13]
	v_mul_f64_e32 v[6:7], v[8:9], v[6:7]
	s_mov_b32 s53, 0
                                        ; implicit-def: $sgpr52
                                        ; implicit-def: $sgpr54
	s_delay_alu instid0(VALU_DEP_2) | instskip(NEXT) | instid1(VALU_DEP_2)
	v_fmac_f64_e32 v[22:23], v[8:9], v[4:5]
	v_fmac_f64_e32 v[6:7], v[12:13], v[4:5]
	v_mov_b32_e32 v5, v19
	s_branch .LBB78_26
.LBB78_25:                              ;   in Loop: Header=BB78_26 Depth=3
	s_or_b32 exec_lo, exec_lo, s55
	s_delay_alu instid0(SALU_CYCLE_1) | instskip(NEXT) | instid1(SALU_CYCLE_1)
	s_and_b32 s19, exec_lo, s20
	s_or_b32 s53, s19, s53
	s_and_not1_b32 s19, s52, exec_lo
	s_and_b32 s20, s54, exec_lo
	s_delay_alu instid0(SALU_CYCLE_1)
	s_or_b32 s52, s19, s20
	s_and_not1_b32 exec_lo, exec_lo, s53
	s_cbranch_execz .LBB78_32
.LBB78_26:                              ;   Parent Loop BB78_13 Depth=1
                                        ;     Parent Loop BB78_20 Depth=2
                                        ; =>    This Inner Loop Header: Depth=3
	s_delay_alu instid0(VALU_DEP_1) | instskip(SKIP_3) | instid1(VALU_DEP_1)
	v_mov_b32_e32 v4, v5
	global_load_b32 v5, v5, s[42:43] scale_offset
	s_wait_loadcnt 0x0
	v_subrev_nc_u32_e32 v40, s29, v5
	v_cmp_lt_i32_e64 s19, v40, v37
	v_cmp_ge_i32_e64 s20, v40, v36
	v_cmp_lt_i32_e32 vcc_lo, v40, v36
	s_or_b32 s20, s19, s20
	s_mov_b32 s19, 0
	s_wait_xcnt 0x0
	s_and_saveexec_b32 s55, s20
	s_delay_alu instid0(SALU_CYCLE_1)
	s_xor_b32 s20, exec_lo, s55
; %bb.27:                               ;   in Loop: Header=BB78_26 Depth=3
	s_and_b32 s19, vcc_lo, exec_lo
; %bb.28:                               ;   in Loop: Header=BB78_26 Depth=3
	s_and_not1_saveexec_b32 s20, s20
	s_cbranch_execz .LBB78_30
; %bb.29:                               ;   in Loop: Header=BB78_26 Depth=3
	v_ashrrev_i32_e32 v5, 31, v4
	s_or_b32 s19, s19, exec_lo
	s_delay_alu instid0(VALU_DEP_1)
	v_lshl_add_u64 v[42:43], v[4:5], 4, s[34:35]
	v_sub_nc_u32_e32 v5, v40, v37
	global_load_b128 v[42:45], v[42:43], off
	v_lshlrev_b32_e32 v41, 4, v5
	ds_store_b8 v5, v35 offset:32768
	s_wait_loadcnt 0x0
	v_mul_f64_e64 v[46:47], v[44:45], -v[6:7]
	v_mul_f64_e32 v[44:45], v[22:23], v[44:45]
	s_delay_alu instid0(VALU_DEP_2) | instskip(NEXT) | instid1(VALU_DEP_2)
	v_fmac_f64_e32 v[46:47], v[22:23], v[42:43]
	v_fmac_f64_e32 v[44:45], v[6:7], v[42:43]
	ds_add_f64 v41, v[46:47]
	ds_add_f64 v41, v[44:45] offset:8
.LBB78_30:                              ;   in Loop: Header=BB78_26 Depth=3
	s_wait_xcnt 0x0
	s_or_b32 exec_lo, exec_lo, s20
	s_mov_b32 s20, -1
	s_or_b32 s54, s54, exec_lo
                                        ; implicit-def: $vgpr5
	s_and_saveexec_b32 s55, s19
	s_cbranch_execz .LBB78_25
; %bb.31:                               ;   in Loop: Header=BB78_26 Depth=3
	v_add_nc_u32_e32 v5, 16, v4
	s_and_not1_b32 s54, s54, exec_lo
	s_delay_alu instid0(VALU_DEP_1)
	v_cmp_ge_i32_e32 vcc_lo, v5, v39
	s_or_not1_b32 s20, vcc_lo, exec_lo
	s_branch .LBB78_25
.LBB78_32:                              ;   in Loop: Header=BB78_20 Depth=2
	s_or_b32 exec_lo, exec_lo, s53
	s_and_saveexec_b32 s19, s52
	s_delay_alu instid0(SALU_CYCLE_1)
	s_xor_b32 s19, exec_lo, s19
; %bb.33:                               ;   in Loop: Header=BB78_20 Depth=2
	v_min_i32_e32 v38, v40, v38
	v_mov_b32_e32 v19, v4
; %bb.34:                               ;   in Loop: Header=BB78_20 Depth=2
	s_or_b32 exec_lo, exec_lo, s19
.LBB78_35:                              ;   in Loop: Header=BB78_20 Depth=2
	s_delay_alu instid0(SALU_CYCLE_1)
	s_or_b32 exec_lo, exec_lo, s51
	ds_bpermute_b32 v4, v26, v19
	s_wait_dscnt 0x0
	v_min_i32_e32 v4, v4, v19
	ds_bpermute_b32 v5, v27, v4
	s_wait_dscnt 0x0
	v_min_i32_e32 v4, v5, v4
	;; [unrolled: 3-line block ×3, first 2 shown]
	ds_bpermute_b32 v5, v30, v4
	s_and_saveexec_b32 s19, s1
	s_cbranch_execz .LBB78_19
; %bb.36:                               ;   in Loop: Header=BB78_20 Depth=2
	s_wait_dscnt 0x0
	v_min_i32_e32 v4, v5, v4
	global_store_b32 v[20:21], v4, off
	s_branch .LBB78_19
.LBB78_37:                              ;   in Loop: Header=BB78_20 Depth=2
                                        ; implicit-def: $vgpr19
	s_branch .LBB78_22
.LBB78_38:                              ;   in Loop: Header=BB78_13 Depth=1
	s_or_b32 exec_lo, exec_lo, s50
.LBB78_39:                              ;   in Loop: Header=BB78_13 Depth=1
	s_delay_alu instid0(SALU_CYCLE_1) | instskip(NEXT) | instid1(SALU_CYCLE_1)
	s_or_b32 exec_lo, exec_lo, s30
	s_and_not1_b32 vcc_lo, exec_lo, s33
	s_cbranch_vccnz .LBB78_53
; %bb.40:                               ;   in Loop: Header=BB78_13 Depth=1
	s_load_b64 s[18:19], s[26:27], 0x0
	s_mov_b32 s20, exec_lo
	s_wait_kmcnt 0x0
	v_add_nc_u32_e32 v4, s18, v25
	s_sub_co_i32 s30, s19, s31
	s_delay_alu instid0(VALU_DEP_1) | instid1(SALU_CYCLE_1)
	v_cmpx_gt_i32_e64 s30, v4
	s_cbranch_execz .LBB78_52
; %bb.41:                               ;   in Loop: Header=BB78_13 Depth=1
	s_mov_b32 s50, 0
                                        ; implicit-def: $sgpr51
                                        ; implicit-def: $sgpr52
	s_branch .LBB78_43
.LBB78_42:                              ;   in Loop: Header=BB78_43 Depth=2
	s_or_b32 exec_lo, exec_lo, s53
	s_delay_alu instid0(SALU_CYCLE_1) | instskip(NEXT) | instid1(SALU_CYCLE_1)
	s_and_b32 s18, exec_lo, s19
	s_or_b32 s50, s18, s50
	s_and_not1_b32 s18, s51, exec_lo
	s_and_b32 s19, s52, exec_lo
	s_delay_alu instid0(SALU_CYCLE_1)
	s_or_b32 s51, s18, s19
	s_and_not1_b32 exec_lo, exec_lo, s50
	s_cbranch_execz .LBB78_49
.LBB78_43:                              ;   Parent Loop BB78_13 Depth=1
                                        ; =>  This Inner Loop Header: Depth=2
	s_wait_dscnt 0x0
	global_load_b32 v5, v4, s[22:23] scale_offset
	s_wait_loadcnt 0x0
	v_subrev_nc_u32_e32 v6, s31, v5
	s_delay_alu instid0(VALU_DEP_1)
	v_cmp_lt_i32_e64 s18, v6, v37
	v_cmp_ge_i32_e64 s19, v6, v36
	v_cmp_lt_i32_e32 vcc_lo, v6, v36
	s_or_b32 s19, s18, s19
	s_mov_b32 s18, 0
	s_wait_xcnt 0x0
	s_and_saveexec_b32 s53, s19
	s_delay_alu instid0(SALU_CYCLE_1)
	s_xor_b32 s19, exec_lo, s53
; %bb.44:                               ;   in Loop: Header=BB78_43 Depth=2
	s_and_b32 s18, vcc_lo, exec_lo
; %bb.45:                               ;   in Loop: Header=BB78_43 Depth=2
	s_or_saveexec_b32 s19, s19
	v_ashrrev_i32_e32 v5, 31, v4
	s_xor_b32 exec_lo, exec_lo, s19
	s_cbranch_execz .LBB78_47
; %bb.46:                               ;   in Loop: Header=BB78_43 Depth=2
	s_delay_alu instid0(VALU_DEP_1)
	v_lshl_add_u64 v[18:19], v[4:5], 4, s[24:25]
	s_or_b32 s18, s18, exec_lo
	v_sub_nc_u32_e32 v5, v6, v37
	global_load_b128 v[18:21], v[18:19], off
	v_lshlrev_b32_e32 v7, 4, v5
	ds_store_b8 v5, v35 offset:32768
	s_wait_loadcnt 0x0
	v_mul_f64_e64 v[22:23], v[20:21], -v[10:11]
	v_mul_f64_e32 v[20:21], v[14:15], v[20:21]
	s_delay_alu instid0(VALU_DEP_2) | instskip(NEXT) | instid1(VALU_DEP_2)
	v_fmac_f64_e32 v[22:23], v[14:15], v[18:19]
	v_fmac_f64_e32 v[20:21], v[10:11], v[18:19]
	ds_add_f64 v7, v[22:23]
	ds_add_f64 v7, v[20:21] offset:8
.LBB78_47:                              ;   in Loop: Header=BB78_43 Depth=2
	s_wait_xcnt 0x0
	s_or_b32 exec_lo, exec_lo, s19
	s_mov_b32 s19, -1
	s_or_b32 s52, s52, exec_lo
	s_and_saveexec_b32 s53, s18
	s_cbranch_execz .LBB78_42
; %bb.48:                               ;   in Loop: Header=BB78_43 Depth=2
	v_add_nc_u32_e32 v4, 0x200, v4
	s_and_not1_b32 s52, s52, exec_lo
	s_delay_alu instid0(VALU_DEP_1)
	v_cmp_le_i32_e32 vcc_lo, s30, v4
	s_or_not1_b32 s19, vcc_lo, exec_lo
	s_branch .LBB78_42
.LBB78_49:                              ;   in Loop: Header=BB78_13 Depth=1
	s_or_b32 exec_lo, exec_lo, s50
	s_and_saveexec_b32 s18, s51
	s_delay_alu instid0(SALU_CYCLE_1)
	s_xor_b32 s18, exec_lo, s18
; %bb.50:                               ;   in Loop: Header=BB78_13 Depth=1
	v_min_i32_e32 v38, v6, v38
; %bb.51:                               ;   in Loop: Header=BB78_13 Depth=1
	s_or_b32 exec_lo, exec_lo, s18
.LBB78_52:                              ;   in Loop: Header=BB78_13 Depth=1
	s_delay_alu instid0(SALU_CYCLE_1)
	s_or_b32 exec_lo, exec_lo, s20
.LBB78_53:                              ;   in Loop: Header=BB78_13 Depth=1
	ds_bpermute_b32 v4, v26, v38
	s_wait_dscnt 0x0
	v_min_i32_e32 v4, v4, v38
	ds_bpermute_b32 v5, v27, v4
	s_wait_dscnt 0x0
	v_min_i32_e32 v4, v5, v4
	;; [unrolled: 3-line block ×3, first 2 shown]
	ds_bpermute_b32 v5, v30, v4
	s_and_saveexec_b32 s18, s1
	s_cbranch_execz .LBB78_58
; %bb.54:                               ;   in Loop: Header=BB78_13 Depth=1
	s_wait_dscnt 0x0
	v_min_i32_e32 v4, v5, v4
	s_mov_b32 s20, exec_lo
	s_brev_b32 s19, -2
.LBB78_55:                              ;   Parent Loop BB78_13 Depth=1
                                        ; =>  This Inner Loop Header: Depth=2
	s_ctz_i32_b32 s30, s20
	s_delay_alu instid0(VALU_DEP_1) | instid1(SALU_CYCLE_1)
	v_readlane_b32 s50, v4, s30
	s_lshl_b32 s30, 1, s30
	s_delay_alu instid0(SALU_CYCLE_1)
	s_and_not1_b32 s20, s20, s30
	s_min_i32 s19, s19, s50
	s_cmp_lg_u32 s20, 0
	s_cbranch_scc1 .LBB78_55
; %bb.56:                               ;   in Loop: Header=BB78_13 Depth=1
	v_mbcnt_lo_u32_b32 v4, exec_lo, 0
	s_mov_b32 s20, exec_lo
	s_delay_alu instid0(VALU_DEP_1)
	v_cmpx_eq_u32_e32 0, v4
	s_xor_b32 s20, exec_lo, s20
; %bb.57:                               ;   in Loop: Header=BB78_13 Depth=1
	v_mov_b32_e32 v4, s19
	ds_min_i32 v0, v4 offset:34816
.LBB78_58:                              ;   in Loop: Header=BB78_13 Depth=1
	s_or_b32 exec_lo, exec_lo, s18
	s_wait_dscnt 0x0
	v_dual_mov_b32 v4, v33 :: v_dual_mov_b32 v5, v32
	s_mov_b32 s18, 0
	s_wait_storecnt 0x0
	s_barrier_signal -1
	s_barrier_wait -1
	s_branch .LBB78_60
.LBB78_59:                              ;   in Loop: Header=BB78_60 Depth=2
	s_or_b32 exec_lo, exec_lo, s19
	s_wait_storecnt_dscnt 0x0
	s_barrier_signal -1
	s_barrier_wait -1
	ds_load_b32 v6, v0 offset:60
	v_add_nc_u32_e32 v5, 0x200, v5
	v_add_nc_u32_e32 v4, 0x2000, v4
	s_delay_alu instid0(VALU_DEP_2)
	v_cmp_lt_u32_e32 vcc_lo, 0x5ff, v5
	s_or_b32 s18, vcc_lo, s18
	s_wait_dscnt 0x0
	v_add_nc_u32_e32 v34, v6, v34
	s_and_not1_b32 exec_lo, exec_lo, s18
	s_cbranch_execz .LBB78_12
.LBB78_60:                              ;   Parent Loop BB78_13 Depth=1
                                        ; =>  This Inner Loop Header: Depth=2
	ds_load_u8 v6, v5 offset:33280
	ds_load_2addr_b64 v[18:21], v4 offset1:1
	s_wait_dscnt 0x1
	v_cmp_ne_u16_e32 vcc_lo, 0, v6
	s_wait_dscnt 0x0
	ds_store_2addr_b64 v29, v[18:19], v[20:21] offset1:1
	s_wait_dscnt 0x0
	s_barrier_signal -1
	s_barrier_wait -1
	s_bcnt1_i32_b32 s19, vcc_lo
	s_delay_alu instid0(SALU_CYCLE_1)
	v_mov_b32_e32 v7, s19
	s_mov_b32 s19, exec_lo
	ds_store_b32 v31, v7
	s_wait_dscnt 0x0
	s_barrier_signal -1
	s_barrier_wait -1
	ds_load_b128 v[18:21], v0
	ds_load_b128 v[36:39], v0 offset:16
	v_and_b32_e32 v7, vcc_lo, v16
	ds_load_b128 v[40:43], v0 offset:32
	s_wait_dscnt 0x2
	v_cndmask_b32_e64 v18, v18, 0, s3
	v_cndmask_b32_e64 v22, v19, 0, s4
	;; [unrolled: 1-line block ×4, first 2 shown]
	s_wait_dscnt 0x1
	v_cndmask_b32_e64 v36, v36, 0, s7
	v_bcnt_u32_b32 v7, v7, v18
	ds_load_b96 v[18:20], v0 offset:48
	v_add3_u32 v7, v7, v22, v23
	v_cndmask_b32_e64 v22, v37, 0, s8
	v_cndmask_b32_e64 v23, v38, 0, s9
	s_delay_alu instid0(VALU_DEP_3) | instskip(SKIP_3) | instid1(VALU_DEP_3)
	v_add3_u32 v7, v7, v21, v36
	v_cndmask_b32_e64 v21, v39, 0, s10
	s_wait_dscnt 0x1
	v_cndmask_b32_e64 v36, v40, 0, s11
	v_add3_u32 v7, v7, v22, v23
	v_cndmask_b32_e64 v22, v41, 0, s12
	v_cndmask_b32_e64 v23, v42, 0, s13
	s_delay_alu instid0(VALU_DEP_3)
	v_add3_u32 v7, v7, v21, v36
	v_cndmask_b32_e64 v21, v43, 0, s14
	s_wait_dscnt 0x0
	v_cndmask_b32_e64 v18, v18, 0, s15
	v_cndmask_b32_e64 v19, v19, 0, s16
	;; [unrolled: 1-line block ×3, first 2 shown]
	v_add3_u32 v7, v7, v22, v23
	s_delay_alu instid0(VALU_DEP_1) | instskip(SKIP_1) | instid1(VALU_DEP_2)
	v_add3_u32 v7, v7, v21, v18
	v_and_b32_e32 v18, 1, v6
	v_add3_u32 v6, v7, v19, v20
	s_delay_alu instid0(VALU_DEP_2)
	v_cmpx_eq_u32_e32 1, v18
	s_cbranch_execz .LBB78_62
; %bb.61:                               ;   in Loop: Header=BB78_60 Depth=2
	ds_load_2addr_b64 v[18:21], v29 offset1:1
	v_add_nc_u32_e32 v7, v6, v34
	s_wait_dscnt 0x0
	global_store_b128 v7, v[18:21], s[44:45] offset:-16 scale_offset
.LBB78_62:                              ;   in Loop: Header=BB78_60 Depth=2
	s_wait_xcnt 0x0
	s_or_b32 exec_lo, exec_lo, s19
	s_and_saveexec_b32 s19, s2
	s_cbranch_execz .LBB78_59
; %bb.63:                               ;   in Loop: Header=BB78_60 Depth=2
	ds_store_b32 v0, v6 offset:60
	s_branch .LBB78_59
.LBB78_64:
	s_endpgm
	.section	.rodata,"a",@progbits
	.p2align	6, 0x0
	.amdhsa_kernel _ZN9rocsparseL51csrgemm_numeric_fill_block_per_row_multipass_kernelILj512ELj16ELj2048ELj32Eii21rocsparse_complex_numIdEEEvT4_PKS3_S5_NS_24const_host_device_scalarIT5_EEPKT3_S5_PKS7_SB_S5_SD_S8_SB_S5_SD_SB_S5_PS7_PS9_21rocsparse_index_base_SG_SG_SG_bbb
		.amdhsa_group_segment_fixed_size 43016
		.amdhsa_private_segment_fixed_size 24
		.amdhsa_kernarg_size 180
		.amdhsa_user_sgpr_count 4
		.amdhsa_user_sgpr_dispatch_ptr 1
		.amdhsa_user_sgpr_queue_ptr 0
		.amdhsa_user_sgpr_kernarg_segment_ptr 1
		.amdhsa_user_sgpr_dispatch_id 0
		.amdhsa_user_sgpr_kernarg_preload_length 0
		.amdhsa_user_sgpr_kernarg_preload_offset 0
		.amdhsa_user_sgpr_private_segment_size 0
		.amdhsa_wavefront_size32 1
		.amdhsa_uses_dynamic_stack 0
		.amdhsa_enable_private_segment 1
		.amdhsa_system_sgpr_workgroup_id_x 1
		.amdhsa_system_sgpr_workgroup_id_y 0
		.amdhsa_system_sgpr_workgroup_id_z 0
		.amdhsa_system_sgpr_workgroup_info 0
		.amdhsa_system_vgpr_workitem_id 2
		.amdhsa_next_free_vgpr 48
		.amdhsa_next_free_sgpr 56
		.amdhsa_named_barrier_count 0
		.amdhsa_reserve_vcc 1
		.amdhsa_float_round_mode_32 0
		.amdhsa_float_round_mode_16_64 0
		.amdhsa_float_denorm_mode_32 3
		.amdhsa_float_denorm_mode_16_64 3
		.amdhsa_fp16_overflow 0
		.amdhsa_memory_ordered 1
		.amdhsa_forward_progress 1
		.amdhsa_inst_pref_size 23
		.amdhsa_round_robin_scheduling 0
		.amdhsa_exception_fp_ieee_invalid_op 0
		.amdhsa_exception_fp_denorm_src 0
		.amdhsa_exception_fp_ieee_div_zero 0
		.amdhsa_exception_fp_ieee_overflow 0
		.amdhsa_exception_fp_ieee_underflow 0
		.amdhsa_exception_fp_ieee_inexact 0
		.amdhsa_exception_int_div_zero 0
	.end_amdhsa_kernel
	.section	.text._ZN9rocsparseL51csrgemm_numeric_fill_block_per_row_multipass_kernelILj512ELj16ELj2048ELj32Eii21rocsparse_complex_numIdEEEvT4_PKS3_S5_NS_24const_host_device_scalarIT5_EEPKT3_S5_PKS7_SB_S5_SD_S8_SB_S5_SD_SB_S5_PS7_PS9_21rocsparse_index_base_SG_SG_SG_bbb,"axG",@progbits,_ZN9rocsparseL51csrgemm_numeric_fill_block_per_row_multipass_kernelILj512ELj16ELj2048ELj32Eii21rocsparse_complex_numIdEEEvT4_PKS3_S5_NS_24const_host_device_scalarIT5_EEPKT3_S5_PKS7_SB_S5_SD_S8_SB_S5_SD_SB_S5_PS7_PS9_21rocsparse_index_base_SG_SG_SG_bbb,comdat
.Lfunc_end78:
	.size	_ZN9rocsparseL51csrgemm_numeric_fill_block_per_row_multipass_kernelILj512ELj16ELj2048ELj32Eii21rocsparse_complex_numIdEEEvT4_PKS3_S5_NS_24const_host_device_scalarIT5_EEPKT3_S5_PKS7_SB_S5_SD_S8_SB_S5_SD_SB_S5_PS7_PS9_21rocsparse_index_base_SG_SG_SG_bbb, .Lfunc_end78-_ZN9rocsparseL51csrgemm_numeric_fill_block_per_row_multipass_kernelILj512ELj16ELj2048ELj32Eii21rocsparse_complex_numIdEEEvT4_PKS3_S5_NS_24const_host_device_scalarIT5_EEPKT3_S5_PKS7_SB_S5_SD_S8_SB_S5_SD_SB_S5_PS7_PS9_21rocsparse_index_base_SG_SG_SG_bbb
                                        ; -- End function
	.set _ZN9rocsparseL51csrgemm_numeric_fill_block_per_row_multipass_kernelILj512ELj16ELj2048ELj32Eii21rocsparse_complex_numIdEEEvT4_PKS3_S5_NS_24const_host_device_scalarIT5_EEPKT3_S5_PKS7_SB_S5_SD_S8_SB_S5_SD_SB_S5_PS7_PS9_21rocsparse_index_base_SG_SG_SG_bbb.num_vgpr, 48
	.set _ZN9rocsparseL51csrgemm_numeric_fill_block_per_row_multipass_kernelILj512ELj16ELj2048ELj32Eii21rocsparse_complex_numIdEEEvT4_PKS3_S5_NS_24const_host_device_scalarIT5_EEPKT3_S5_PKS7_SB_S5_SD_S8_SB_S5_SD_SB_S5_PS7_PS9_21rocsparse_index_base_SG_SG_SG_bbb.num_agpr, 0
	.set _ZN9rocsparseL51csrgemm_numeric_fill_block_per_row_multipass_kernelILj512ELj16ELj2048ELj32Eii21rocsparse_complex_numIdEEEvT4_PKS3_S5_NS_24const_host_device_scalarIT5_EEPKT3_S5_PKS7_SB_S5_SD_S8_SB_S5_SD_SB_S5_PS7_PS9_21rocsparse_index_base_SG_SG_SG_bbb.numbered_sgpr, 56
	.set _ZN9rocsparseL51csrgemm_numeric_fill_block_per_row_multipass_kernelILj512ELj16ELj2048ELj32Eii21rocsparse_complex_numIdEEEvT4_PKS3_S5_NS_24const_host_device_scalarIT5_EEPKT3_S5_PKS7_SB_S5_SD_S8_SB_S5_SD_SB_S5_PS7_PS9_21rocsparse_index_base_SG_SG_SG_bbb.num_named_barrier, 0
	.set _ZN9rocsparseL51csrgemm_numeric_fill_block_per_row_multipass_kernelILj512ELj16ELj2048ELj32Eii21rocsparse_complex_numIdEEEvT4_PKS3_S5_NS_24const_host_device_scalarIT5_EEPKT3_S5_PKS7_SB_S5_SD_S8_SB_S5_SD_SB_S5_PS7_PS9_21rocsparse_index_base_SG_SG_SG_bbb.private_seg_size, 24
	.set _ZN9rocsparseL51csrgemm_numeric_fill_block_per_row_multipass_kernelILj512ELj16ELj2048ELj32Eii21rocsparse_complex_numIdEEEvT4_PKS3_S5_NS_24const_host_device_scalarIT5_EEPKT3_S5_PKS7_SB_S5_SD_S8_SB_S5_SD_SB_S5_PS7_PS9_21rocsparse_index_base_SG_SG_SG_bbb.uses_vcc, 1
	.set _ZN9rocsparseL51csrgemm_numeric_fill_block_per_row_multipass_kernelILj512ELj16ELj2048ELj32Eii21rocsparse_complex_numIdEEEvT4_PKS3_S5_NS_24const_host_device_scalarIT5_EEPKT3_S5_PKS7_SB_S5_SD_S8_SB_S5_SD_SB_S5_PS7_PS9_21rocsparse_index_base_SG_SG_SG_bbb.uses_flat_scratch, 1
	.set _ZN9rocsparseL51csrgemm_numeric_fill_block_per_row_multipass_kernelILj512ELj16ELj2048ELj32Eii21rocsparse_complex_numIdEEEvT4_PKS3_S5_NS_24const_host_device_scalarIT5_EEPKT3_S5_PKS7_SB_S5_SD_S8_SB_S5_SD_SB_S5_PS7_PS9_21rocsparse_index_base_SG_SG_SG_bbb.has_dyn_sized_stack, 0
	.set _ZN9rocsparseL51csrgemm_numeric_fill_block_per_row_multipass_kernelILj512ELj16ELj2048ELj32Eii21rocsparse_complex_numIdEEEvT4_PKS3_S5_NS_24const_host_device_scalarIT5_EEPKT3_S5_PKS7_SB_S5_SD_S8_SB_S5_SD_SB_S5_PS7_PS9_21rocsparse_index_base_SG_SG_SG_bbb.has_recursion, 0
	.set _ZN9rocsparseL51csrgemm_numeric_fill_block_per_row_multipass_kernelILj512ELj16ELj2048ELj32Eii21rocsparse_complex_numIdEEEvT4_PKS3_S5_NS_24const_host_device_scalarIT5_EEPKT3_S5_PKS7_SB_S5_SD_S8_SB_S5_SD_SB_S5_PS7_PS9_21rocsparse_index_base_SG_SG_SG_bbb.has_indirect_call, 0
	.section	.AMDGPU.csdata,"",@progbits
; Kernel info:
; codeLenInByte = 2940
; TotalNumSgprs: 58
; NumVgprs: 48
; ScratchSize: 24
; MemoryBound: 0
; FloatMode: 240
; IeeeMode: 1
; LDSByteSize: 43016 bytes/workgroup (compile time only)
; SGPRBlocks: 0
; VGPRBlocks: 2
; NumSGPRsForWavesPerEU: 58
; NumVGPRsForWavesPerEU: 48
; NamedBarCnt: 0
; Occupancy: 16
; WaveLimiterHint : 1
; COMPUTE_PGM_RSRC2:SCRATCH_EN: 1
; COMPUTE_PGM_RSRC2:USER_SGPR: 4
; COMPUTE_PGM_RSRC2:TRAP_HANDLER: 0
; COMPUTE_PGM_RSRC2:TGID_X_EN: 1
; COMPUTE_PGM_RSRC2:TGID_Y_EN: 0
; COMPUTE_PGM_RSRC2:TGID_Z_EN: 0
; COMPUTE_PGM_RSRC2:TIDIG_COMP_CNT: 2
	.section	.text._ZN9rocsparseL51csrgemm_numeric_fill_block_per_row_multipass_kernelILj512ELj16ELj2048ELj64Eii21rocsparse_complex_numIdEEEvT4_PKS3_S5_NS_24const_host_device_scalarIT5_EEPKT3_S5_PKS7_SB_S5_SD_S8_SB_S5_SD_SB_S5_PS7_PS9_21rocsparse_index_base_SG_SG_SG_bbb,"axG",@progbits,_ZN9rocsparseL51csrgemm_numeric_fill_block_per_row_multipass_kernelILj512ELj16ELj2048ELj64Eii21rocsparse_complex_numIdEEEvT4_PKS3_S5_NS_24const_host_device_scalarIT5_EEPKT3_S5_PKS7_SB_S5_SD_S8_SB_S5_SD_SB_S5_PS7_PS9_21rocsparse_index_base_SG_SG_SG_bbb,comdat
	.globl	_ZN9rocsparseL51csrgemm_numeric_fill_block_per_row_multipass_kernelILj512ELj16ELj2048ELj64Eii21rocsparse_complex_numIdEEEvT4_PKS3_S5_NS_24const_host_device_scalarIT5_EEPKT3_S5_PKS7_SB_S5_SD_S8_SB_S5_SD_SB_S5_PS7_PS9_21rocsparse_index_base_SG_SG_SG_bbb ; -- Begin function _ZN9rocsparseL51csrgemm_numeric_fill_block_per_row_multipass_kernelILj512ELj16ELj2048ELj64Eii21rocsparse_complex_numIdEEEvT4_PKS3_S5_NS_24const_host_device_scalarIT5_EEPKT3_S5_PKS7_SB_S5_SD_S8_SB_S5_SD_SB_S5_PS7_PS9_21rocsparse_index_base_SG_SG_SG_bbb
	.p2align	8
	.type	_ZN9rocsparseL51csrgemm_numeric_fill_block_per_row_multipass_kernelILj512ELj16ELj2048ELj64Eii21rocsparse_complex_numIdEEEvT4_PKS3_S5_NS_24const_host_device_scalarIT5_EEPKT3_S5_PKS7_SB_S5_SD_S8_SB_S5_SD_SB_S5_PS7_PS9_21rocsparse_index_base_SG_SG_SG_bbb,@function
_ZN9rocsparseL51csrgemm_numeric_fill_block_per_row_multipass_kernelILj512ELj16ELj2048ELj64Eii21rocsparse_complex_numIdEEEvT4_PKS3_S5_NS_24const_host_device_scalarIT5_EEPKT3_S5_PKS7_SB_S5_SD_S8_SB_S5_SD_SB_S5_PS7_PS9_21rocsparse_index_base_SG_SG_SG_bbb: ; @_ZN9rocsparseL51csrgemm_numeric_fill_block_per_row_multipass_kernelILj512ELj16ELj2048ELj64Eii21rocsparse_complex_numIdEEEvT4_PKS3_S5_NS_24const_host_device_scalarIT5_EEPKT3_S5_PKS7_SB_S5_SD_S8_SB_S5_SD_SB_S5_PS7_PS9_21rocsparse_index_base_SG_SG_SG_bbb
; %bb.0:
	s_clause 0x3
	s_load_b32 s5, s[2:3], 0xb0
	s_load_b256 s[8:15], s[2:3], 0x8
	s_load_b128 s[16:19], s[2:3], 0x58
	s_load_b128 s[28:31], s[2:3], 0xa0
	v_mov_b64_e32 v[10:11], 0
	v_mov_b64_e32 v[8:9], 0
	;; [unrolled: 1-line block ×3, first 2 shown]
	v_mbcnt_lo_u32_b32 v1, -1, 0
	s_wait_kmcnt 0x0
	s_bitcmp1_b32 s5, 0
	v_mov_b64_e32 v[2:3], s[12:13]
	s_cselect_b32 s42, -1, 0
	s_bitcmp1_b32 s5, 16
	v_mov_b64_e32 v[4:5], s[16:17]
	s_cselect_b32 s4, -1, 0
	s_clause 0x1
	scratch_store_b64 off, v[2:3], off
	scratch_store_b64 off, v[4:5], off offset:8
	s_xor_b32 s6, s4, -1
	s_bitcmp0_b32 s5, 0
	s_cbranch_scc1 .LBB79_3
; %bb.1:
	s_wait_xcnt 0x1
	v_dual_mov_b32 v2, 0 :: v_dual_lshlrev_b32 v3, 20, v1
	v_mov_b64_e32 v[12:13], s[14:15]
	s_and_not1_b32 vcc_lo, exec_lo, s6
	s_delay_alu instid0(VALU_DEP_2) | instskip(NEXT) | instid1(VALU_DEP_1)
	v_add_nc_u64_e32 v[2:3], src_flat_scratch_base_lo, v[2:3]
	v_cndmask_b32_e64 v3, s13, v3, s4
	s_delay_alu instid0(VALU_DEP_2)
	v_cndmask_b32_e64 v2, s12, v2, s4
	flat_load_b64 v[8:9], v[2:3]
	s_cbranch_vccnz .LBB79_3
; %bb.2:
	s_wait_xcnt 0x0
	v_mov_b32_e32 v2, 0
	flat_load_b64 v[12:13], v2, s[12:13] offset:8
.LBB79_3:
	v_mov_b64_e32 v[14:15], 0
	s_bitcmp1_b32 s5, 8
	s_cselect_b32 s33, -1, 0
	s_bfe_u32 s5, s5, 0x10008
	s_delay_alu instid0(SALU_CYCLE_1)
	s_cmp_eq_u32 s5, 0
	s_cbranch_scc1 .LBB79_6
; %bb.4:
	s_wait_xcnt 0x0
	v_dual_mov_b32 v2, 8 :: v_dual_lshlrev_b32 v3, 20, v1
	v_mov_b64_e32 v[10:11], s[18:19]
	s_and_not1_b32 vcc_lo, exec_lo, s6
	s_delay_alu instid0(VALU_DEP_2) | instskip(NEXT) | instid1(VALU_DEP_1)
	v_add_nc_u64_e32 v[2:3], src_flat_scratch_base_lo, v[2:3]
	v_cndmask_b32_e64 v3, s17, v3, s4
	s_delay_alu instid0(VALU_DEP_2)
	v_cndmask_b32_e64 v2, s16, v2, s4
	flat_load_b64 v[14:15], v[2:3]
	s_cbranch_vccnz .LBB79_6
; %bb.5:
	s_wait_xcnt 0x0
	v_mov_b32_e32 v2, 0
	flat_load_b64 v[10:11], v2, s[16:17] offset:8
.LBB79_6:
	s_load_b32 s4, s[8:9], 0x0
	s_bfe_u32 s5, ttmp6, 0x4000c
	s_and_b32 s6, ttmp6, 15
	s_add_co_i32 s5, s5, 1
	s_getreg_b32 s7, hwreg(HW_REG_IB_STS2, 6, 4)
	s_mul_i32 s5, ttmp9, s5
	s_mov_b32 s40, 0
	s_add_co_i32 s6, s6, s5
	s_cmp_eq_u32 s7, 0
	s_wait_xcnt 0x0
	s_mov_b32 s8, 0
	s_cselect_b32 s5, ttmp9, s6
	s_and_not1_b32 vcc_lo, exec_lo, s42
	s_wait_kmcnt 0x0
	s_add_co_i32 s5, s4, s5
	s_load_b64 s[6:7], s[2:3], 0x28
	s_load_b32 s4, s[10:11], s5 offset:0x0 scale_offset
	s_cbranch_vccz .LBB79_9
; %bb.7:
	s_and_not1_b32 vcc_lo, exec_lo, s42
	s_cbranch_vccz .LBB79_10
.LBB79_8:
	s_load_b32 s41, s[2:3], 0x0
	s_wait_kmcnt 0x0
	s_cmp_lt_i32 s41, 1
	s_cbranch_scc0 .LBB79_11
	s_branch .LBB79_64
.LBB79_9:
	s_wait_kmcnt 0x0
	s_ashr_i32 s5, s4, 31
	s_delay_alu instid0(SALU_CYCLE_1) | instskip(NEXT) | instid1(SALU_CYCLE_1)
	s_lshl_b64 s[8:9], s[4:5], 2
	s_add_nc_u64 s[8:9], s[6:7], s[8:9]
	s_load_b32 s5, s[8:9], 0x0
	s_wait_kmcnt 0x0
	s_sub_co_i32 s8, s5, s28
	s_and_not1_b32 vcc_lo, exec_lo, s42
	s_cbranch_vccnz .LBB79_8
.LBB79_10:
	s_wait_kmcnt 0x0
	s_ashr_i32 s5, s4, 31
	s_delay_alu instid0(SALU_CYCLE_1) | instskip(NEXT) | instid1(SALU_CYCLE_1)
	s_lshl_b64 s[10:11], s[4:5], 2
	s_add_nc_u64 s[6:7], s[6:7], s[10:11]
	s_load_b32 s5, s[6:7], 0x4
	s_wait_kmcnt 0x0
	s_sub_co_i32 s40, s5, s28
	s_load_b32 s41, s[2:3], 0x0
	s_wait_kmcnt 0x0
	s_cmp_lt_i32 s41, 1
	s_cbranch_scc1 .LBB79_64
.LBB79_11:
	s_load_b256 s[12:19], s[2:3], 0x68
	s_load_b64 s[6:7], s[0:1], 0x4
	s_clause 0x2
	s_load_b128 s[36:39], s[2:3], 0x90
	s_load_b256 s[20:27], s[2:3], 0x30
	s_load_b64 s[34:35], s[2:3], 0x50
	v_xor_b32_e32 v16, 1, v1
	v_xor_b32_e32 v7, 2, v1
	;; [unrolled: 1-line block ×4, first 2 shown]
	s_ashr_i32 s5, s4, 31
	v_and_b32_e32 v3, 0x3ff, v0
	s_lshl_b64 s[10:11], s[4:5], 2
	v_bfe_u32 v4, v0, 10, 10
	v_cmp_gt_i32_e32 vcc_lo, 32, v5
	v_bfe_u32 v2, v0, 4, 6
	v_and_b32_e32 v17, 15, v0
	v_bfe_u32 v0, v0, 20, 10
	s_wait_xcnt 0x0
	v_cmp_eq_u32_e64 s0, 0, v3
	v_cndmask_b32_e32 v5, v1, v5, vcc_lo
	v_cmp_gt_i32_e32 vcc_lo, 32, v6
	s_wait_kmcnt 0x0
	s_add_nc_u64 s[2:3], s[18:19], s[10:11]
	s_lshr_b32 s4, s6, 16
	s_load_b32 s2, s[2:3], 0x0
	s_mul_i32 s4, s4, s7
	v_cndmask_b32_e32 v6, v1, v6, vcc_lo
	v_mul_lo_u32 v19, s4, v3
	v_mul_u32_u24_e32 v4, s7, v4
	v_cmp_gt_i32_e32 vcc_lo, 32, v7
	v_add_nc_u32_e32 v24, s8, v2
	v_lshlrev_b32_e32 v27, 2, v6
	v_cmp_eq_u32_e64 s1, 15, v17
	v_subrev_nc_u32_e32 v25, s31, v3
	v_cndmask_b32_e32 v7, v1, v7, vcc_lo
	v_cmp_gt_i32_e32 vcc_lo, 32, v16
	v_xor_b32_e32 v18, 31, v1
	s_wait_xcnt 0x0
	v_cmp_gt_u32_e64 s3, 64, v3
	v_add3_u32 v0, v19, v4, v0
	v_dual_cndmask_b32 v1, v1, v16 :: v_dual_lshlrev_b32 v28, 2, v7
	v_cmp_gt_i32_e32 vcc_lo, s40, v24
	v_lshrrev_b32_e64 v16, v18, -1
	s_delay_alu instid0(VALU_DEP_4)
	v_lshl_add_u32 v30, v0, 4, 0x8808
	v_mov_b32_e32 v0, 0
	s_wait_kmcnt 0x0
	s_sub_co_i32 s18, s2, s30
	v_dual_lshlrev_b32 v26, 2, v5 :: v_dual_bitop2_b32 v31, 28, v2 bitop3:0x40
	v_dual_lshlrev_b32 v29, 2, v1 :: v_dual_lshlrev_b32 v33, 4, v3
	v_cmp_eq_u32_e64 s2, 0x1ff, v3
	v_cmp_gt_u32_e64 s4, 0x80, v3
	v_cmp_gt_u32_e64 s5, 0xc0, v3
	;; [unrolled: 1-line block ×6, first 2 shown]
	v_or_b32_e32 v32, 0xfffffe00, v3
	v_dual_mov_b32 v36, 0x800 :: v_dual_mov_b32 v1, v0
	v_dual_mov_b32 v34, s18 :: v_dual_mov_b32 v2, v0
	v_dual_mov_b32 v3, v0 :: v_dual_mov_b32 v35, 1
	v_mov_b32_e32 v37, v0
	s_add_nc_u64 s[18:19], s[12:13], s[10:11]
	s_and_b32 s13, s42, vcc_lo
	s_branch .LBB79_13
.LBB79_12:                              ;   in Loop: Header=BB79_13 Depth=1
	s_or_b32 exec_lo, exec_lo, s10
	ds_load_b32 v37, v0 offset:34816
	s_wait_dscnt 0x0
	s_barrier_signal -1
	s_barrier_wait -1
	v_cmp_le_i32_e32 vcc_lo, s41, v37
	v_add_nc_u32_e32 v36, 0x800, v37
	s_cbranch_vccnz .LBB79_64
.LBB79_13:                              ; =>This Loop Header: Depth=1
                                        ;     Child Loop BB79_14 Depth 2
                                        ;     Child Loop BB79_20 Depth 2
                                        ;       Child Loop BB79_26 Depth 3
                                        ;     Child Loop BB79_43 Depth 2
                                        ;     Child Loop BB79_55 Depth 2
                                        ;     Child Loop BB79_60 Depth 2
	v_dual_mov_b32 v4, v33 :: v_dual_mov_b32 v5, v32
	s_mov_b32 s10, 0
.LBB79_14:                              ;   Parent Loop BB79_13 Depth=1
                                        ; =>  This Inner Loop Header: Depth=2
	ds_store_b8 v5, v0 offset:33280
	v_add_nc_u32_e32 v5, 0x200, v5
	ds_store_b128 v4, v[0:3]
	v_add_nc_u32_e32 v4, 0x2000, v4
	v_cmp_lt_u32_e32 vcc_lo, 0x5ff, v5
	s_or_b32 s10, vcc_lo, s10
	s_delay_alu instid0(SALU_CYCLE_1)
	s_and_not1_b32 exec_lo, exec_lo, s10
	s_cbranch_execnz .LBB79_14
; %bb.15:                               ;   in Loop: Header=BB79_13 Depth=1
	s_or_b32 exec_lo, exec_lo, s10
	s_and_saveexec_b32 s10, s0
; %bb.16:                               ;   in Loop: Header=BB79_13 Depth=1
	v_mov_b32_e32 v4, s41
	ds_store_b32 v0, v4 offset:34816
; %bb.17:                               ;   in Loop: Header=BB79_13 Depth=1
	s_or_b32 exec_lo, exec_lo, s10
	v_mov_b32_e32 v38, s41
	s_wait_storecnt 0x0
	s_wait_loadcnt_dscnt 0x0
	s_barrier_signal -1
	s_barrier_wait -1
	s_and_saveexec_b32 s30, s13
	s_cbranch_execz .LBB79_39
; %bb.18:                               ;   in Loop: Header=BB79_13 Depth=1
	v_cmp_ne_u32_e64 s10, 0, v37
	v_dual_mov_b32 v38, s41 :: v_dual_mov_b32 v18, v24
	s_mov_b32 s42, 0
	s_branch .LBB79_20
.LBB79_19:                              ;   in Loop: Header=BB79_20 Depth=2
	s_wait_xcnt 0x0
	s_or_b32 exec_lo, exec_lo, s11
	v_add_nc_u32_e32 v18, 32, v18
	s_delay_alu instid0(VALU_DEP_1) | instskip(SKIP_1) | instid1(SALU_CYCLE_1)
	v_cmp_le_i32_e32 vcc_lo, s40, v18
	s_or_b32 s42, vcc_lo, s42
	s_and_not1_b32 exec_lo, exec_lo, s42
	s_cbranch_execz .LBB79_38
.LBB79_20:                              ;   Parent Loop BB79_13 Depth=1
                                        ; =>  This Loop Header: Depth=2
                                        ;       Child Loop BB79_26 Depth 3
	global_load_b32 v20, v18, s[20:21] scale_offset
	s_wait_dscnt 0x0
	global_load_b128 v[4:7], v18, s[22:23] scale_offset
	v_ashrrev_i32_e32 v19, 31, v18
	s_and_b32 vcc_lo, exec_lo, s10
	s_wait_loadcnt 0x1
	v_subrev_nc_u32_e32 v22, s28, v20
	s_delay_alu instid0(VALU_DEP_2) | instskip(NEXT) | instid1(VALU_DEP_2)
	v_lshl_add_u64 v[20:21], v[18:19], 2, s[38:39]
	v_ashrrev_i32_e32 v23, 31, v22
	s_cbranch_vccz .LBB79_37
; %bb.21:                               ;   in Loop: Header=BB79_20 Depth=2
	global_load_b32 v19, v[20:21], off
	s_cbranch_execnz .LBB79_23
.LBB79_22:                              ;   in Loop: Header=BB79_20 Depth=2
	s_wait_loadcnt 0x0
	global_load_b32 v19, v22, s[24:25] scale_offset
	s_wait_loadcnt 0x0
	v_subrev_nc_u32_e32 v19, s29, v19
.LBB79_23:                              ;   in Loop: Header=BB79_20 Depth=2
	s_wait_xcnt 0x0
	v_lshl_add_u64 v[22:23], v[22:23], 2, s[24:25]
	s_wait_loadcnt 0x0
	s_delay_alu instid0(VALU_DEP_2)
	v_add_nc_u32_e32 v19, v19, v17
	s_mov_b32 s43, exec_lo
	global_load_b32 v22, v[22:23], off offset:4
	s_wait_loadcnt 0x0
	v_subrev_nc_u32_e32 v39, s29, v22
	s_wait_xcnt 0x0
	s_delay_alu instid0(VALU_DEP_1)
	v_cmpx_lt_i32_e64 v19, v39
	s_cbranch_execz .LBB79_35
; %bb.24:                               ;   in Loop: Header=BB79_20 Depth=2
	v_mul_f64_e64 v[22:23], v[6:7], -v[12:13]
	v_mul_f64_e32 v[6:7], v[8:9], v[6:7]
	s_mov_b32 s45, 0
                                        ; implicit-def: $sgpr44
                                        ; implicit-def: $sgpr46
	s_delay_alu instid0(VALU_DEP_2) | instskip(NEXT) | instid1(VALU_DEP_2)
	v_fmac_f64_e32 v[22:23], v[8:9], v[4:5]
	v_fmac_f64_e32 v[6:7], v[12:13], v[4:5]
	v_mov_b32_e32 v5, v19
	s_branch .LBB79_26
.LBB79_25:                              ;   in Loop: Header=BB79_26 Depth=3
	s_or_b32 exec_lo, exec_lo, s47
	s_delay_alu instid0(SALU_CYCLE_1) | instskip(NEXT) | instid1(SALU_CYCLE_1)
	s_and_b32 s11, exec_lo, s12
	s_or_b32 s45, s11, s45
	s_and_not1_b32 s11, s44, exec_lo
	s_and_b32 s12, s46, exec_lo
	s_delay_alu instid0(SALU_CYCLE_1)
	s_or_b32 s44, s11, s12
	s_and_not1_b32 exec_lo, exec_lo, s45
	s_cbranch_execz .LBB79_32
.LBB79_26:                              ;   Parent Loop BB79_13 Depth=1
                                        ;     Parent Loop BB79_20 Depth=2
                                        ; =>    This Inner Loop Header: Depth=3
	s_delay_alu instid0(VALU_DEP_1) | instskip(SKIP_3) | instid1(VALU_DEP_1)
	v_mov_b32_e32 v4, v5
	global_load_b32 v5, v5, s[26:27] scale_offset
	s_wait_loadcnt 0x0
	v_subrev_nc_u32_e32 v40, s29, v5
	v_cmp_lt_i32_e64 s11, v40, v37
	v_cmp_ge_i32_e64 s12, v40, v36
	v_cmp_lt_i32_e32 vcc_lo, v40, v36
	s_or_b32 s12, s11, s12
	s_mov_b32 s11, 0
	s_wait_xcnt 0x0
	s_and_saveexec_b32 s47, s12
	s_delay_alu instid0(SALU_CYCLE_1)
	s_xor_b32 s12, exec_lo, s47
; %bb.27:                               ;   in Loop: Header=BB79_26 Depth=3
	s_and_b32 s11, vcc_lo, exec_lo
; %bb.28:                               ;   in Loop: Header=BB79_26 Depth=3
	s_and_not1_saveexec_b32 s12, s12
	s_cbranch_execz .LBB79_30
; %bb.29:                               ;   in Loop: Header=BB79_26 Depth=3
	v_ashrrev_i32_e32 v5, 31, v4
	s_or_b32 s11, s11, exec_lo
	s_delay_alu instid0(VALU_DEP_1)
	v_lshl_add_u64 v[42:43], v[4:5], 4, s[34:35]
	v_sub_nc_u32_e32 v5, v40, v37
	global_load_b128 v[42:45], v[42:43], off
	v_lshlrev_b32_e32 v41, 4, v5
	ds_store_b8 v5, v35 offset:32768
	s_wait_loadcnt 0x0
	v_mul_f64_e64 v[46:47], v[44:45], -v[6:7]
	v_mul_f64_e32 v[44:45], v[22:23], v[44:45]
	s_delay_alu instid0(VALU_DEP_2) | instskip(NEXT) | instid1(VALU_DEP_2)
	v_fmac_f64_e32 v[46:47], v[22:23], v[42:43]
	v_fmac_f64_e32 v[44:45], v[6:7], v[42:43]
	ds_add_f64 v41, v[46:47]
	ds_add_f64 v41, v[44:45] offset:8
.LBB79_30:                              ;   in Loop: Header=BB79_26 Depth=3
	s_wait_xcnt 0x0
	s_or_b32 exec_lo, exec_lo, s12
	s_mov_b32 s12, -1
	s_or_b32 s46, s46, exec_lo
                                        ; implicit-def: $vgpr5
	s_and_saveexec_b32 s47, s11
	s_cbranch_execz .LBB79_25
; %bb.31:                               ;   in Loop: Header=BB79_26 Depth=3
	v_add_nc_u32_e32 v5, 16, v4
	s_and_not1_b32 s46, s46, exec_lo
	s_delay_alu instid0(VALU_DEP_1)
	v_cmp_ge_i32_e32 vcc_lo, v5, v39
	s_or_not1_b32 s12, vcc_lo, exec_lo
	s_branch .LBB79_25
.LBB79_32:                              ;   in Loop: Header=BB79_20 Depth=2
	s_or_b32 exec_lo, exec_lo, s45
	s_and_saveexec_b32 s11, s44
	s_delay_alu instid0(SALU_CYCLE_1)
	s_xor_b32 s11, exec_lo, s11
; %bb.33:                               ;   in Loop: Header=BB79_20 Depth=2
	v_min_i32_e32 v38, v40, v38
	v_mov_b32_e32 v19, v4
; %bb.34:                               ;   in Loop: Header=BB79_20 Depth=2
	s_or_b32 exec_lo, exec_lo, s11
.LBB79_35:                              ;   in Loop: Header=BB79_20 Depth=2
	s_delay_alu instid0(SALU_CYCLE_1)
	s_or_b32 exec_lo, exec_lo, s43
	ds_bpermute_b32 v4, v26, v19
	s_wait_dscnt 0x0
	v_min_i32_e32 v4, v4, v19
	ds_bpermute_b32 v5, v27, v4
	s_wait_dscnt 0x0
	v_min_i32_e32 v4, v5, v4
	;; [unrolled: 3-line block ×3, first 2 shown]
	ds_bpermute_b32 v5, v29, v4
	s_and_saveexec_b32 s11, s1
	s_cbranch_execz .LBB79_19
; %bb.36:                               ;   in Loop: Header=BB79_20 Depth=2
	s_wait_dscnt 0x0
	v_min_i32_e32 v4, v5, v4
	global_store_b32 v[20:21], v4, off
	s_branch .LBB79_19
.LBB79_37:                              ;   in Loop: Header=BB79_20 Depth=2
                                        ; implicit-def: $vgpr19
	s_branch .LBB79_22
.LBB79_38:                              ;   in Loop: Header=BB79_13 Depth=1
	s_or_b32 exec_lo, exec_lo, s42
.LBB79_39:                              ;   in Loop: Header=BB79_13 Depth=1
	s_delay_alu instid0(SALU_CYCLE_1) | instskip(NEXT) | instid1(SALU_CYCLE_1)
	s_or_b32 exec_lo, exec_lo, s30
	s_and_not1_b32 vcc_lo, exec_lo, s33
	s_cbranch_vccnz .LBB79_53
; %bb.40:                               ;   in Loop: Header=BB79_13 Depth=1
	s_load_b64 s[10:11], s[18:19], 0x0
	s_mov_b32 s12, exec_lo
	s_wait_kmcnt 0x0
	v_add_nc_u32_e32 v4, s10, v25
	s_sub_co_i32 s30, s11, s31
	s_delay_alu instid0(VALU_DEP_1) | instid1(SALU_CYCLE_1)
	v_cmpx_gt_i32_e64 s30, v4
	s_cbranch_execz .LBB79_52
; %bb.41:                               ;   in Loop: Header=BB79_13 Depth=1
	s_mov_b32 s42, 0
                                        ; implicit-def: $sgpr43
                                        ; implicit-def: $sgpr44
	s_branch .LBB79_43
.LBB79_42:                              ;   in Loop: Header=BB79_43 Depth=2
	s_or_b32 exec_lo, exec_lo, s45
	s_delay_alu instid0(SALU_CYCLE_1) | instskip(NEXT) | instid1(SALU_CYCLE_1)
	s_and_b32 s10, exec_lo, s11
	s_or_b32 s42, s10, s42
	s_and_not1_b32 s10, s43, exec_lo
	s_and_b32 s11, s44, exec_lo
	s_delay_alu instid0(SALU_CYCLE_1)
	s_or_b32 s43, s10, s11
	s_and_not1_b32 exec_lo, exec_lo, s42
	s_cbranch_execz .LBB79_49
.LBB79_43:                              ;   Parent Loop BB79_13 Depth=1
                                        ; =>  This Inner Loop Header: Depth=2
	s_wait_dscnt 0x0
	global_load_b32 v5, v4, s[14:15] scale_offset
	s_wait_loadcnt 0x0
	v_subrev_nc_u32_e32 v6, s31, v5
	s_delay_alu instid0(VALU_DEP_1)
	v_cmp_lt_i32_e64 s10, v6, v37
	v_cmp_ge_i32_e64 s11, v6, v36
	v_cmp_lt_i32_e32 vcc_lo, v6, v36
	s_or_b32 s11, s10, s11
	s_mov_b32 s10, 0
	s_wait_xcnt 0x0
	s_and_saveexec_b32 s45, s11
	s_delay_alu instid0(SALU_CYCLE_1)
	s_xor_b32 s11, exec_lo, s45
; %bb.44:                               ;   in Loop: Header=BB79_43 Depth=2
	s_and_b32 s10, vcc_lo, exec_lo
; %bb.45:                               ;   in Loop: Header=BB79_43 Depth=2
	s_or_saveexec_b32 s11, s11
	v_ashrrev_i32_e32 v5, 31, v4
	s_xor_b32 exec_lo, exec_lo, s11
	s_cbranch_execz .LBB79_47
; %bb.46:                               ;   in Loop: Header=BB79_43 Depth=2
	s_delay_alu instid0(VALU_DEP_1)
	v_lshl_add_u64 v[18:19], v[4:5], 4, s[16:17]
	s_or_b32 s10, s10, exec_lo
	v_sub_nc_u32_e32 v5, v6, v37
	global_load_b128 v[18:21], v[18:19], off
	v_lshlrev_b32_e32 v7, 4, v5
	ds_store_b8 v5, v35 offset:32768
	s_wait_loadcnt 0x0
	v_mul_f64_e64 v[22:23], v[20:21], -v[10:11]
	v_mul_f64_e32 v[20:21], v[14:15], v[20:21]
	s_delay_alu instid0(VALU_DEP_2) | instskip(NEXT) | instid1(VALU_DEP_2)
	v_fmac_f64_e32 v[22:23], v[14:15], v[18:19]
	v_fmac_f64_e32 v[20:21], v[10:11], v[18:19]
	ds_add_f64 v7, v[22:23]
	ds_add_f64 v7, v[20:21] offset:8
.LBB79_47:                              ;   in Loop: Header=BB79_43 Depth=2
	s_wait_xcnt 0x0
	s_or_b32 exec_lo, exec_lo, s11
	s_mov_b32 s11, -1
	s_or_b32 s44, s44, exec_lo
	s_and_saveexec_b32 s45, s10
	s_cbranch_execz .LBB79_42
; %bb.48:                               ;   in Loop: Header=BB79_43 Depth=2
	v_add_nc_u32_e32 v4, 0x200, v4
	s_and_not1_b32 s44, s44, exec_lo
	s_delay_alu instid0(VALU_DEP_1)
	v_cmp_le_i32_e32 vcc_lo, s30, v4
	s_or_not1_b32 s11, vcc_lo, exec_lo
	s_branch .LBB79_42
.LBB79_49:                              ;   in Loop: Header=BB79_13 Depth=1
	s_or_b32 exec_lo, exec_lo, s42
	s_and_saveexec_b32 s10, s43
	s_delay_alu instid0(SALU_CYCLE_1)
	s_xor_b32 s10, exec_lo, s10
; %bb.50:                               ;   in Loop: Header=BB79_13 Depth=1
	v_min_i32_e32 v38, v6, v38
; %bb.51:                               ;   in Loop: Header=BB79_13 Depth=1
	s_or_b32 exec_lo, exec_lo, s10
.LBB79_52:                              ;   in Loop: Header=BB79_13 Depth=1
	s_delay_alu instid0(SALU_CYCLE_1)
	s_or_b32 exec_lo, exec_lo, s12
.LBB79_53:                              ;   in Loop: Header=BB79_13 Depth=1
	ds_bpermute_b32 v4, v26, v38
	s_wait_dscnt 0x0
	v_min_i32_e32 v4, v4, v38
	ds_bpermute_b32 v5, v27, v4
	s_wait_dscnt 0x0
	v_min_i32_e32 v4, v5, v4
	ds_bpermute_b32 v5, v28, v4
	s_wait_dscnt 0x0
	v_min_i32_e32 v4, v5, v4
	ds_bpermute_b32 v5, v29, v4
	s_and_saveexec_b32 s10, s1
	s_cbranch_execz .LBB79_58
; %bb.54:                               ;   in Loop: Header=BB79_13 Depth=1
	s_wait_dscnt 0x0
	v_min_i32_e32 v4, v5, v4
	s_mov_b32 s12, exec_lo
	s_brev_b32 s11, -2
.LBB79_55:                              ;   Parent Loop BB79_13 Depth=1
                                        ; =>  This Inner Loop Header: Depth=2
	s_ctz_i32_b32 s30, s12
	s_delay_alu instid0(VALU_DEP_1) | instid1(SALU_CYCLE_1)
	v_readlane_b32 s42, v4, s30
	s_lshl_b32 s30, 1, s30
	s_delay_alu instid0(SALU_CYCLE_1)
	s_and_not1_b32 s12, s12, s30
	s_min_i32 s11, s11, s42
	s_cmp_lg_u32 s12, 0
	s_cbranch_scc1 .LBB79_55
; %bb.56:                               ;   in Loop: Header=BB79_13 Depth=1
	v_mbcnt_lo_u32_b32 v4, exec_lo, 0
	s_mov_b32 s12, exec_lo
	s_delay_alu instid0(VALU_DEP_1)
	v_cmpx_eq_u32_e32 0, v4
	s_xor_b32 s12, exec_lo, s12
; %bb.57:                               ;   in Loop: Header=BB79_13 Depth=1
	v_mov_b32_e32 v4, s11
	ds_min_i32 v0, v4 offset:34816
.LBB79_58:                              ;   in Loop: Header=BB79_13 Depth=1
	s_or_b32 exec_lo, exec_lo, s10
	s_wait_dscnt 0x0
	v_dual_mov_b32 v4, v33 :: v_dual_mov_b32 v5, v32
	s_mov_b32 s10, 0
	s_wait_storecnt 0x0
	s_barrier_signal -1
	s_barrier_wait -1
	s_branch .LBB79_60
.LBB79_59:                              ;   in Loop: Header=BB79_60 Depth=2
	s_or_b32 exec_lo, exec_lo, s11
	s_wait_storecnt_dscnt 0x0
	s_barrier_signal -1
	s_barrier_wait -1
	ds_load_b32 v6, v0 offset:28
	v_add_nc_u32_e32 v5, 0x200, v5
	v_add_nc_u32_e32 v4, 0x2000, v4
	s_delay_alu instid0(VALU_DEP_2)
	v_cmp_lt_u32_e32 vcc_lo, 0x5ff, v5
	s_or_b32 s10, vcc_lo, s10
	s_wait_dscnt 0x0
	v_add_nc_u32_e32 v34, v6, v34
	s_and_not1_b32 exec_lo, exec_lo, s10
	s_cbranch_execz .LBB79_12
.LBB79_60:                              ;   Parent Loop BB79_13 Depth=1
                                        ; =>  This Inner Loop Header: Depth=2
	ds_load_u8 v6, v5 offset:33280
	ds_load_2addr_b64 v[18:21], v4 offset1:1
	s_wait_dscnt 0x1
	v_cmp_ne_u16_e32 vcc_lo, 0, v6
	s_wait_dscnt 0x0
	ds_store_2addr_b64 v30, v[18:19], v[20:21] offset1:1
	s_wait_dscnt 0x0
	s_barrier_signal -1
	s_barrier_wait -1
	s_bcnt1_i32_b32 s11, vcc_lo
	s_delay_alu instid0(SALU_CYCLE_1)
	v_mov_b32_e32 v7, s11
	s_mov_b32 s11, exec_lo
	ds_store_b32 v31, v7
	s_wait_dscnt 0x0
	s_barrier_signal -1
	s_barrier_wait -1
	ds_load_b128 v[18:21], v0
	ds_load_b96 v[36:38], v0 offset:16
	v_and_b32_e32 v7, vcc_lo, v16
	s_wait_dscnt 0x1
	v_cndmask_b32_e64 v18, v18, 0, s3
	v_cndmask_b32_e64 v19, v19, 0, s4
	;; [unrolled: 1-line block ×3, first 2 shown]
	s_delay_alu instid0(VALU_DEP_3) | instskip(SKIP_3) | instid1(VALU_DEP_3)
	v_bcnt_u32_b32 v7, v7, v18
	v_cndmask_b32_e64 v18, v21, 0, s6
	s_wait_dscnt 0x0
	v_cndmask_b32_e64 v21, v36, 0, s7
	v_add3_u32 v7, v7, v19, v20
	v_cndmask_b32_e64 v19, v37, 0, s8
	v_cndmask_b32_e64 v20, v38, 0, s9
	s_delay_alu instid0(VALU_DEP_3) | instskip(SKIP_1) | instid1(VALU_DEP_2)
	v_add3_u32 v7, v7, v18, v21
	v_and_b32_e32 v18, 1, v6
	v_add3_u32 v6, v7, v19, v20
	s_delay_alu instid0(VALU_DEP_2)
	v_cmpx_eq_u32_e32 1, v18
	s_cbranch_execz .LBB79_62
; %bb.61:                               ;   in Loop: Header=BB79_60 Depth=2
	ds_load_2addr_b64 v[18:21], v30 offset1:1
	v_add_nc_u32_e32 v7, v6, v34
	s_wait_dscnt 0x0
	global_store_b128 v7, v[18:21], s[36:37] offset:-16 scale_offset
.LBB79_62:                              ;   in Loop: Header=BB79_60 Depth=2
	s_wait_xcnt 0x0
	s_or_b32 exec_lo, exec_lo, s11
	s_and_saveexec_b32 s11, s2
	s_cbranch_execz .LBB79_59
; %bb.63:                               ;   in Loop: Header=BB79_60 Depth=2
	ds_store_b32 v0, v6 offset:28
	s_branch .LBB79_59
.LBB79_64:
	s_endpgm
	.section	.rodata,"a",@progbits
	.p2align	6, 0x0
	.amdhsa_kernel _ZN9rocsparseL51csrgemm_numeric_fill_block_per_row_multipass_kernelILj512ELj16ELj2048ELj64Eii21rocsparse_complex_numIdEEEvT4_PKS3_S5_NS_24const_host_device_scalarIT5_EEPKT3_S5_PKS7_SB_S5_SD_S8_SB_S5_SD_SB_S5_PS7_PS9_21rocsparse_index_base_SG_SG_SG_bbb
		.amdhsa_group_segment_fixed_size 43016
		.amdhsa_private_segment_fixed_size 24
		.amdhsa_kernarg_size 180
		.amdhsa_user_sgpr_count 4
		.amdhsa_user_sgpr_dispatch_ptr 1
		.amdhsa_user_sgpr_queue_ptr 0
		.amdhsa_user_sgpr_kernarg_segment_ptr 1
		.amdhsa_user_sgpr_dispatch_id 0
		.amdhsa_user_sgpr_kernarg_preload_length 0
		.amdhsa_user_sgpr_kernarg_preload_offset 0
		.amdhsa_user_sgpr_private_segment_size 0
		.amdhsa_wavefront_size32 1
		.amdhsa_uses_dynamic_stack 0
		.amdhsa_enable_private_segment 1
		.amdhsa_system_sgpr_workgroup_id_x 1
		.amdhsa_system_sgpr_workgroup_id_y 0
		.amdhsa_system_sgpr_workgroup_id_z 0
		.amdhsa_system_sgpr_workgroup_info 0
		.amdhsa_system_vgpr_workitem_id 2
		.amdhsa_next_free_vgpr 48
		.amdhsa_next_free_sgpr 48
		.amdhsa_named_barrier_count 0
		.amdhsa_reserve_vcc 1
		.amdhsa_float_round_mode_32 0
		.amdhsa_float_round_mode_16_64 0
		.amdhsa_float_denorm_mode_32 3
		.amdhsa_float_denorm_mode_16_64 3
		.amdhsa_fp16_overflow 0
		.amdhsa_memory_ordered 1
		.amdhsa_forward_progress 1
		.amdhsa_inst_pref_size 22
		.amdhsa_round_robin_scheduling 0
		.amdhsa_exception_fp_ieee_invalid_op 0
		.amdhsa_exception_fp_denorm_src 0
		.amdhsa_exception_fp_ieee_div_zero 0
		.amdhsa_exception_fp_ieee_overflow 0
		.amdhsa_exception_fp_ieee_underflow 0
		.amdhsa_exception_fp_ieee_inexact 0
		.amdhsa_exception_int_div_zero 0
	.end_amdhsa_kernel
	.section	.text._ZN9rocsparseL51csrgemm_numeric_fill_block_per_row_multipass_kernelILj512ELj16ELj2048ELj64Eii21rocsparse_complex_numIdEEEvT4_PKS3_S5_NS_24const_host_device_scalarIT5_EEPKT3_S5_PKS7_SB_S5_SD_S8_SB_S5_SD_SB_S5_PS7_PS9_21rocsparse_index_base_SG_SG_SG_bbb,"axG",@progbits,_ZN9rocsparseL51csrgemm_numeric_fill_block_per_row_multipass_kernelILj512ELj16ELj2048ELj64Eii21rocsparse_complex_numIdEEEvT4_PKS3_S5_NS_24const_host_device_scalarIT5_EEPKT3_S5_PKS7_SB_S5_SD_S8_SB_S5_SD_SB_S5_PS7_PS9_21rocsparse_index_base_SG_SG_SG_bbb,comdat
.Lfunc_end79:
	.size	_ZN9rocsparseL51csrgemm_numeric_fill_block_per_row_multipass_kernelILj512ELj16ELj2048ELj64Eii21rocsparse_complex_numIdEEEvT4_PKS3_S5_NS_24const_host_device_scalarIT5_EEPKT3_S5_PKS7_SB_S5_SD_S8_SB_S5_SD_SB_S5_PS7_PS9_21rocsparse_index_base_SG_SG_SG_bbb, .Lfunc_end79-_ZN9rocsparseL51csrgemm_numeric_fill_block_per_row_multipass_kernelILj512ELj16ELj2048ELj64Eii21rocsparse_complex_numIdEEEvT4_PKS3_S5_NS_24const_host_device_scalarIT5_EEPKT3_S5_PKS7_SB_S5_SD_S8_SB_S5_SD_SB_S5_PS7_PS9_21rocsparse_index_base_SG_SG_SG_bbb
                                        ; -- End function
	.set _ZN9rocsparseL51csrgemm_numeric_fill_block_per_row_multipass_kernelILj512ELj16ELj2048ELj64Eii21rocsparse_complex_numIdEEEvT4_PKS3_S5_NS_24const_host_device_scalarIT5_EEPKT3_S5_PKS7_SB_S5_SD_S8_SB_S5_SD_SB_S5_PS7_PS9_21rocsparse_index_base_SG_SG_SG_bbb.num_vgpr, 48
	.set _ZN9rocsparseL51csrgemm_numeric_fill_block_per_row_multipass_kernelILj512ELj16ELj2048ELj64Eii21rocsparse_complex_numIdEEEvT4_PKS3_S5_NS_24const_host_device_scalarIT5_EEPKT3_S5_PKS7_SB_S5_SD_S8_SB_S5_SD_SB_S5_PS7_PS9_21rocsparse_index_base_SG_SG_SG_bbb.num_agpr, 0
	.set _ZN9rocsparseL51csrgemm_numeric_fill_block_per_row_multipass_kernelILj512ELj16ELj2048ELj64Eii21rocsparse_complex_numIdEEEvT4_PKS3_S5_NS_24const_host_device_scalarIT5_EEPKT3_S5_PKS7_SB_S5_SD_S8_SB_S5_SD_SB_S5_PS7_PS9_21rocsparse_index_base_SG_SG_SG_bbb.numbered_sgpr, 48
	.set _ZN9rocsparseL51csrgemm_numeric_fill_block_per_row_multipass_kernelILj512ELj16ELj2048ELj64Eii21rocsparse_complex_numIdEEEvT4_PKS3_S5_NS_24const_host_device_scalarIT5_EEPKT3_S5_PKS7_SB_S5_SD_S8_SB_S5_SD_SB_S5_PS7_PS9_21rocsparse_index_base_SG_SG_SG_bbb.num_named_barrier, 0
	.set _ZN9rocsparseL51csrgemm_numeric_fill_block_per_row_multipass_kernelILj512ELj16ELj2048ELj64Eii21rocsparse_complex_numIdEEEvT4_PKS3_S5_NS_24const_host_device_scalarIT5_EEPKT3_S5_PKS7_SB_S5_SD_S8_SB_S5_SD_SB_S5_PS7_PS9_21rocsparse_index_base_SG_SG_SG_bbb.private_seg_size, 24
	.set _ZN9rocsparseL51csrgemm_numeric_fill_block_per_row_multipass_kernelILj512ELj16ELj2048ELj64Eii21rocsparse_complex_numIdEEEvT4_PKS3_S5_NS_24const_host_device_scalarIT5_EEPKT3_S5_PKS7_SB_S5_SD_S8_SB_S5_SD_SB_S5_PS7_PS9_21rocsparse_index_base_SG_SG_SG_bbb.uses_vcc, 1
	.set _ZN9rocsparseL51csrgemm_numeric_fill_block_per_row_multipass_kernelILj512ELj16ELj2048ELj64Eii21rocsparse_complex_numIdEEEvT4_PKS3_S5_NS_24const_host_device_scalarIT5_EEPKT3_S5_PKS7_SB_S5_SD_S8_SB_S5_SD_SB_S5_PS7_PS9_21rocsparse_index_base_SG_SG_SG_bbb.uses_flat_scratch, 1
	.set _ZN9rocsparseL51csrgemm_numeric_fill_block_per_row_multipass_kernelILj512ELj16ELj2048ELj64Eii21rocsparse_complex_numIdEEEvT4_PKS3_S5_NS_24const_host_device_scalarIT5_EEPKT3_S5_PKS7_SB_S5_SD_S8_SB_S5_SD_SB_S5_PS7_PS9_21rocsparse_index_base_SG_SG_SG_bbb.has_dyn_sized_stack, 0
	.set _ZN9rocsparseL51csrgemm_numeric_fill_block_per_row_multipass_kernelILj512ELj16ELj2048ELj64Eii21rocsparse_complex_numIdEEEvT4_PKS3_S5_NS_24const_host_device_scalarIT5_EEPKT3_S5_PKS7_SB_S5_SD_S8_SB_S5_SD_SB_S5_PS7_PS9_21rocsparse_index_base_SG_SG_SG_bbb.has_recursion, 0
	.set _ZN9rocsparseL51csrgemm_numeric_fill_block_per_row_multipass_kernelILj512ELj16ELj2048ELj64Eii21rocsparse_complex_numIdEEEvT4_PKS3_S5_NS_24const_host_device_scalarIT5_EEPKT3_S5_PKS7_SB_S5_SD_S8_SB_S5_SD_SB_S5_PS7_PS9_21rocsparse_index_base_SG_SG_SG_bbb.has_indirect_call, 0
	.section	.AMDGPU.csdata,"",@progbits
; Kernel info:
; codeLenInByte = 2724
; TotalNumSgprs: 50
; NumVgprs: 48
; ScratchSize: 24
; MemoryBound: 0
; FloatMode: 240
; IeeeMode: 1
; LDSByteSize: 43016 bytes/workgroup (compile time only)
; SGPRBlocks: 0
; VGPRBlocks: 2
; NumSGPRsForWavesPerEU: 50
; NumVGPRsForWavesPerEU: 48
; NamedBarCnt: 0
; Occupancy: 16
; WaveLimiterHint : 1
; COMPUTE_PGM_RSRC2:SCRATCH_EN: 1
; COMPUTE_PGM_RSRC2:USER_SGPR: 4
; COMPUTE_PGM_RSRC2:TRAP_HANDLER: 0
; COMPUTE_PGM_RSRC2:TGID_X_EN: 1
; COMPUTE_PGM_RSRC2:TGID_Y_EN: 0
; COMPUTE_PGM_RSRC2:TGID_Z_EN: 0
; COMPUTE_PGM_RSRC2:TIDIG_COMP_CNT: 2
	.section	.text._ZN9rocsparseL38csrgemm_numeric_fill_wf_per_row_kernelILj256ELj8ELj16ELj137EllfEEvT4_S1_PKS1_S3_NS_24const_host_device_scalarIT5_EEPKT3_S3_PKS5_S9_S3_SB_S6_S9_S3_SB_S9_S3_PS5_21rocsparse_index_base_SD_SD_SD_bbb,"axG",@progbits,_ZN9rocsparseL38csrgemm_numeric_fill_wf_per_row_kernelILj256ELj8ELj16ELj137EllfEEvT4_S1_PKS1_S3_NS_24const_host_device_scalarIT5_EEPKT3_S3_PKS5_S9_S3_SB_S6_S9_S3_SB_S9_S3_PS5_21rocsparse_index_base_SD_SD_SD_bbb,comdat
	.globl	_ZN9rocsparseL38csrgemm_numeric_fill_wf_per_row_kernelILj256ELj8ELj16ELj137EllfEEvT4_S1_PKS1_S3_NS_24const_host_device_scalarIT5_EEPKT3_S3_PKS5_S9_S3_SB_S6_S9_S3_SB_S9_S3_PS5_21rocsparse_index_base_SD_SD_SD_bbb ; -- Begin function _ZN9rocsparseL38csrgemm_numeric_fill_wf_per_row_kernelILj256ELj8ELj16ELj137EllfEEvT4_S1_PKS1_S3_NS_24const_host_device_scalarIT5_EEPKT3_S3_PKS5_S9_S3_SB_S6_S9_S3_SB_S9_S3_PS5_21rocsparse_index_base_SD_SD_SD_bbb
	.p2align	8
	.type	_ZN9rocsparseL38csrgemm_numeric_fill_wf_per_row_kernelILj256ELj8ELj16ELj137EllfEEvT4_S1_PKS1_S3_NS_24const_host_device_scalarIT5_EEPKT3_S3_PKS5_S9_S3_SB_S6_S9_S3_SB_S9_S3_PS5_21rocsparse_index_base_SD_SD_SD_bbb,@function
_ZN9rocsparseL38csrgemm_numeric_fill_wf_per_row_kernelILj256ELj8ELj16ELj137EllfEEvT4_S1_PKS1_S3_NS_24const_host_device_scalarIT5_EEPKT3_S3_PKS5_S9_S3_SB_S6_S9_S3_SB_S9_S3_PS5_21rocsparse_index_base_SD_SD_SD_bbb: ; @_ZN9rocsparseL38csrgemm_numeric_fill_wf_per_row_kernelILj256ELj8ELj16ELj137EllfEEvT4_S1_PKS1_S3_NS_24const_host_device_scalarIT5_EEPKT3_S3_PKS5_S9_S3_SB_S6_S9_S3_SB_S9_S3_PS5_21rocsparse_index_base_SD_SD_SD_bbb
; %bb.0:
	s_clause 0x3
	s_load_b32 s6, s[0:1], 0xa0
	s_load_b64 s[4:5], s[0:1], 0x20
	s_load_b128 s[20:23], s[0:1], 0x90
	s_load_b64 s[2:3], s[0:1], 0x58
	s_wait_kmcnt 0x0
	s_and_b32 s8, 1, s6
	s_bitcmp1_b32 s6, 16
	s_cselect_b32 s7, -1, 0
	s_cmp_eq_u32 s8, 1
	s_cselect_b32 s40, -1, 0
	s_delay_alu instid0(SALU_CYCLE_1) | instskip(SKIP_2) | instid1(SALU_CYCLE_1)
	s_and_b32 s8, s40, exec_lo
	s_cselect_b32 s38, s4, 0
	s_xor_b32 s8, s40, -1
	s_or_b32 s8, s7, s8
	s_delay_alu instid0(SALU_CYCLE_1)
	s_and_b32 vcc_lo, exec_lo, s8
	s_cbranch_vccnz .LBB80_2
; %bb.1:
	s_load_b32 s38, s[4:5], 0x0
.LBB80_2:
	s_load_b64 s[34:35], s[0:1], 0x10
	s_bitcmp1_b32 s6, 8
	s_cselect_b32 s39, -1, 0
	s_wait_xcnt 0x0
	s_and_b32 s4, s39, exec_lo
	s_cselect_b32 s33, s2, 0
	s_xor_b32 s4, s39, -1
	s_delay_alu instid0(SALU_CYCLE_1) | instskip(NEXT) | instid1(SALU_CYCLE_1)
	s_or_b32 s4, s7, s4
	s_and_b32 vcc_lo, exec_lo, s4
	s_cbranch_vccnz .LBB80_4
; %bb.3:
	s_load_b32 s33, s[2:3], 0x0
.LBB80_4:
	s_clause 0x1
	s_load_b64 s[36:37], s[0:1], 0x18
	s_load_b128 s[24:27], s[0:1], 0x0
	s_wait_xcnt 0x0
	s_clause 0x3
	s_load_b64 s[2:3], s[0:1], 0x88
	s_load_b256 s[4:11], s[0:1], 0x60
	s_load_b128 s[28:31], s[0:1], 0x48
	s_load_b256 s[12:19], s[0:1], 0x28
	v_dual_lshrrev_b32 v2, 3, v0 :: v_dual_bitop2_b32 v6, 7, v0 bitop3:0x40
	s_wait_xcnt 0x0
	s_mov_b32 s0, 0
	s_delay_alu instid0(VALU_DEP_1) | instskip(NEXT) | instid1(VALU_DEP_2)
	v_lshlrev_b32_e32 v0, 6, v2
	v_dual_lshlrev_b32 v1, 3, v6 :: v_dual_lshlrev_b32 v3, 2, v6
	s_delay_alu instid0(VALU_DEP_1) | instskip(NEXT) | instid1(VALU_DEP_2)
	v_lshl_or_b32 v20, v2, 7, v1
	v_or3_b32 v21, v0, v3, 0x1000
	v_dual_mov_b32 v3, 0 :: v_dual_bitop2_b32 v22, -8, v6 bitop3:0x54
	s_delay_alu instid0(VALU_DEP_3) | instskip(SKIP_2) | instid1(VALU_DEP_3)
	v_mov_b32_e32 v4, v20
	s_wait_kmcnt 0x0
	v_mov_b64_e32 v[0:1], s[26:27]
	v_dual_mov_b32 v5, v21 :: v_dual_mov_b32 v7, v22
.LBB80_5:                               ; =>This Inner Loop Header: Depth=1
	s_delay_alu instid0(VALU_DEP_1)
	v_add_co_u32 v7, s1, v7, 8
	s_xor_b32 s1, s1, -1
	ds_store_b64 v4, v[0:1]
	ds_store_b32 v5, v3
	v_dual_add_nc_u32 v5, 32, v5 :: v_dual_add_nc_u32 v4, 64, v4
	s_and_b32 s1, exec_lo, s1
	s_delay_alu instid0(SALU_CYCLE_1) | instskip(NEXT) | instid1(SALU_CYCLE_1)
	s_or_b32 s0, s1, s0
	s_and_not1_b32 exec_lo, exec_lo, s0
	s_cbranch_execnz .LBB80_5
; %bb.6:
	s_or_b32 exec_lo, exec_lo, s0
	s_bfe_u32 s0, ttmp6, 0x4000c
	s_and_b32 s1, ttmp6, 15
	s_add_co_i32 s0, s0, 1
	s_getreg_b32 s41, hwreg(HW_REG_IB_STS2, 6, 4)
	s_mul_i32 s0, ttmp9, s0
	v_mov_b32_e32 v5, 0
	s_add_co_i32 s1, s1, s0
	s_cmp_eq_u32 s41, 0
	s_wait_dscnt 0x0
	s_cselect_b32 s0, ttmp9, s1
	s_delay_alu instid0(SALU_CYCLE_1) | instskip(NEXT) | instid1(SALU_CYCLE_1)
	s_lshl_b32 s0, s0, 5
	v_and_or_b32 v4, 0x1fffffe0, s0, v2
	s_mov_b32 s0, exec_lo
	s_delay_alu instid0(VALU_DEP_1)
	v_cmpx_gt_i64_e64 s[24:25], v[4:5]
	s_cbranch_execz .LBB80_50
; %bb.7:
	s_cmp_eq_u64 s[36:37], 0
	s_cbranch_scc1 .LBB80_9
; %bb.8:
	s_load_b64 s[0:1], s[34:35], 0x0
	s_wait_kmcnt 0x0
	s_lshl_b64 s[0:1], s[0:1], 3
	s_delay_alu instid0(SALU_CYCLE_1)
	s_add_nc_u64 s[0:1], s[36:37], s[0:1]
	global_load_b64 v[4:5], v4, s[0:1] scale_offset
.LBB80_9:
	v_lshlrev_b32_e32 v23, 7, v2
	v_lshl_or_b32 v24, v2, 6, 0x1000
	s_and_not1_b32 vcc_lo, exec_lo, s40
	s_cbranch_vccnz .LBB80_29
; %bb.10:
	s_wait_loadcnt 0x0
	v_lshl_add_u64 v[0:1], v[4:5], 3, s[12:13]
	v_mov_b32_e32 v7, 0
	s_mov_b32 s1, 0
	s_mov_b32 s0, s20
	s_mov_b32 s20, exec_lo
	global_load_b128 v[0:3], v[0:1], off
	v_sub_nc_u64_e64 v[10:11], v[6:7], s[0:1]
	s_wait_loadcnt 0x0
	v_sub_nc_u64_e64 v[8:9], v[2:3], s[0:1]
	s_delay_alu instid0(VALU_DEP_2) | instskip(NEXT) | instid1(VALU_DEP_1)
	v_add_nc_u64_e32 v[10:11], v[0:1], v[10:11]
	v_cmpx_lt_i64_e64 v[10:11], v[8:9]
	s_cbranch_execz .LBB80_28
; %bb.11:
	s_mov_b32 s12, s21
	s_mov_b32 s13, s1
	;; [unrolled: 1-line block ×3, first 2 shown]
	s_branch .LBB80_13
.LBB80_12:                              ;   in Loop: Header=BB80_13 Depth=1
	s_or_b32 exec_lo, exec_lo, s24
	v_add_nc_u64_e32 v[10:11], 8, v[10:11]
	s_delay_alu instid0(VALU_DEP_1) | instskip(SKIP_1) | instid1(SALU_CYCLE_1)
	v_cmp_ge_i64_e32 vcc_lo, v[10:11], v[8:9]
	s_or_b32 s21, vcc_lo, s21
	s_and_not1_b32 exec_lo, exec_lo, s21
	s_cbranch_execz .LBB80_28
.LBB80_13:                              ; =>This Loop Header: Depth=1
                                        ;     Child Loop BB80_17 Depth 2
                                        ;       Child Loop BB80_20 Depth 3
	v_lshl_add_u64 v[0:1], v[10:11], 3, s[14:15]
	s_mov_b32 s24, exec_lo
	global_load_b64 v[0:1], v[0:1], off
	s_wait_loadcnt 0x0
	s_wait_xcnt 0x0
	v_sub_nc_u64_e64 v[0:1], v[0:1], s[0:1]
	s_delay_alu instid0(VALU_DEP_1)
	v_lshl_add_u64 v[0:1], v[0:1], 3, s[18:19]
	global_load_b128 v[0:3], v[0:1], off
	s_wait_loadcnt 0x0
	s_wait_xcnt 0x0
	v_cmpx_lt_i64_e64 v[0:1], v[2:3]
	s_cbranch_execz .LBB80_12
; %bb.14:                               ;   in Loop: Header=BB80_13 Depth=1
	v_lshl_add_u64 v[12:13], v[10:11], 2, s[16:17]
	v_sub_nc_u64_e64 v[2:3], v[2:3], s[12:13]
	v_sub_nc_u64_e64 v[0:1], v[0:1], s[12:13]
	s_mov_b32 s25, 0
	global_load_b32 v7, v[12:13], off
	s_wait_loadcnt 0x0
	v_mul_f32_e32 v7, s38, v7
	s_branch .LBB80_17
.LBB80_15:                              ;   in Loop: Header=BB80_17 Depth=2
	s_or_b32 exec_lo, exec_lo, s35
.LBB80_16:                              ;   in Loop: Header=BB80_17 Depth=2
	s_delay_alu instid0(SALU_CYCLE_1)
	s_or_b32 exec_lo, exec_lo, s34
	s_wait_loadcnt 0x0
	v_mul_f32_e32 v13, v7, v25
	v_lshl_add_u32 v12, v12, 2, v24
	v_add_nc_u64_e32 v[0:1], 1, v[0:1]
	ds_add_f32 v12, v13
	v_cmp_ge_i64_e32 vcc_lo, v[0:1], v[2:3]
	s_or_b32 s25, vcc_lo, s25
	s_delay_alu instid0(SALU_CYCLE_1)
	s_and_not1_b32 exec_lo, exec_lo, s25
	s_cbranch_execz .LBB80_12
.LBB80_17:                              ;   Parent Loop BB80_13 Depth=1
                                        ; =>  This Loop Header: Depth=2
                                        ;       Child Loop BB80_20 Depth 3
	s_wait_xcnt 0x0
	v_lshl_add_u64 v[12:13], v[0:1], 3, s[28:29]
	v_lshl_add_u64 v[14:15], v[0:1], 2, s[30:31]
	s_mov_b32 s34, exec_lo
	global_load_b64 v[12:13], v[12:13], off
	global_load_b32 v25, v[14:15], off
	s_wait_loadcnt 0x1
	s_wait_xcnt 0x0
	v_sub_nc_u64_e64 v[14:15], v[12:13], s[12:13]
	s_delay_alu instid0(VALU_DEP_1) | instskip(NEXT) | instid1(VALU_DEP_1)
	v_lshl_add_u32 v12, v14, 3, v14
	v_and_b32_e32 v12, 15, v12
	s_delay_alu instid0(VALU_DEP_1)
	v_lshl_add_u32 v26, v12, 3, v23
	ds_load_b64 v[18:19], v26
	s_wait_dscnt 0x0
	v_cmpx_ne_u64_e64 v[18:19], v[14:15]
	s_cbranch_execz .LBB80_16
; %bb.18:                               ;   in Loop: Header=BB80_17 Depth=2
	s_mov_b32 s35, 0
                                        ; implicit-def: $sgpr36
                                        ; implicit-def: $sgpr37
	s_branch .LBB80_20
.LBB80_19:                              ;   in Loop: Header=BB80_20 Depth=3
	s_or_b32 exec_lo, exec_lo, s42
	s_delay_alu instid0(SALU_CYCLE_1) | instskip(NEXT) | instid1(SALU_CYCLE_1)
	s_and_b32 s40, exec_lo, s41
	s_or_b32 s35, s40, s35
	s_and_not1_b32 s36, s36, exec_lo
	s_and_b32 s40, s37, exec_lo
	s_delay_alu instid0(SALU_CYCLE_1)
	s_or_b32 s36, s36, s40
	s_and_not1_b32 exec_lo, exec_lo, s35
	s_cbranch_execz .LBB80_26
.LBB80_20:                              ;   Parent Loop BB80_13 Depth=1
                                        ;     Parent Loop BB80_17 Depth=2
                                        ; =>    This Inner Loop Header: Depth=3
	v_mov_b64_e32 v[16:17], v[12:13]
	s_mov_b32 s40, 0
	s_mov_b32 s41, exec_lo
                                        ; implicit-def: $vgpr12_vgpr13
	v_cmpx_ne_u64_e64 s[26:27], v[18:19]
	s_xor_b32 s41, exec_lo, s41
; %bb.21:                               ;   in Loop: Header=BB80_20 Depth=3
	s_delay_alu instid0(VALU_DEP_2) | instskip(SKIP_1) | instid1(VALU_DEP_1)
	v_add_nc_u32_e32 v12, 1, v16
	s_mov_b32 s40, exec_lo
                                        ; implicit-def: $vgpr26
	v_and_b32_e32 v12, 15, v12
; %bb.22:                               ;   in Loop: Header=BB80_20 Depth=3
	s_and_not1_saveexec_b32 s41, s41
	s_cbranch_execz .LBB80_24
; %bb.23:                               ;   in Loop: Header=BB80_20 Depth=3
	v_mov_b64_e32 v[12:13], s[26:27]
	s_and_not1_b32 s40, s40, exec_lo
	ds_cmpstore_rtn_b64 v[12:13], v26, v[14:15], v[12:13]
	s_wait_dscnt 0x0
	v_cmp_ne_u64_e32 vcc_lo, s[26:27], v[12:13]
	v_mov_b64_e32 v[12:13], v[16:17]
	s_and_b32 s42, vcc_lo, exec_lo
	s_delay_alu instid0(SALU_CYCLE_1)
	s_or_b32 s40, s40, s42
.LBB80_24:                              ;   in Loop: Header=BB80_20 Depth=3
	s_or_b32 exec_lo, exec_lo, s41
	s_mov_b32 s41, -1
	s_or_b32 s37, s37, exec_lo
                                        ; implicit-def: $vgpr26
                                        ; implicit-def: $vgpr18_vgpr19
	s_and_saveexec_b32 s42, s40
	s_cbranch_execz .LBB80_19
; %bb.25:                               ;   in Loop: Header=BB80_20 Depth=3
	v_lshl_add_u32 v26, v12, 3, v23
	s_and_not1_b32 s37, s37, exec_lo
	ds_load_b64 v[18:19], v26
	s_wait_dscnt 0x0
	v_cmp_eq_u64_e32 vcc_lo, v[18:19], v[14:15]
	s_or_not1_b32 s41, vcc_lo, exec_lo
	s_branch .LBB80_19
.LBB80_26:                              ;   in Loop: Header=BB80_17 Depth=2
	s_or_b32 exec_lo, exec_lo, s35
	s_and_saveexec_b32 s35, s36
	s_delay_alu instid0(SALU_CYCLE_1)
	s_xor_b32 s35, exec_lo, s35
	s_cbranch_execz .LBB80_15
; %bb.27:                               ;   in Loop: Header=BB80_17 Depth=2
	v_mov_b32_e32 v12, v16
	s_branch .LBB80_15
.LBB80_28:
	s_or_b32 exec_lo, exec_lo, s20
.LBB80_29:
	s_delay_alu instid0(SALU_CYCLE_1)
	s_and_not1_b32 vcc_lo, exec_lo, s39
	s_cbranch_vccnz .LBB80_46
; %bb.30:
	s_wait_loadcnt 0x0
	v_lshl_add_u64 v[0:1], v[4:5], 3, s[4:5]
	v_mov_b32_e32 v7, 0
	s_mov_b32 s1, 0
	s_mov_b32 s0, s23
	s_mov_b32 s4, exec_lo
	global_load_b128 v[8:11], v[0:1], off
	v_sub_nc_u64_e64 v[2:3], v[6:7], s[0:1]
	s_wait_loadcnt 0x0
	v_sub_nc_u64_e64 v[0:1], v[10:11], s[0:1]
	s_delay_alu instid0(VALU_DEP_2) | instskip(NEXT) | instid1(VALU_DEP_1)
	v_add_nc_u64_e32 v[2:3], v[8:9], v[2:3]
	v_cmpx_lt_i64_e64 v[2:3], v[0:1]
	s_cbranch_execz .LBB80_45
; %bb.31:
	s_mov_b32 s5, s1
	s_branch .LBB80_34
.LBB80_32:                              ;   in Loop: Header=BB80_34 Depth=1
	s_or_b32 exec_lo, exec_lo, s13
.LBB80_33:                              ;   in Loop: Header=BB80_34 Depth=1
	s_delay_alu instid0(SALU_CYCLE_1)
	s_or_b32 exec_lo, exec_lo, s12
	s_wait_loadcnt 0x0
	v_mul_f32_e32 v7, s33, v14
	v_lshl_add_u32 v6, v6, 2, v24
	v_add_nc_u64_e32 v[2:3], 8, v[2:3]
	ds_add_f32 v6, v7
	v_cmp_ge_i64_e32 vcc_lo, v[2:3], v[0:1]
	s_or_b32 s5, vcc_lo, s5
	s_delay_alu instid0(SALU_CYCLE_1)
	s_and_not1_b32 exec_lo, exec_lo, s5
	s_cbranch_execz .LBB80_45
.LBB80_34:                              ; =>This Loop Header: Depth=1
                                        ;     Child Loop BB80_37 Depth 2
	v_lshl_add_u64 v[6:7], v[2:3], 3, s[6:7]
	v_lshl_add_u64 v[8:9], v[2:3], 2, s[8:9]
	s_mov_b32 s12, exec_lo
	global_load_b64 v[6:7], v[6:7], off
	global_load_b32 v14, v[8:9], off
	s_wait_loadcnt 0x1
	s_wait_xcnt 0x0
	v_sub_nc_u64_e64 v[8:9], v[6:7], s[0:1]
	s_delay_alu instid0(VALU_DEP_1) | instskip(NEXT) | instid1(VALU_DEP_1)
	v_lshl_add_u32 v6, v8, 3, v8
	v_and_b32_e32 v6, 15, v6
	s_delay_alu instid0(VALU_DEP_1)
	v_lshl_add_u32 v15, v6, 3, v23
	ds_load_b64 v[12:13], v15
	s_wait_dscnt 0x0
	v_cmpx_ne_u64_e64 v[12:13], v[8:9]
	s_cbranch_execz .LBB80_33
; %bb.35:                               ;   in Loop: Header=BB80_34 Depth=1
	s_mov_b32 s13, 0
                                        ; implicit-def: $sgpr14
                                        ; implicit-def: $sgpr15
	s_branch .LBB80_37
.LBB80_36:                              ;   in Loop: Header=BB80_37 Depth=2
	s_or_b32 exec_lo, exec_lo, s18
	s_delay_alu instid0(SALU_CYCLE_1) | instskip(NEXT) | instid1(SALU_CYCLE_1)
	s_and_b32 s16, exec_lo, s17
	s_or_b32 s13, s16, s13
	s_and_not1_b32 s14, s14, exec_lo
	s_and_b32 s16, s15, exec_lo
	s_delay_alu instid0(SALU_CYCLE_1)
	s_or_b32 s14, s14, s16
	s_and_not1_b32 exec_lo, exec_lo, s13
	s_cbranch_execz .LBB80_43
.LBB80_37:                              ;   Parent Loop BB80_34 Depth=1
                                        ; =>  This Inner Loop Header: Depth=2
	v_mov_b64_e32 v[10:11], v[6:7]
	s_mov_b32 s16, 0
	s_mov_b32 s17, exec_lo
                                        ; implicit-def: $vgpr6_vgpr7
	v_cmpx_ne_u64_e64 s[26:27], v[12:13]
	s_xor_b32 s17, exec_lo, s17
; %bb.38:                               ;   in Loop: Header=BB80_37 Depth=2
	s_delay_alu instid0(VALU_DEP_2) | instskip(SKIP_1) | instid1(VALU_DEP_1)
	v_add_nc_u32_e32 v6, 1, v10
	s_mov_b32 s16, exec_lo
                                        ; implicit-def: $vgpr15
	v_and_b32_e32 v6, 15, v6
; %bb.39:                               ;   in Loop: Header=BB80_37 Depth=2
	s_and_not1_saveexec_b32 s17, s17
	s_cbranch_execz .LBB80_41
; %bb.40:                               ;   in Loop: Header=BB80_37 Depth=2
	v_mov_b64_e32 v[6:7], s[26:27]
	s_and_not1_b32 s16, s16, exec_lo
	ds_cmpstore_rtn_b64 v[6:7], v15, v[8:9], v[6:7]
	s_wait_dscnt 0x0
	v_cmp_ne_u64_e32 vcc_lo, s[26:27], v[6:7]
	v_mov_b64_e32 v[6:7], v[10:11]
	s_and_b32 s18, vcc_lo, exec_lo
	s_delay_alu instid0(SALU_CYCLE_1)
	s_or_b32 s16, s16, s18
.LBB80_41:                              ;   in Loop: Header=BB80_37 Depth=2
	s_or_b32 exec_lo, exec_lo, s17
	s_mov_b32 s17, -1
	s_or_b32 s15, s15, exec_lo
                                        ; implicit-def: $vgpr15
                                        ; implicit-def: $vgpr12_vgpr13
	s_and_saveexec_b32 s18, s16
	s_cbranch_execz .LBB80_36
; %bb.42:                               ;   in Loop: Header=BB80_37 Depth=2
	v_lshl_add_u32 v15, v6, 3, v23
	s_and_not1_b32 s15, s15, exec_lo
	ds_load_b64 v[12:13], v15
	s_wait_dscnt 0x0
	v_cmp_eq_u64_e32 vcc_lo, v[12:13], v[8:9]
	s_or_not1_b32 s17, vcc_lo, exec_lo
	s_branch .LBB80_36
.LBB80_43:                              ;   in Loop: Header=BB80_34 Depth=1
	s_or_b32 exec_lo, exec_lo, s13
	s_and_saveexec_b32 s13, s14
	s_delay_alu instid0(SALU_CYCLE_1)
	s_xor_b32 s13, exec_lo, s13
	s_cbranch_execz .LBB80_32
; %bb.44:                               ;   in Loop: Header=BB80_34 Depth=1
	v_mov_b32_e32 v6, v10
	s_branch .LBB80_32
.LBB80_45:
	s_or_b32 exec_lo, exec_lo, s4
.LBB80_46:
	s_wait_loadcnt 0x0
	v_lshl_add_u64 v[0:1], v[4:5], 3, s[10:11]
	s_wait_dscnt 0x0
	s_mov_b32 s23, 0
	v_mov_b32_e32 v3, 0
	global_load_b64 v[0:1], v[0:1], off
	s_wait_loadcnt 0x0
	v_sub_nc_u64_e64 v[0:1], v[0:1], s[22:23]
	s_delay_alu instid0(VALU_DEP_1)
	v_lshl_add_u64 v[0:1], v[0:1], 2, s[2:3]
	s_branch .LBB80_48
.LBB80_47:                              ;   in Loop: Header=BB80_48 Depth=1
	s_wait_xcnt 0x0
	s_or_b32 exec_lo, exec_lo, s0
	v_add_co_u32 v22, s0, v22, 8
	s_xor_b32 s0, s0, -1
	v_dual_add_nc_u32 v21, 32, v21 :: v_dual_add_nc_u32 v20, 64, v20
	s_and_b32 s0, exec_lo, s0
	s_delay_alu instid0(SALU_CYCLE_1) | instskip(NEXT) | instid1(SALU_CYCLE_1)
	s_or_b32 s23, s0, s23
	s_and_not1_b32 exec_lo, exec_lo, s23
	s_cbranch_execz .LBB80_50
.LBB80_48:                              ; =>This Inner Loop Header: Depth=1
	ds_load_b64 v[4:5], v20
	s_mov_b32 s0, exec_lo
	s_wait_dscnt 0x0
	v_cmpx_gt_i64_e64 s[26:27], v[4:5]
	s_cbranch_execz .LBB80_47
; %bb.49:                               ;   in Loop: Header=BB80_48 Depth=1
	ds_load_b128 v[6:9], v23
	ds_load_b128 v[10:13], v23 offset:16
	ds_load_b128 v[14:17], v23 offset:32
	s_wait_dscnt 0x2
	v_cmp_gt_i64_e32 vcc_lo, v[4:5], v[6:7]
	v_cndmask_b32_e64 v2, 0, 1, vcc_lo
	v_cmp_gt_i64_e32 vcc_lo, v[4:5], v[8:9]
	s_delay_alu instid0(VALU_DEP_2) | instskip(SKIP_3) | instid1(VALU_DEP_3)
	v_lshlrev_b32_e32 v2, 2, v2
	v_cndmask_b32_e64 v8, 0, 1, vcc_lo
	s_wait_dscnt 0x1
	v_cmp_gt_i64_e32 vcc_lo, v[4:5], v[10:11]
	v_add_nc_u64_e32 v[6:7], v[0:1], v[2:3]
	s_delay_alu instid0(VALU_DEP_3) | instskip(SKIP_2) | instid1(VALU_DEP_3)
	v_lshlrev_b32_e32 v2, 2, v8
	v_cndmask_b32_e64 v18, 0, 1, vcc_lo
	v_cmp_gt_i64_e32 vcc_lo, v[4:5], v[12:13]
	v_add_nc_u64_e32 v[10:11], v[6:7], v[2:3]
	ds_load_b128 v[6:9], v23 offset:48
	v_lshlrev_b32_e32 v2, 2, v18
	v_cndmask_b32_e64 v12, 0, 1, vcc_lo
	s_wait_dscnt 0x1
	v_cmp_gt_i64_e32 vcc_lo, v[4:5], v[14:15]
	s_delay_alu instid0(VALU_DEP_3) | instskip(NEXT) | instid1(VALU_DEP_3)
	v_add_nc_u64_e32 v[10:11], v[10:11], v[2:3]
	v_lshlrev_b32_e32 v2, 2, v12
	v_cndmask_b32_e64 v18, 0, 1, vcc_lo
	v_cmp_gt_i64_e32 vcc_lo, v[4:5], v[16:17]
	s_delay_alu instid0(VALU_DEP_3)
	v_add_nc_u64_e32 v[14:15], v[10:11], v[2:3]
	ds_load_b128 v[10:13], v23 offset:64
	v_lshlrev_b32_e32 v2, 2, v18
	v_cndmask_b32_e64 v16, 0, 1, vcc_lo
	s_wait_dscnt 0x1
	v_cmp_gt_i64_e32 vcc_lo, v[4:5], v[6:7]
	s_delay_alu instid0(VALU_DEP_3) | instskip(NEXT) | instid1(VALU_DEP_3)
	v_add_nc_u64_e32 v[14:15], v[14:15], v[2:3]
	v_lshlrev_b32_e32 v2, 2, v16
	v_cndmask_b32_e64 v18, 0, 1, vcc_lo
	v_cmp_gt_i64_e32 vcc_lo, v[4:5], v[8:9]
	s_delay_alu instid0(VALU_DEP_3)
	;; [unrolled: 12-line block ×5, first 2 shown]
	v_add_nc_u64_e32 v[6:7], v[14:15], v[2:3]
	ds_load_b32 v9, v21
	v_lshlrev_b32_e32 v2, 2, v16
	v_cndmask_b32_e64 v8, 0, 1, vcc_lo
	s_wait_dscnt 0x1
	v_cmp_gt_i64_e32 vcc_lo, v[4:5], v[10:11]
	s_delay_alu instid0(VALU_DEP_3) | instskip(NEXT) | instid1(VALU_DEP_3)
	v_add_nc_u64_e32 v[6:7], v[6:7], v[2:3]
	v_lshlrev_b32_e32 v2, 2, v8
	v_cndmask_b32_e64 v8, 0, 1, vcc_lo
	v_cmp_gt_i64_e32 vcc_lo, v[4:5], v[12:13]
	s_delay_alu instid0(VALU_DEP_3) | instskip(NEXT) | instid1(VALU_DEP_3)
	v_add_nc_u64_e32 v[6:7], v[6:7], v[2:3]
	v_lshlrev_b32_e32 v2, 2, v8
	v_cndmask_b32_e64 v8, 0, 1, vcc_lo
	s_delay_alu instid0(VALU_DEP_2) | instskip(NEXT) | instid1(VALU_DEP_2)
	v_add_nc_u64_e32 v[4:5], v[6:7], v[2:3]
	v_lshlrev_b32_e32 v2, 2, v8
	s_delay_alu instid0(VALU_DEP_1)
	v_add_nc_u64_e32 v[4:5], v[4:5], v[2:3]
	s_wait_dscnt 0x0
	global_store_b32 v[4:5], v9, off
	s_branch .LBB80_47
.LBB80_50:
	s_endpgm
	.section	.rodata,"a",@progbits
	.p2align	6, 0x0
	.amdhsa_kernel _ZN9rocsparseL38csrgemm_numeric_fill_wf_per_row_kernelILj256ELj8ELj16ELj137EllfEEvT4_S1_PKS1_S3_NS_24const_host_device_scalarIT5_EEPKT3_S3_PKS5_S9_S3_SB_S6_S9_S3_SB_S9_S3_PS5_21rocsparse_index_base_SD_SD_SD_bbb
		.amdhsa_group_segment_fixed_size 6144
		.amdhsa_private_segment_fixed_size 0
		.amdhsa_kernarg_size 164
		.amdhsa_user_sgpr_count 2
		.amdhsa_user_sgpr_dispatch_ptr 0
		.amdhsa_user_sgpr_queue_ptr 0
		.amdhsa_user_sgpr_kernarg_segment_ptr 1
		.amdhsa_user_sgpr_dispatch_id 0
		.amdhsa_user_sgpr_kernarg_preload_length 0
		.amdhsa_user_sgpr_kernarg_preload_offset 0
		.amdhsa_user_sgpr_private_segment_size 0
		.amdhsa_wavefront_size32 1
		.amdhsa_uses_dynamic_stack 0
		.amdhsa_enable_private_segment 0
		.amdhsa_system_sgpr_workgroup_id_x 1
		.amdhsa_system_sgpr_workgroup_id_y 0
		.amdhsa_system_sgpr_workgroup_id_z 0
		.amdhsa_system_sgpr_workgroup_info 0
		.amdhsa_system_vgpr_workitem_id 0
		.amdhsa_next_free_vgpr 27
		.amdhsa_next_free_sgpr 43
		.amdhsa_named_barrier_count 0
		.amdhsa_reserve_vcc 1
		.amdhsa_float_round_mode_32 0
		.amdhsa_float_round_mode_16_64 0
		.amdhsa_float_denorm_mode_32 3
		.amdhsa_float_denorm_mode_16_64 3
		.amdhsa_fp16_overflow 0
		.amdhsa_memory_ordered 1
		.amdhsa_forward_progress 1
		.amdhsa_inst_pref_size 19
		.amdhsa_round_robin_scheduling 0
		.amdhsa_exception_fp_ieee_invalid_op 0
		.amdhsa_exception_fp_denorm_src 0
		.amdhsa_exception_fp_ieee_div_zero 0
		.amdhsa_exception_fp_ieee_overflow 0
		.amdhsa_exception_fp_ieee_underflow 0
		.amdhsa_exception_fp_ieee_inexact 0
		.amdhsa_exception_int_div_zero 0
	.end_amdhsa_kernel
	.section	.text._ZN9rocsparseL38csrgemm_numeric_fill_wf_per_row_kernelILj256ELj8ELj16ELj137EllfEEvT4_S1_PKS1_S3_NS_24const_host_device_scalarIT5_EEPKT3_S3_PKS5_S9_S3_SB_S6_S9_S3_SB_S9_S3_PS5_21rocsparse_index_base_SD_SD_SD_bbb,"axG",@progbits,_ZN9rocsparseL38csrgemm_numeric_fill_wf_per_row_kernelILj256ELj8ELj16ELj137EllfEEvT4_S1_PKS1_S3_NS_24const_host_device_scalarIT5_EEPKT3_S3_PKS5_S9_S3_SB_S6_S9_S3_SB_S9_S3_PS5_21rocsparse_index_base_SD_SD_SD_bbb,comdat
.Lfunc_end80:
	.size	_ZN9rocsparseL38csrgemm_numeric_fill_wf_per_row_kernelILj256ELj8ELj16ELj137EllfEEvT4_S1_PKS1_S3_NS_24const_host_device_scalarIT5_EEPKT3_S3_PKS5_S9_S3_SB_S6_S9_S3_SB_S9_S3_PS5_21rocsparse_index_base_SD_SD_SD_bbb, .Lfunc_end80-_ZN9rocsparseL38csrgemm_numeric_fill_wf_per_row_kernelILj256ELj8ELj16ELj137EllfEEvT4_S1_PKS1_S3_NS_24const_host_device_scalarIT5_EEPKT3_S3_PKS5_S9_S3_SB_S6_S9_S3_SB_S9_S3_PS5_21rocsparse_index_base_SD_SD_SD_bbb
                                        ; -- End function
	.set _ZN9rocsparseL38csrgemm_numeric_fill_wf_per_row_kernelILj256ELj8ELj16ELj137EllfEEvT4_S1_PKS1_S3_NS_24const_host_device_scalarIT5_EEPKT3_S3_PKS5_S9_S3_SB_S6_S9_S3_SB_S9_S3_PS5_21rocsparse_index_base_SD_SD_SD_bbb.num_vgpr, 27
	.set _ZN9rocsparseL38csrgemm_numeric_fill_wf_per_row_kernelILj256ELj8ELj16ELj137EllfEEvT4_S1_PKS1_S3_NS_24const_host_device_scalarIT5_EEPKT3_S3_PKS5_S9_S3_SB_S6_S9_S3_SB_S9_S3_PS5_21rocsparse_index_base_SD_SD_SD_bbb.num_agpr, 0
	.set _ZN9rocsparseL38csrgemm_numeric_fill_wf_per_row_kernelILj256ELj8ELj16ELj137EllfEEvT4_S1_PKS1_S3_NS_24const_host_device_scalarIT5_EEPKT3_S3_PKS5_S9_S3_SB_S6_S9_S3_SB_S9_S3_PS5_21rocsparse_index_base_SD_SD_SD_bbb.numbered_sgpr, 43
	.set _ZN9rocsparseL38csrgemm_numeric_fill_wf_per_row_kernelILj256ELj8ELj16ELj137EllfEEvT4_S1_PKS1_S3_NS_24const_host_device_scalarIT5_EEPKT3_S3_PKS5_S9_S3_SB_S6_S9_S3_SB_S9_S3_PS5_21rocsparse_index_base_SD_SD_SD_bbb.num_named_barrier, 0
	.set _ZN9rocsparseL38csrgemm_numeric_fill_wf_per_row_kernelILj256ELj8ELj16ELj137EllfEEvT4_S1_PKS1_S3_NS_24const_host_device_scalarIT5_EEPKT3_S3_PKS5_S9_S3_SB_S6_S9_S3_SB_S9_S3_PS5_21rocsparse_index_base_SD_SD_SD_bbb.private_seg_size, 0
	.set _ZN9rocsparseL38csrgemm_numeric_fill_wf_per_row_kernelILj256ELj8ELj16ELj137EllfEEvT4_S1_PKS1_S3_NS_24const_host_device_scalarIT5_EEPKT3_S3_PKS5_S9_S3_SB_S6_S9_S3_SB_S9_S3_PS5_21rocsparse_index_base_SD_SD_SD_bbb.uses_vcc, 1
	.set _ZN9rocsparseL38csrgemm_numeric_fill_wf_per_row_kernelILj256ELj8ELj16ELj137EllfEEvT4_S1_PKS1_S3_NS_24const_host_device_scalarIT5_EEPKT3_S3_PKS5_S9_S3_SB_S6_S9_S3_SB_S9_S3_PS5_21rocsparse_index_base_SD_SD_SD_bbb.uses_flat_scratch, 0
	.set _ZN9rocsparseL38csrgemm_numeric_fill_wf_per_row_kernelILj256ELj8ELj16ELj137EllfEEvT4_S1_PKS1_S3_NS_24const_host_device_scalarIT5_EEPKT3_S3_PKS5_S9_S3_SB_S6_S9_S3_SB_S9_S3_PS5_21rocsparse_index_base_SD_SD_SD_bbb.has_dyn_sized_stack, 0
	.set _ZN9rocsparseL38csrgemm_numeric_fill_wf_per_row_kernelILj256ELj8ELj16ELj137EllfEEvT4_S1_PKS1_S3_NS_24const_host_device_scalarIT5_EEPKT3_S3_PKS5_S9_S3_SB_S6_S9_S3_SB_S9_S3_PS5_21rocsparse_index_base_SD_SD_SD_bbb.has_recursion, 0
	.set _ZN9rocsparseL38csrgemm_numeric_fill_wf_per_row_kernelILj256ELj8ELj16ELj137EllfEEvT4_S1_PKS1_S3_NS_24const_host_device_scalarIT5_EEPKT3_S3_PKS5_S9_S3_SB_S6_S9_S3_SB_S9_S3_PS5_21rocsparse_index_base_SD_SD_SD_bbb.has_indirect_call, 0
	.section	.AMDGPU.csdata,"",@progbits
; Kernel info:
; codeLenInByte = 2352
; TotalNumSgprs: 45
; NumVgprs: 27
; ScratchSize: 0
; MemoryBound: 0
; FloatMode: 240
; IeeeMode: 1
; LDSByteSize: 6144 bytes/workgroup (compile time only)
; SGPRBlocks: 0
; VGPRBlocks: 1
; NumSGPRsForWavesPerEU: 45
; NumVGPRsForWavesPerEU: 27
; NamedBarCnt: 0
; Occupancy: 16
; WaveLimiterHint : 1
; COMPUTE_PGM_RSRC2:SCRATCH_EN: 0
; COMPUTE_PGM_RSRC2:USER_SGPR: 2
; COMPUTE_PGM_RSRC2:TRAP_HANDLER: 0
; COMPUTE_PGM_RSRC2:TGID_X_EN: 1
; COMPUTE_PGM_RSRC2:TGID_Y_EN: 0
; COMPUTE_PGM_RSRC2:TGID_Z_EN: 0
; COMPUTE_PGM_RSRC2:TIDIG_COMP_CNT: 0
	.section	.text._ZN9rocsparseL38csrgemm_numeric_fill_wf_per_row_kernelILj256ELj16ELj32ELj137EllfEEvT4_S1_PKS1_S3_NS_24const_host_device_scalarIT5_EEPKT3_S3_PKS5_S9_S3_SB_S6_S9_S3_SB_S9_S3_PS5_21rocsparse_index_base_SD_SD_SD_bbb,"axG",@progbits,_ZN9rocsparseL38csrgemm_numeric_fill_wf_per_row_kernelILj256ELj16ELj32ELj137EllfEEvT4_S1_PKS1_S3_NS_24const_host_device_scalarIT5_EEPKT3_S3_PKS5_S9_S3_SB_S6_S9_S3_SB_S9_S3_PS5_21rocsparse_index_base_SD_SD_SD_bbb,comdat
	.globl	_ZN9rocsparseL38csrgemm_numeric_fill_wf_per_row_kernelILj256ELj16ELj32ELj137EllfEEvT4_S1_PKS1_S3_NS_24const_host_device_scalarIT5_EEPKT3_S3_PKS5_S9_S3_SB_S6_S9_S3_SB_S9_S3_PS5_21rocsparse_index_base_SD_SD_SD_bbb ; -- Begin function _ZN9rocsparseL38csrgemm_numeric_fill_wf_per_row_kernelILj256ELj16ELj32ELj137EllfEEvT4_S1_PKS1_S3_NS_24const_host_device_scalarIT5_EEPKT3_S3_PKS5_S9_S3_SB_S6_S9_S3_SB_S9_S3_PS5_21rocsparse_index_base_SD_SD_SD_bbb
	.p2align	8
	.type	_ZN9rocsparseL38csrgemm_numeric_fill_wf_per_row_kernelILj256ELj16ELj32ELj137EllfEEvT4_S1_PKS1_S3_NS_24const_host_device_scalarIT5_EEPKT3_S3_PKS5_S9_S3_SB_S6_S9_S3_SB_S9_S3_PS5_21rocsparse_index_base_SD_SD_SD_bbb,@function
_ZN9rocsparseL38csrgemm_numeric_fill_wf_per_row_kernelILj256ELj16ELj32ELj137EllfEEvT4_S1_PKS1_S3_NS_24const_host_device_scalarIT5_EEPKT3_S3_PKS5_S9_S3_SB_S6_S9_S3_SB_S9_S3_PS5_21rocsparse_index_base_SD_SD_SD_bbb: ; @_ZN9rocsparseL38csrgemm_numeric_fill_wf_per_row_kernelILj256ELj16ELj32ELj137EllfEEvT4_S1_PKS1_S3_NS_24const_host_device_scalarIT5_EEPKT3_S3_PKS5_S9_S3_SB_S6_S9_S3_SB_S9_S3_PS5_21rocsparse_index_base_SD_SD_SD_bbb
; %bb.0:
	s_clause 0x3
	s_load_b32 s6, s[0:1], 0xa0
	s_load_b64 s[4:5], s[0:1], 0x20
	s_load_b128 s[20:23], s[0:1], 0x90
	s_load_b64 s[2:3], s[0:1], 0x58
	s_wait_kmcnt 0x0
	s_and_b32 s8, 1, s6
	s_bitcmp1_b32 s6, 16
	s_cselect_b32 s7, -1, 0
	s_cmp_eq_u32 s8, 1
	s_cselect_b32 s40, -1, 0
	s_delay_alu instid0(SALU_CYCLE_1) | instskip(SKIP_2) | instid1(SALU_CYCLE_1)
	s_and_b32 s8, s40, exec_lo
	s_cselect_b32 s38, s4, 0
	s_xor_b32 s8, s40, -1
	s_or_b32 s8, s7, s8
	s_delay_alu instid0(SALU_CYCLE_1)
	s_and_b32 vcc_lo, exec_lo, s8
	s_cbranch_vccnz .LBB81_2
; %bb.1:
	s_load_b32 s38, s[4:5], 0x0
.LBB81_2:
	s_load_b64 s[34:35], s[0:1], 0x10
	s_bitcmp1_b32 s6, 8
	s_cselect_b32 s39, -1, 0
	s_wait_xcnt 0x0
	s_and_b32 s4, s39, exec_lo
	s_cselect_b32 s33, s2, 0
	s_xor_b32 s4, s39, -1
	s_delay_alu instid0(SALU_CYCLE_1) | instskip(NEXT) | instid1(SALU_CYCLE_1)
	s_or_b32 s4, s7, s4
	s_and_b32 vcc_lo, exec_lo, s4
	s_cbranch_vccnz .LBB81_4
; %bb.3:
	s_load_b32 s33, s[2:3], 0x0
.LBB81_4:
	s_clause 0x1
	s_load_b64 s[36:37], s[0:1], 0x18
	s_load_b128 s[24:27], s[0:1], 0x0
	s_wait_xcnt 0x0
	s_clause 0x3
	s_load_b64 s[2:3], s[0:1], 0x88
	s_load_b256 s[4:11], s[0:1], 0x60
	s_load_b128 s[28:31], s[0:1], 0x48
	s_load_b256 s[12:19], s[0:1], 0x28
	v_dual_lshrrev_b32 v2, 4, v0 :: v_dual_bitop2_b32 v6, 15, v0 bitop3:0x40
	s_wait_xcnt 0x0
	s_mov_b32 s0, 0
	s_delay_alu instid0(VALU_DEP_1) | instskip(NEXT) | instid1(VALU_DEP_2)
	v_lshlrev_b32_e32 v0, 7, v2
	v_dual_lshlrev_b32 v1, 3, v6 :: v_dual_lshlrev_b32 v3, 2, v6
	s_delay_alu instid0(VALU_DEP_1) | instskip(NEXT) | instid1(VALU_DEP_2)
	v_lshl_or_b32 v20, v2, 8, v1
	v_or3_b32 v21, v0, v3, 0x1000
	v_dual_mov_b32 v3, 0 :: v_dual_bitop2_b32 v22, -16, v6 bitop3:0x54
	s_delay_alu instid0(VALU_DEP_3) | instskip(SKIP_2) | instid1(VALU_DEP_3)
	v_mov_b32_e32 v4, v20
	s_wait_kmcnt 0x0
	v_mov_b64_e32 v[0:1], s[26:27]
	v_dual_mov_b32 v5, v21 :: v_dual_mov_b32 v7, v22
.LBB81_5:                               ; =>This Inner Loop Header: Depth=1
	s_delay_alu instid0(VALU_DEP_1)
	v_add_co_u32 v7, s1, v7, 16
	s_xor_b32 s1, s1, -1
	ds_store_b64 v4, v[0:1]
	ds_store_b32 v5, v3
	v_add_nc_u32_e32 v5, 64, v5
	v_add_nc_u32_e32 v4, 0x80, v4
	s_and_b32 s1, exec_lo, s1
	s_delay_alu instid0(SALU_CYCLE_1) | instskip(NEXT) | instid1(SALU_CYCLE_1)
	s_or_b32 s0, s1, s0
	s_and_not1_b32 exec_lo, exec_lo, s0
	s_cbranch_execnz .LBB81_5
; %bb.6:
	s_or_b32 exec_lo, exec_lo, s0
	s_bfe_u32 s0, ttmp6, 0x4000c
	s_and_b32 s1, ttmp6, 15
	s_add_co_i32 s0, s0, 1
	s_getreg_b32 s41, hwreg(HW_REG_IB_STS2, 6, 4)
	s_mul_i32 s0, ttmp9, s0
	v_mov_b32_e32 v5, 0
	s_add_co_i32 s1, s1, s0
	s_cmp_eq_u32 s41, 0
	s_wait_dscnt 0x0
	s_cselect_b32 s0, ttmp9, s1
	s_delay_alu instid0(SALU_CYCLE_1) | instskip(NEXT) | instid1(SALU_CYCLE_1)
	s_lshl_b32 s0, s0, 4
	v_and_or_b32 v4, 0xffffff0, s0, v2
	s_mov_b32 s0, exec_lo
	s_delay_alu instid0(VALU_DEP_1)
	v_cmpx_gt_i64_e64 s[24:25], v[4:5]
	s_cbranch_execz .LBB81_50
; %bb.7:
	s_cmp_eq_u64 s[36:37], 0
	s_cbranch_scc1 .LBB81_9
; %bb.8:
	s_load_b64 s[0:1], s[34:35], 0x0
	s_wait_kmcnt 0x0
	s_lshl_b64 s[0:1], s[0:1], 3
	s_delay_alu instid0(SALU_CYCLE_1)
	s_add_nc_u64 s[0:1], s[36:37], s[0:1]
	global_load_b64 v[4:5], v4, s[0:1] scale_offset
.LBB81_9:
	v_lshlrev_b32_e32 v23, 8, v2
	v_lshl_or_b32 v24, v2, 7, 0x1000
	s_and_not1_b32 vcc_lo, exec_lo, s40
	s_cbranch_vccnz .LBB81_29
; %bb.10:
	s_wait_loadcnt 0x0
	v_lshl_add_u64 v[0:1], v[4:5], 3, s[12:13]
	v_mov_b32_e32 v7, 0
	s_mov_b32 s1, 0
	s_mov_b32 s0, s20
	s_mov_b32 s20, exec_lo
	global_load_b128 v[0:3], v[0:1], off
	v_sub_nc_u64_e64 v[10:11], v[6:7], s[0:1]
	s_wait_loadcnt 0x0
	v_sub_nc_u64_e64 v[8:9], v[2:3], s[0:1]
	s_delay_alu instid0(VALU_DEP_2) | instskip(NEXT) | instid1(VALU_DEP_1)
	v_add_nc_u64_e32 v[10:11], v[0:1], v[10:11]
	v_cmpx_lt_i64_e64 v[10:11], v[8:9]
	s_cbranch_execz .LBB81_28
; %bb.11:
	s_mov_b32 s12, s21
	s_mov_b32 s13, s1
	;; [unrolled: 1-line block ×3, first 2 shown]
	s_branch .LBB81_13
.LBB81_12:                              ;   in Loop: Header=BB81_13 Depth=1
	s_or_b32 exec_lo, exec_lo, s24
	v_add_nc_u64_e32 v[10:11], 16, v[10:11]
	s_delay_alu instid0(VALU_DEP_1) | instskip(SKIP_1) | instid1(SALU_CYCLE_1)
	v_cmp_ge_i64_e32 vcc_lo, v[10:11], v[8:9]
	s_or_b32 s21, vcc_lo, s21
	s_and_not1_b32 exec_lo, exec_lo, s21
	s_cbranch_execz .LBB81_28
.LBB81_13:                              ; =>This Loop Header: Depth=1
                                        ;     Child Loop BB81_17 Depth 2
                                        ;       Child Loop BB81_20 Depth 3
	v_lshl_add_u64 v[0:1], v[10:11], 3, s[14:15]
	s_mov_b32 s24, exec_lo
	global_load_b64 v[0:1], v[0:1], off
	s_wait_loadcnt 0x0
	s_wait_xcnt 0x0
	v_sub_nc_u64_e64 v[0:1], v[0:1], s[0:1]
	s_delay_alu instid0(VALU_DEP_1)
	v_lshl_add_u64 v[0:1], v[0:1], 3, s[18:19]
	global_load_b128 v[0:3], v[0:1], off
	s_wait_loadcnt 0x0
	s_wait_xcnt 0x0
	v_cmpx_lt_i64_e64 v[0:1], v[2:3]
	s_cbranch_execz .LBB81_12
; %bb.14:                               ;   in Loop: Header=BB81_13 Depth=1
	v_lshl_add_u64 v[12:13], v[10:11], 2, s[16:17]
	v_sub_nc_u64_e64 v[2:3], v[2:3], s[12:13]
	v_sub_nc_u64_e64 v[0:1], v[0:1], s[12:13]
	s_mov_b32 s25, 0
	global_load_b32 v7, v[12:13], off
	s_wait_loadcnt 0x0
	v_mul_f32_e32 v7, s38, v7
	s_branch .LBB81_17
.LBB81_15:                              ;   in Loop: Header=BB81_17 Depth=2
	s_or_b32 exec_lo, exec_lo, s35
.LBB81_16:                              ;   in Loop: Header=BB81_17 Depth=2
	s_delay_alu instid0(SALU_CYCLE_1)
	s_or_b32 exec_lo, exec_lo, s34
	s_wait_loadcnt 0x0
	v_mul_f32_e32 v13, v7, v25
	v_lshl_add_u32 v12, v12, 2, v24
	v_add_nc_u64_e32 v[0:1], 1, v[0:1]
	ds_add_f32 v12, v13
	v_cmp_ge_i64_e32 vcc_lo, v[0:1], v[2:3]
	s_or_b32 s25, vcc_lo, s25
	s_delay_alu instid0(SALU_CYCLE_1)
	s_and_not1_b32 exec_lo, exec_lo, s25
	s_cbranch_execz .LBB81_12
.LBB81_17:                              ;   Parent Loop BB81_13 Depth=1
                                        ; =>  This Loop Header: Depth=2
                                        ;       Child Loop BB81_20 Depth 3
	s_wait_xcnt 0x0
	v_lshl_add_u64 v[12:13], v[0:1], 3, s[28:29]
	v_lshl_add_u64 v[14:15], v[0:1], 2, s[30:31]
	s_mov_b32 s34, exec_lo
	global_load_b64 v[12:13], v[12:13], off
	global_load_b32 v25, v[14:15], off
	s_wait_loadcnt 0x1
	s_wait_xcnt 0x0
	v_sub_nc_u64_e64 v[14:15], v[12:13], s[12:13]
	s_delay_alu instid0(VALU_DEP_1) | instskip(NEXT) | instid1(VALU_DEP_1)
	v_lshl_add_u32 v12, v14, 3, v14
	v_and_b32_e32 v12, 31, v12
	s_delay_alu instid0(VALU_DEP_1)
	v_lshl_add_u32 v26, v12, 3, v23
	ds_load_b64 v[18:19], v26
	s_wait_dscnt 0x0
	v_cmpx_ne_u64_e64 v[18:19], v[14:15]
	s_cbranch_execz .LBB81_16
; %bb.18:                               ;   in Loop: Header=BB81_17 Depth=2
	s_mov_b32 s35, 0
                                        ; implicit-def: $sgpr36
                                        ; implicit-def: $sgpr37
	s_branch .LBB81_20
.LBB81_19:                              ;   in Loop: Header=BB81_20 Depth=3
	s_or_b32 exec_lo, exec_lo, s42
	s_delay_alu instid0(SALU_CYCLE_1) | instskip(NEXT) | instid1(SALU_CYCLE_1)
	s_and_b32 s40, exec_lo, s41
	s_or_b32 s35, s40, s35
	s_and_not1_b32 s36, s36, exec_lo
	s_and_b32 s40, s37, exec_lo
	s_delay_alu instid0(SALU_CYCLE_1)
	s_or_b32 s36, s36, s40
	s_and_not1_b32 exec_lo, exec_lo, s35
	s_cbranch_execz .LBB81_26
.LBB81_20:                              ;   Parent Loop BB81_13 Depth=1
                                        ;     Parent Loop BB81_17 Depth=2
                                        ; =>    This Inner Loop Header: Depth=3
	v_mov_b64_e32 v[16:17], v[12:13]
	s_mov_b32 s40, 0
	s_mov_b32 s41, exec_lo
                                        ; implicit-def: $vgpr12_vgpr13
	v_cmpx_ne_u64_e64 s[26:27], v[18:19]
	s_xor_b32 s41, exec_lo, s41
; %bb.21:                               ;   in Loop: Header=BB81_20 Depth=3
	s_delay_alu instid0(VALU_DEP_2) | instskip(SKIP_1) | instid1(VALU_DEP_1)
	v_add_nc_u32_e32 v12, 1, v16
	s_mov_b32 s40, exec_lo
                                        ; implicit-def: $vgpr26
	v_and_b32_e32 v12, 31, v12
; %bb.22:                               ;   in Loop: Header=BB81_20 Depth=3
	s_and_not1_saveexec_b32 s41, s41
	s_cbranch_execz .LBB81_24
; %bb.23:                               ;   in Loop: Header=BB81_20 Depth=3
	v_mov_b64_e32 v[12:13], s[26:27]
	s_and_not1_b32 s40, s40, exec_lo
	ds_cmpstore_rtn_b64 v[12:13], v26, v[14:15], v[12:13]
	s_wait_dscnt 0x0
	v_cmp_ne_u64_e32 vcc_lo, s[26:27], v[12:13]
	v_mov_b64_e32 v[12:13], v[16:17]
	s_and_b32 s42, vcc_lo, exec_lo
	s_delay_alu instid0(SALU_CYCLE_1)
	s_or_b32 s40, s40, s42
.LBB81_24:                              ;   in Loop: Header=BB81_20 Depth=3
	s_or_b32 exec_lo, exec_lo, s41
	s_mov_b32 s41, -1
	s_or_b32 s37, s37, exec_lo
                                        ; implicit-def: $vgpr26
                                        ; implicit-def: $vgpr18_vgpr19
	s_and_saveexec_b32 s42, s40
	s_cbranch_execz .LBB81_19
; %bb.25:                               ;   in Loop: Header=BB81_20 Depth=3
	v_lshl_add_u32 v26, v12, 3, v23
	s_and_not1_b32 s37, s37, exec_lo
	ds_load_b64 v[18:19], v26
	s_wait_dscnt 0x0
	v_cmp_eq_u64_e32 vcc_lo, v[18:19], v[14:15]
	s_or_not1_b32 s41, vcc_lo, exec_lo
	s_branch .LBB81_19
.LBB81_26:                              ;   in Loop: Header=BB81_17 Depth=2
	s_or_b32 exec_lo, exec_lo, s35
	s_and_saveexec_b32 s35, s36
	s_delay_alu instid0(SALU_CYCLE_1)
	s_xor_b32 s35, exec_lo, s35
	s_cbranch_execz .LBB81_15
; %bb.27:                               ;   in Loop: Header=BB81_17 Depth=2
	v_mov_b32_e32 v12, v16
	s_branch .LBB81_15
.LBB81_28:
	s_or_b32 exec_lo, exec_lo, s20
.LBB81_29:
	s_delay_alu instid0(SALU_CYCLE_1)
	s_and_not1_b32 vcc_lo, exec_lo, s39
	s_cbranch_vccnz .LBB81_46
; %bb.30:
	s_wait_loadcnt 0x0
	v_lshl_add_u64 v[0:1], v[4:5], 3, s[4:5]
	v_mov_b32_e32 v7, 0
	s_mov_b32 s1, 0
	s_mov_b32 s0, s23
	s_mov_b32 s4, exec_lo
	global_load_b128 v[8:11], v[0:1], off
	v_sub_nc_u64_e64 v[2:3], v[6:7], s[0:1]
	s_wait_loadcnt 0x0
	v_sub_nc_u64_e64 v[0:1], v[10:11], s[0:1]
	s_delay_alu instid0(VALU_DEP_2) | instskip(NEXT) | instid1(VALU_DEP_1)
	v_add_nc_u64_e32 v[2:3], v[8:9], v[2:3]
	v_cmpx_lt_i64_e64 v[2:3], v[0:1]
	s_cbranch_execz .LBB81_45
; %bb.31:
	s_mov_b32 s5, s1
	s_branch .LBB81_34
.LBB81_32:                              ;   in Loop: Header=BB81_34 Depth=1
	s_or_b32 exec_lo, exec_lo, s13
.LBB81_33:                              ;   in Loop: Header=BB81_34 Depth=1
	s_delay_alu instid0(SALU_CYCLE_1)
	s_or_b32 exec_lo, exec_lo, s12
	s_wait_loadcnt 0x0
	v_mul_f32_e32 v7, s33, v14
	v_lshl_add_u32 v6, v6, 2, v24
	v_add_nc_u64_e32 v[2:3], 16, v[2:3]
	ds_add_f32 v6, v7
	v_cmp_ge_i64_e32 vcc_lo, v[2:3], v[0:1]
	s_or_b32 s5, vcc_lo, s5
	s_delay_alu instid0(SALU_CYCLE_1)
	s_and_not1_b32 exec_lo, exec_lo, s5
	s_cbranch_execz .LBB81_45
.LBB81_34:                              ; =>This Loop Header: Depth=1
                                        ;     Child Loop BB81_37 Depth 2
	v_lshl_add_u64 v[6:7], v[2:3], 3, s[6:7]
	v_lshl_add_u64 v[8:9], v[2:3], 2, s[8:9]
	s_mov_b32 s12, exec_lo
	global_load_b64 v[6:7], v[6:7], off
	global_load_b32 v14, v[8:9], off
	s_wait_loadcnt 0x1
	s_wait_xcnt 0x0
	v_sub_nc_u64_e64 v[8:9], v[6:7], s[0:1]
	s_delay_alu instid0(VALU_DEP_1) | instskip(NEXT) | instid1(VALU_DEP_1)
	v_lshl_add_u32 v6, v8, 3, v8
	v_and_b32_e32 v6, 31, v6
	s_delay_alu instid0(VALU_DEP_1)
	v_lshl_add_u32 v15, v6, 3, v23
	ds_load_b64 v[12:13], v15
	s_wait_dscnt 0x0
	v_cmpx_ne_u64_e64 v[12:13], v[8:9]
	s_cbranch_execz .LBB81_33
; %bb.35:                               ;   in Loop: Header=BB81_34 Depth=1
	s_mov_b32 s13, 0
                                        ; implicit-def: $sgpr14
                                        ; implicit-def: $sgpr15
	s_branch .LBB81_37
.LBB81_36:                              ;   in Loop: Header=BB81_37 Depth=2
	s_or_b32 exec_lo, exec_lo, s18
	s_delay_alu instid0(SALU_CYCLE_1) | instskip(NEXT) | instid1(SALU_CYCLE_1)
	s_and_b32 s16, exec_lo, s17
	s_or_b32 s13, s16, s13
	s_and_not1_b32 s14, s14, exec_lo
	s_and_b32 s16, s15, exec_lo
	s_delay_alu instid0(SALU_CYCLE_1)
	s_or_b32 s14, s14, s16
	s_and_not1_b32 exec_lo, exec_lo, s13
	s_cbranch_execz .LBB81_43
.LBB81_37:                              ;   Parent Loop BB81_34 Depth=1
                                        ; =>  This Inner Loop Header: Depth=2
	v_mov_b64_e32 v[10:11], v[6:7]
	s_mov_b32 s16, 0
	s_mov_b32 s17, exec_lo
                                        ; implicit-def: $vgpr6_vgpr7
	v_cmpx_ne_u64_e64 s[26:27], v[12:13]
	s_xor_b32 s17, exec_lo, s17
; %bb.38:                               ;   in Loop: Header=BB81_37 Depth=2
	s_delay_alu instid0(VALU_DEP_2) | instskip(SKIP_1) | instid1(VALU_DEP_1)
	v_add_nc_u32_e32 v6, 1, v10
	s_mov_b32 s16, exec_lo
                                        ; implicit-def: $vgpr15
	v_and_b32_e32 v6, 31, v6
; %bb.39:                               ;   in Loop: Header=BB81_37 Depth=2
	s_and_not1_saveexec_b32 s17, s17
	s_cbranch_execz .LBB81_41
; %bb.40:                               ;   in Loop: Header=BB81_37 Depth=2
	v_mov_b64_e32 v[6:7], s[26:27]
	s_and_not1_b32 s16, s16, exec_lo
	ds_cmpstore_rtn_b64 v[6:7], v15, v[8:9], v[6:7]
	s_wait_dscnt 0x0
	v_cmp_ne_u64_e32 vcc_lo, s[26:27], v[6:7]
	v_mov_b64_e32 v[6:7], v[10:11]
	s_and_b32 s18, vcc_lo, exec_lo
	s_delay_alu instid0(SALU_CYCLE_1)
	s_or_b32 s16, s16, s18
.LBB81_41:                              ;   in Loop: Header=BB81_37 Depth=2
	s_or_b32 exec_lo, exec_lo, s17
	s_mov_b32 s17, -1
	s_or_b32 s15, s15, exec_lo
                                        ; implicit-def: $vgpr15
                                        ; implicit-def: $vgpr12_vgpr13
	s_and_saveexec_b32 s18, s16
	s_cbranch_execz .LBB81_36
; %bb.42:                               ;   in Loop: Header=BB81_37 Depth=2
	v_lshl_add_u32 v15, v6, 3, v23
	s_and_not1_b32 s15, s15, exec_lo
	ds_load_b64 v[12:13], v15
	s_wait_dscnt 0x0
	v_cmp_eq_u64_e32 vcc_lo, v[12:13], v[8:9]
	s_or_not1_b32 s17, vcc_lo, exec_lo
	s_branch .LBB81_36
.LBB81_43:                              ;   in Loop: Header=BB81_34 Depth=1
	s_or_b32 exec_lo, exec_lo, s13
	s_and_saveexec_b32 s13, s14
	s_delay_alu instid0(SALU_CYCLE_1)
	s_xor_b32 s13, exec_lo, s13
	s_cbranch_execz .LBB81_32
; %bb.44:                               ;   in Loop: Header=BB81_34 Depth=1
	v_mov_b32_e32 v6, v10
	s_branch .LBB81_32
.LBB81_45:
	s_or_b32 exec_lo, exec_lo, s4
.LBB81_46:
	s_wait_loadcnt 0x0
	v_lshl_add_u64 v[0:1], v[4:5], 3, s[10:11]
	s_wait_dscnt 0x0
	s_mov_b32 s23, 0
	v_mov_b32_e32 v3, 0
	global_load_b64 v[0:1], v[0:1], off
	s_wait_loadcnt 0x0
	v_sub_nc_u64_e64 v[0:1], v[0:1], s[22:23]
	s_delay_alu instid0(VALU_DEP_1)
	v_lshl_add_u64 v[0:1], v[0:1], 2, s[2:3]
	s_branch .LBB81_48
.LBB81_47:                              ;   in Loop: Header=BB81_48 Depth=1
	s_wait_xcnt 0x0
	s_or_b32 exec_lo, exec_lo, s0
	v_add_co_u32 v22, s0, v22, 16
	s_xor_b32 s0, s0, -1
	v_add_nc_u32_e32 v21, 64, v21
	v_add_nc_u32_e32 v20, 0x80, v20
	s_and_b32 s0, exec_lo, s0
	s_delay_alu instid0(SALU_CYCLE_1) | instskip(NEXT) | instid1(SALU_CYCLE_1)
	s_or_b32 s23, s0, s23
	s_and_not1_b32 exec_lo, exec_lo, s23
	s_cbranch_execz .LBB81_50
.LBB81_48:                              ; =>This Inner Loop Header: Depth=1
	ds_load_b64 v[4:5], v20
	s_mov_b32 s0, exec_lo
	s_wait_dscnt 0x0
	v_cmpx_gt_i64_e64 s[26:27], v[4:5]
	s_cbranch_execz .LBB81_47
; %bb.49:                               ;   in Loop: Header=BB81_48 Depth=1
	ds_load_b128 v[6:9], v23
	ds_load_b128 v[10:13], v23 offset:16
	ds_load_b128 v[14:17], v23 offset:32
	s_wait_dscnt 0x2
	v_cmp_gt_i64_e32 vcc_lo, v[4:5], v[6:7]
	v_cndmask_b32_e64 v2, 0, 1, vcc_lo
	v_cmp_gt_i64_e32 vcc_lo, v[4:5], v[8:9]
	s_delay_alu instid0(VALU_DEP_2) | instskip(SKIP_3) | instid1(VALU_DEP_3)
	v_lshlrev_b32_e32 v2, 2, v2
	v_cndmask_b32_e64 v8, 0, 1, vcc_lo
	s_wait_dscnt 0x1
	v_cmp_gt_i64_e32 vcc_lo, v[4:5], v[10:11]
	v_add_nc_u64_e32 v[6:7], v[0:1], v[2:3]
	s_delay_alu instid0(VALU_DEP_3) | instskip(SKIP_2) | instid1(VALU_DEP_3)
	v_lshlrev_b32_e32 v2, 2, v8
	v_cndmask_b32_e64 v18, 0, 1, vcc_lo
	v_cmp_gt_i64_e32 vcc_lo, v[4:5], v[12:13]
	v_add_nc_u64_e32 v[10:11], v[6:7], v[2:3]
	ds_load_b128 v[6:9], v23 offset:48
	v_lshlrev_b32_e32 v2, 2, v18
	v_cndmask_b32_e64 v12, 0, 1, vcc_lo
	s_wait_dscnt 0x1
	v_cmp_gt_i64_e32 vcc_lo, v[4:5], v[14:15]
	s_delay_alu instid0(VALU_DEP_3) | instskip(NEXT) | instid1(VALU_DEP_3)
	v_add_nc_u64_e32 v[10:11], v[10:11], v[2:3]
	v_lshlrev_b32_e32 v2, 2, v12
	v_cndmask_b32_e64 v18, 0, 1, vcc_lo
	v_cmp_gt_i64_e32 vcc_lo, v[4:5], v[16:17]
	s_delay_alu instid0(VALU_DEP_3)
	v_add_nc_u64_e32 v[14:15], v[10:11], v[2:3]
	ds_load_b128 v[10:13], v23 offset:64
	v_lshlrev_b32_e32 v2, 2, v18
	v_cndmask_b32_e64 v16, 0, 1, vcc_lo
	s_wait_dscnt 0x1
	v_cmp_gt_i64_e32 vcc_lo, v[4:5], v[6:7]
	s_delay_alu instid0(VALU_DEP_3) | instskip(NEXT) | instid1(VALU_DEP_3)
	v_add_nc_u64_e32 v[14:15], v[14:15], v[2:3]
	v_lshlrev_b32_e32 v2, 2, v16
	v_cndmask_b32_e64 v18, 0, 1, vcc_lo
	v_cmp_gt_i64_e32 vcc_lo, v[4:5], v[8:9]
	s_delay_alu instid0(VALU_DEP_3)
	;; [unrolled: 12-line block ×12, first 2 shown]
	v_add_nc_u64_e32 v[10:11], v[6:7], v[2:3]
	ds_load_b128 v[6:9], v23 offset:240
	v_lshlrev_b32_e32 v2, 2, v18
	v_cndmask_b32_e64 v12, 0, 1, vcc_lo
	s_wait_dscnt 0x1
	v_cmp_gt_i64_e32 vcc_lo, v[4:5], v[14:15]
	s_delay_alu instid0(VALU_DEP_3) | instskip(NEXT) | instid1(VALU_DEP_3)
	v_add_nc_u64_e32 v[10:11], v[10:11], v[2:3]
	v_lshlrev_b32_e32 v2, 2, v12
	v_cndmask_b32_e64 v12, 0, 1, vcc_lo
	v_cmp_gt_i64_e32 vcc_lo, v[4:5], v[16:17]
	s_delay_alu instid0(VALU_DEP_3) | instskip(NEXT) | instid1(VALU_DEP_3)
	v_add_nc_u64_e32 v[10:11], v[10:11], v[2:3]
	v_lshlrev_b32_e32 v2, 2, v12
	v_cndmask_b32_e64 v12, 0, 1, vcc_lo
	s_wait_dscnt 0x0
	v_cmp_gt_i64_e32 vcc_lo, v[4:5], v[6:7]
	s_delay_alu instid0(VALU_DEP_3) | instskip(NEXT) | instid1(VALU_DEP_3)
	v_add_nc_u64_e32 v[10:11], v[10:11], v[2:3]
	v_lshlrev_b32_e32 v2, 2, v12
	v_cndmask_b32_e64 v12, 0, 1, vcc_lo
	v_cmp_gt_i64_e32 vcc_lo, v[4:5], v[8:9]
	s_delay_alu instid0(VALU_DEP_3) | instskip(SKIP_3) | instid1(VALU_DEP_2)
	v_add_nc_u64_e32 v[6:7], v[10:11], v[2:3]
	ds_load_b32 v10, v21
	v_lshlrev_b32_e32 v2, 2, v12
	v_cndmask_b32_e64 v8, 0, 1, vcc_lo
	v_add_nc_u64_e32 v[4:5], v[6:7], v[2:3]
	s_delay_alu instid0(VALU_DEP_2) | instskip(NEXT) | instid1(VALU_DEP_1)
	v_lshlrev_b32_e32 v2, 2, v8
	v_add_nc_u64_e32 v[4:5], v[4:5], v[2:3]
	s_wait_dscnt 0x0
	global_store_b32 v[4:5], v10, off
	s_branch .LBB81_47
.LBB81_50:
	s_endpgm
	.section	.rodata,"a",@progbits
	.p2align	6, 0x0
	.amdhsa_kernel _ZN9rocsparseL38csrgemm_numeric_fill_wf_per_row_kernelILj256ELj16ELj32ELj137EllfEEvT4_S1_PKS1_S3_NS_24const_host_device_scalarIT5_EEPKT3_S3_PKS5_S9_S3_SB_S6_S9_S3_SB_S9_S3_PS5_21rocsparse_index_base_SD_SD_SD_bbb
		.amdhsa_group_segment_fixed_size 6144
		.amdhsa_private_segment_fixed_size 0
		.amdhsa_kernarg_size 164
		.amdhsa_user_sgpr_count 2
		.amdhsa_user_sgpr_dispatch_ptr 0
		.amdhsa_user_sgpr_queue_ptr 0
		.amdhsa_user_sgpr_kernarg_segment_ptr 1
		.amdhsa_user_sgpr_dispatch_id 0
		.amdhsa_user_sgpr_kernarg_preload_length 0
		.amdhsa_user_sgpr_kernarg_preload_offset 0
		.amdhsa_user_sgpr_private_segment_size 0
		.amdhsa_wavefront_size32 1
		.amdhsa_uses_dynamic_stack 0
		.amdhsa_enable_private_segment 0
		.amdhsa_system_sgpr_workgroup_id_x 1
		.amdhsa_system_sgpr_workgroup_id_y 0
		.amdhsa_system_sgpr_workgroup_id_z 0
		.amdhsa_system_sgpr_workgroup_info 0
		.amdhsa_system_vgpr_workitem_id 0
		.amdhsa_next_free_vgpr 27
		.amdhsa_next_free_sgpr 43
		.amdhsa_named_barrier_count 0
		.amdhsa_reserve_vcc 1
		.amdhsa_float_round_mode_32 0
		.amdhsa_float_round_mode_16_64 0
		.amdhsa_float_denorm_mode_32 3
		.amdhsa_float_denorm_mode_16_64 3
		.amdhsa_fp16_overflow 0
		.amdhsa_memory_ordered 1
		.amdhsa_forward_progress 1
		.amdhsa_inst_pref_size 23
		.amdhsa_round_robin_scheduling 0
		.amdhsa_exception_fp_ieee_invalid_op 0
		.amdhsa_exception_fp_denorm_src 0
		.amdhsa_exception_fp_ieee_div_zero 0
		.amdhsa_exception_fp_ieee_overflow 0
		.amdhsa_exception_fp_ieee_underflow 0
		.amdhsa_exception_fp_ieee_inexact 0
		.amdhsa_exception_int_div_zero 0
	.end_amdhsa_kernel
	.section	.text._ZN9rocsparseL38csrgemm_numeric_fill_wf_per_row_kernelILj256ELj16ELj32ELj137EllfEEvT4_S1_PKS1_S3_NS_24const_host_device_scalarIT5_EEPKT3_S3_PKS5_S9_S3_SB_S6_S9_S3_SB_S9_S3_PS5_21rocsparse_index_base_SD_SD_SD_bbb,"axG",@progbits,_ZN9rocsparseL38csrgemm_numeric_fill_wf_per_row_kernelILj256ELj16ELj32ELj137EllfEEvT4_S1_PKS1_S3_NS_24const_host_device_scalarIT5_EEPKT3_S3_PKS5_S9_S3_SB_S6_S9_S3_SB_S9_S3_PS5_21rocsparse_index_base_SD_SD_SD_bbb,comdat
.Lfunc_end81:
	.size	_ZN9rocsparseL38csrgemm_numeric_fill_wf_per_row_kernelILj256ELj16ELj32ELj137EllfEEvT4_S1_PKS1_S3_NS_24const_host_device_scalarIT5_EEPKT3_S3_PKS5_S9_S3_SB_S6_S9_S3_SB_S9_S3_PS5_21rocsparse_index_base_SD_SD_SD_bbb, .Lfunc_end81-_ZN9rocsparseL38csrgemm_numeric_fill_wf_per_row_kernelILj256ELj16ELj32ELj137EllfEEvT4_S1_PKS1_S3_NS_24const_host_device_scalarIT5_EEPKT3_S3_PKS5_S9_S3_SB_S6_S9_S3_SB_S9_S3_PS5_21rocsparse_index_base_SD_SD_SD_bbb
                                        ; -- End function
	.set _ZN9rocsparseL38csrgemm_numeric_fill_wf_per_row_kernelILj256ELj16ELj32ELj137EllfEEvT4_S1_PKS1_S3_NS_24const_host_device_scalarIT5_EEPKT3_S3_PKS5_S9_S3_SB_S6_S9_S3_SB_S9_S3_PS5_21rocsparse_index_base_SD_SD_SD_bbb.num_vgpr, 27
	.set _ZN9rocsparseL38csrgemm_numeric_fill_wf_per_row_kernelILj256ELj16ELj32ELj137EllfEEvT4_S1_PKS1_S3_NS_24const_host_device_scalarIT5_EEPKT3_S3_PKS5_S9_S3_SB_S6_S9_S3_SB_S9_S3_PS5_21rocsparse_index_base_SD_SD_SD_bbb.num_agpr, 0
	.set _ZN9rocsparseL38csrgemm_numeric_fill_wf_per_row_kernelILj256ELj16ELj32ELj137EllfEEvT4_S1_PKS1_S3_NS_24const_host_device_scalarIT5_EEPKT3_S3_PKS5_S9_S3_SB_S6_S9_S3_SB_S9_S3_PS5_21rocsparse_index_base_SD_SD_SD_bbb.numbered_sgpr, 43
	.set _ZN9rocsparseL38csrgemm_numeric_fill_wf_per_row_kernelILj256ELj16ELj32ELj137EllfEEvT4_S1_PKS1_S3_NS_24const_host_device_scalarIT5_EEPKT3_S3_PKS5_S9_S3_SB_S6_S9_S3_SB_S9_S3_PS5_21rocsparse_index_base_SD_SD_SD_bbb.num_named_barrier, 0
	.set _ZN9rocsparseL38csrgemm_numeric_fill_wf_per_row_kernelILj256ELj16ELj32ELj137EllfEEvT4_S1_PKS1_S3_NS_24const_host_device_scalarIT5_EEPKT3_S3_PKS5_S9_S3_SB_S6_S9_S3_SB_S9_S3_PS5_21rocsparse_index_base_SD_SD_SD_bbb.private_seg_size, 0
	.set _ZN9rocsparseL38csrgemm_numeric_fill_wf_per_row_kernelILj256ELj16ELj32ELj137EllfEEvT4_S1_PKS1_S3_NS_24const_host_device_scalarIT5_EEPKT3_S3_PKS5_S9_S3_SB_S6_S9_S3_SB_S9_S3_PS5_21rocsparse_index_base_SD_SD_SD_bbb.uses_vcc, 1
	.set _ZN9rocsparseL38csrgemm_numeric_fill_wf_per_row_kernelILj256ELj16ELj32ELj137EllfEEvT4_S1_PKS1_S3_NS_24const_host_device_scalarIT5_EEPKT3_S3_PKS5_S9_S3_SB_S6_S9_S3_SB_S9_S3_PS5_21rocsparse_index_base_SD_SD_SD_bbb.uses_flat_scratch, 0
	.set _ZN9rocsparseL38csrgemm_numeric_fill_wf_per_row_kernelILj256ELj16ELj32ELj137EllfEEvT4_S1_PKS1_S3_NS_24const_host_device_scalarIT5_EEPKT3_S3_PKS5_S9_S3_SB_S6_S9_S3_SB_S9_S3_PS5_21rocsparse_index_base_SD_SD_SD_bbb.has_dyn_sized_stack, 0
	.set _ZN9rocsparseL38csrgemm_numeric_fill_wf_per_row_kernelILj256ELj16ELj32ELj137EllfEEvT4_S1_PKS1_S3_NS_24const_host_device_scalarIT5_EEPKT3_S3_PKS5_S9_S3_SB_S6_S9_S3_SB_S9_S3_PS5_21rocsparse_index_base_SD_SD_SD_bbb.has_recursion, 0
	.set _ZN9rocsparseL38csrgemm_numeric_fill_wf_per_row_kernelILj256ELj16ELj32ELj137EllfEEvT4_S1_PKS1_S3_NS_24const_host_device_scalarIT5_EEPKT3_S3_PKS5_S9_S3_SB_S6_S9_S3_SB_S9_S3_PS5_21rocsparse_index_base_SD_SD_SD_bbb.has_indirect_call, 0
	.section	.AMDGPU.csdata,"",@progbits
; Kernel info:
; codeLenInByte = 2828
; TotalNumSgprs: 45
; NumVgprs: 27
; ScratchSize: 0
; MemoryBound: 0
; FloatMode: 240
; IeeeMode: 1
; LDSByteSize: 6144 bytes/workgroup (compile time only)
; SGPRBlocks: 0
; VGPRBlocks: 1
; NumSGPRsForWavesPerEU: 45
; NumVGPRsForWavesPerEU: 27
; NamedBarCnt: 0
; Occupancy: 16
; WaveLimiterHint : 1
; COMPUTE_PGM_RSRC2:SCRATCH_EN: 0
; COMPUTE_PGM_RSRC2:USER_SGPR: 2
; COMPUTE_PGM_RSRC2:TRAP_HANDLER: 0
; COMPUTE_PGM_RSRC2:TGID_X_EN: 1
; COMPUTE_PGM_RSRC2:TGID_Y_EN: 0
; COMPUTE_PGM_RSRC2:TGID_Z_EN: 0
; COMPUTE_PGM_RSRC2:TIDIG_COMP_CNT: 0
	.section	.text._ZN9rocsparseL41csrgemm_numeric_fill_block_per_row_kernelILj128ELj16ELj256ELj137ELj32EllfEEvT5_PKS1_S3_NS_24const_host_device_scalarIT6_EEPKT4_S3_PKS5_S9_S3_SB_S6_S9_S3_SB_S9_S3_PS5_21rocsparse_index_base_SD_SD_SD_bbb,"axG",@progbits,_ZN9rocsparseL41csrgemm_numeric_fill_block_per_row_kernelILj128ELj16ELj256ELj137ELj32EllfEEvT5_PKS1_S3_NS_24const_host_device_scalarIT6_EEPKT4_S3_PKS5_S9_S3_SB_S6_S9_S3_SB_S9_S3_PS5_21rocsparse_index_base_SD_SD_SD_bbb,comdat
	.globl	_ZN9rocsparseL41csrgemm_numeric_fill_block_per_row_kernelILj128ELj16ELj256ELj137ELj32EllfEEvT5_PKS1_S3_NS_24const_host_device_scalarIT6_EEPKT4_S3_PKS5_S9_S3_SB_S6_S9_S3_SB_S9_S3_PS5_21rocsparse_index_base_SD_SD_SD_bbb ; -- Begin function _ZN9rocsparseL41csrgemm_numeric_fill_block_per_row_kernelILj128ELj16ELj256ELj137ELj32EllfEEvT5_PKS1_S3_NS_24const_host_device_scalarIT6_EEPKT4_S3_PKS5_S9_S3_SB_S6_S9_S3_SB_S9_S3_PS5_21rocsparse_index_base_SD_SD_SD_bbb
	.p2align	8
	.type	_ZN9rocsparseL41csrgemm_numeric_fill_block_per_row_kernelILj128ELj16ELj256ELj137ELj32EllfEEvT5_PKS1_S3_NS_24const_host_device_scalarIT6_EEPKT4_S3_PKS5_S9_S3_SB_S6_S9_S3_SB_S9_S3_PS5_21rocsparse_index_base_SD_SD_SD_bbb,@function
_ZN9rocsparseL41csrgemm_numeric_fill_block_per_row_kernelILj128ELj16ELj256ELj137ELj32EllfEEvT5_PKS1_S3_NS_24const_host_device_scalarIT6_EEPKT4_S3_PKS5_S9_S3_SB_S6_S9_S3_SB_S9_S3_PS5_21rocsparse_index_base_SD_SD_SD_bbb: ; @_ZN9rocsparseL41csrgemm_numeric_fill_block_per_row_kernelILj128ELj16ELj256ELj137ELj32EllfEEvT5_PKS1_S3_NS_24const_host_device_scalarIT6_EEPKT4_S3_PKS5_S9_S3_SB_S6_S9_S3_SB_S9_S3_PS5_21rocsparse_index_base_SD_SD_SD_bbb
; %bb.0:
	s_clause 0x2
	s_load_b32 s6, s[0:1], 0x98
	s_load_b64 s[4:5], s[0:1], 0x18
	s_load_b64 s[2:3], s[0:1], 0x50
	s_wait_kmcnt 0x0
	s_and_b32 s8, 1, s6
	s_bitcmp1_b32 s6, 16
	s_cselect_b32 s7, -1, 0
	s_cmp_eq_u32 s8, 1
	s_cselect_b32 s40, -1, 0
	s_delay_alu instid0(SALU_CYCLE_1) | instskip(SKIP_2) | instid1(SALU_CYCLE_1)
	s_and_b32 s8, s40, exec_lo
	s_cselect_b32 s38, s4, 0
	s_xor_b32 s8, s40, -1
	s_or_b32 s8, s7, s8
	s_delay_alu instid0(SALU_CYCLE_1)
	s_and_b32 vcc_lo, exec_lo, s8
	s_cbranch_vccnz .LBB82_2
; %bb.1:
	s_load_b32 s38, s[4:5], 0x0
.LBB82_2:
	s_load_b128 s[20:23], s[0:1], 0x88
	s_bitcmp1_b32 s6, 8
	s_cselect_b32 s39, -1, 0
	s_wait_xcnt 0x0
	s_and_b32 s4, s39, exec_lo
	s_cselect_b32 s33, s2, 0
	s_xor_b32 s4, s39, -1
	s_delay_alu instid0(SALU_CYCLE_1) | instskip(NEXT) | instid1(SALU_CYCLE_1)
	s_or_b32 s4, s7, s4
	s_and_b32 vcc_lo, exec_lo, s4
	s_cbranch_vccnz .LBB82_4
; %bb.3:
	s_load_b32 s33, s[2:3], 0x0
.LBB82_4:
	s_load_b128 s[24:27], s[0:1], 0x0
	s_wait_xcnt 0x0
	v_cmp_gt_u32_e64 s2, 0x100, v0
	v_lshlrev_b32_e32 v20, 2, v0
	v_or_b32_e32 v18, 0xffffff80, v0
	v_lshl_add_u32 v19, v0, 3, 0
	s_and_saveexec_b32 s3, s2
	s_cbranch_execz .LBB82_7
; %bb.5:
	s_wait_kmcnt 0x0
	v_mov_b64_e32 v[2:3], s[24:25]
	v_add3_u32 v1, v20, 0, 0x800
	v_or_b32_e32 v4, 0xffffff80, v0
	v_lshl_add_u32 v5, v0, 3, 0
	v_mov_b32_e32 v6, 0
	s_mov_b32 s4, 0
.LBB82_6:                               ; =>This Inner Loop Header: Depth=1
	s_delay_alu instid0(VALU_DEP_3)
	v_add_co_u32 v4, s5, 0x80, v4
	s_xor_b32 s5, s5, -1
	ds_store_b64 v5, v[2:3]
	ds_store_b32 v1, v6
	v_add_nc_u32_e32 v1, 0x200, v1
	v_add_nc_u32_e32 v5, 0x400, v5
	s_and_b32 s5, exec_lo, s5
	s_delay_alu instid0(SALU_CYCLE_1) | instskip(NEXT) | instid1(SALU_CYCLE_1)
	s_or_b32 s4, s5, s4
	s_and_not1_b32 exec_lo, exec_lo, s4
	s_cbranch_execnz .LBB82_6
.LBB82_7:
	s_or_b32 exec_lo, exec_lo, s3
	s_clause 0x4
	s_load_b64 s[34:35], s[0:1], 0x80
	s_load_b256 s[4:11], s[0:1], 0x58
	s_load_b128 s[28:31], s[0:1], 0x40
	s_load_b64 s[36:37], s[0:1], 0x10
	s_load_b256 s[12:19], s[0:1], 0x20
	s_wait_dscnt 0x0
	s_barrier_signal -1
	s_barrier_wait -1
	s_wait_kmcnt 0x0
	s_load_b64 s[0:1], s[26:27], 0x0
	s_bfe_u32 s3, ttmp6, 0x4000c
	s_wait_xcnt 0x0
	s_and_b32 s26, ttmp6, 15
	s_add_co_i32 s3, s3, 1
	s_getreg_b32 s27, hwreg(HW_REG_IB_STS2, 6, 4)
	s_mul_i32 s3, ttmp9, s3
	s_delay_alu instid0(SALU_CYCLE_1)
	s_add_co_i32 s26, s26, s3
	s_wait_kmcnt 0x0
	s_lshl_b64 s[0:1], s[0:1], 3
	s_cmp_eq_u32 s27, 0
	s_add_nc_u64 s[0:1], s[36:37], s[0:1]
	s_cselect_b32 s3, ttmp9, s26
	s_and_b32 vcc_lo, exec_lo, s40
	s_load_b64 s[26:27], s[0:1], s3 offset:0x0 scale_offset
	s_wait_xcnt 0x0
	s_mov_b32 s1, 0
	s_cbranch_vccz .LBB82_27
; %bb.8:
	s_wait_kmcnt 0x0
	s_lshl_b64 s[36:37], s[26:27], 3
	v_dual_mov_b32 v5, 0 :: v_dual_lshrrev_b32 v4, 4, v0
	s_add_nc_u64 s[12:13], s[12:13], s[36:37]
	s_mov_b32 s0, s20
	s_load_b128 s[40:43], s[12:13], 0x0
	s_mov_b32 s3, exec_lo
	v_sub_nc_u64_e64 v[2:3], v[4:5], s[0:1]
	s_wait_kmcnt 0x0
	s_delay_alu instid0(VALU_DEP_1)
	v_add_nc_u64_e32 v[2:3], s[40:41], v[2:3]
	s_sub_nc_u64 s[12:13], s[42:43], s[0:1]
	s_delay_alu instid0(VALU_DEP_1) | instid1(SALU_CYCLE_1)
	v_cmpx_gt_i64_e64 s[12:13], v[2:3]
	s_cbranch_execz .LBB82_26
; %bb.9:
	v_and_b32_e32 v4, 15, v0
	s_mov_b32 s37, 0
	s_mov_b32 s36, s21
	;; [unrolled: 1-line block ×3, first 2 shown]
	s_delay_alu instid0(VALU_DEP_1)
	v_sub_nc_u64_e64 v[4:5], v[4:5], s[36:37]
	s_branch .LBB82_11
.LBB82_10:                              ;   in Loop: Header=BB82_11 Depth=1
	s_or_b32 exec_lo, exec_lo, s21
	v_add_nc_u64_e32 v[2:3], 8, v[2:3]
	s_delay_alu instid0(VALU_DEP_1) | instskip(SKIP_1) | instid1(SALU_CYCLE_1)
	v_cmp_le_i64_e32 vcc_lo, s[12:13], v[2:3]
	s_or_b32 s20, vcc_lo, s20
	s_and_not1_b32 exec_lo, exec_lo, s20
	s_cbranch_execz .LBB82_26
.LBB82_11:                              ; =>This Loop Header: Depth=1
                                        ;     Child Loop BB82_15 Depth 2
                                        ;       Child Loop BB82_18 Depth 3
	v_lshl_add_u64 v[6:7], v[2:3], 3, s[14:15]
	s_mov_b32 s21, exec_lo
	global_load_b64 v[6:7], v[6:7], off
	s_wait_loadcnt 0x0
	s_wait_xcnt 0x0
	v_sub_nc_u64_e64 v[6:7], v[6:7], s[0:1]
	s_delay_alu instid0(VALU_DEP_1)
	v_lshl_add_u64 v[6:7], v[6:7], 3, s[18:19]
	global_load_b128 v[8:11], v[6:7], off
	s_wait_loadcnt 0x0
	s_wait_xcnt 0x0
	v_sub_nc_u64_e64 v[6:7], v[10:11], s[36:37]
	v_add_nc_u64_e32 v[8:9], v[8:9], v[4:5]
	s_delay_alu instid0(VALU_DEP_1)
	v_cmpx_lt_i64_e64 v[8:9], v[6:7]
	s_cbranch_execz .LBB82_10
; %bb.12:                               ;   in Loop: Header=BB82_11 Depth=1
	v_lshl_add_u64 v[10:11], v[2:3], 2, s[16:17]
	s_mov_b32 s40, 0
	global_load_b32 v1, v[10:11], off
	s_wait_loadcnt 0x0
	v_mul_f32_e32 v1, s38, v1
	s_branch .LBB82_15
.LBB82_13:                              ;   in Loop: Header=BB82_15 Depth=2
	s_or_b32 exec_lo, exec_lo, s42
.LBB82_14:                              ;   in Loop: Header=BB82_15 Depth=2
	s_delay_alu instid0(SALU_CYCLE_1)
	s_or_b32 exec_lo, exec_lo, s41
	s_wait_loadcnt 0x0
	v_mul_f32_e32 v11, v1, v21
	v_lshl_add_u32 v10, v10, 2, 0
	v_add_nc_u64_e32 v[8:9], 16, v[8:9]
	ds_add_f32 v10, v11 offset:2048
	v_cmp_ge_i64_e32 vcc_lo, v[8:9], v[6:7]
	s_or_b32 s40, vcc_lo, s40
	s_delay_alu instid0(SALU_CYCLE_1)
	s_and_not1_b32 exec_lo, exec_lo, s40
	s_cbranch_execz .LBB82_10
.LBB82_15:                              ;   Parent Loop BB82_11 Depth=1
                                        ; =>  This Loop Header: Depth=2
                                        ;       Child Loop BB82_18 Depth 3
	s_wait_xcnt 0x0
	v_lshl_add_u64 v[10:11], v[8:9], 3, s[28:29]
	v_lshl_add_u64 v[12:13], v[8:9], 2, s[30:31]
	s_mov_b32 s41, exec_lo
	global_load_b64 v[10:11], v[10:11], off
	global_load_b32 v21, v[12:13], off
	s_wait_loadcnt 0x1
	s_wait_xcnt 0x0
	v_sub_nc_u64_e64 v[12:13], v[10:11], s[36:37]
	s_delay_alu instid0(VALU_DEP_1) | instskip(NEXT) | instid1(VALU_DEP_1)
	v_mul_lo_u32 v10, 0x89, v12
	v_and_b32_e32 v10, 0xff, v10
	s_delay_alu instid0(VALU_DEP_1)
	v_lshl_add_u32 v22, v10, 3, 0
	ds_load_b64 v[16:17], v22
	s_wait_dscnt 0x0
	v_cmpx_ne_u64_e64 v[16:17], v[12:13]
	s_cbranch_execz .LBB82_14
; %bb.16:                               ;   in Loop: Header=BB82_15 Depth=2
	s_mov_b32 s42, 0
                                        ; implicit-def: $sgpr43
                                        ; implicit-def: $sgpr44
	s_branch .LBB82_18
.LBB82_17:                              ;   in Loop: Header=BB82_18 Depth=3
	s_or_b32 exec_lo, exec_lo, s47
	s_delay_alu instid0(SALU_CYCLE_1) | instskip(NEXT) | instid1(SALU_CYCLE_1)
	s_and_b32 s45, exec_lo, s46
	s_or_b32 s42, s45, s42
	s_and_not1_b32 s43, s43, exec_lo
	s_and_b32 s45, s44, exec_lo
	s_delay_alu instid0(SALU_CYCLE_1)
	s_or_b32 s43, s43, s45
	s_and_not1_b32 exec_lo, exec_lo, s42
	s_cbranch_execz .LBB82_24
.LBB82_18:                              ;   Parent Loop BB82_11 Depth=1
                                        ;     Parent Loop BB82_15 Depth=2
                                        ; =>    This Inner Loop Header: Depth=3
	v_mov_b64_e32 v[14:15], v[10:11]
	s_mov_b32 s45, 0
	s_mov_b32 s46, exec_lo
                                        ; implicit-def: $vgpr10_vgpr11
	v_cmpx_ne_u64_e64 s[24:25], v[16:17]
	s_xor_b32 s46, exec_lo, s46
; %bb.19:                               ;   in Loop: Header=BB82_18 Depth=3
	s_delay_alu instid0(VALU_DEP_2) | instskip(SKIP_1) | instid1(VALU_DEP_1)
	v_add_nc_u32_e32 v10, 1, v14
	s_mov_b32 s45, exec_lo
                                        ; implicit-def: $vgpr22
	v_and_b32_e32 v10, 0xff, v10
; %bb.20:                               ;   in Loop: Header=BB82_18 Depth=3
	s_and_not1_saveexec_b32 s46, s46
	s_cbranch_execz .LBB82_22
; %bb.21:                               ;   in Loop: Header=BB82_18 Depth=3
	v_mov_b64_e32 v[10:11], s[24:25]
	s_and_not1_b32 s45, s45, exec_lo
	ds_cmpstore_rtn_b64 v[10:11], v22, v[12:13], v[10:11]
	s_wait_dscnt 0x0
	v_cmp_ne_u64_e32 vcc_lo, s[24:25], v[10:11]
	v_mov_b64_e32 v[10:11], v[14:15]
	s_and_b32 s47, vcc_lo, exec_lo
	s_delay_alu instid0(SALU_CYCLE_1)
	s_or_b32 s45, s45, s47
.LBB82_22:                              ;   in Loop: Header=BB82_18 Depth=3
	s_or_b32 exec_lo, exec_lo, s46
	s_mov_b32 s46, -1
	s_or_b32 s44, s44, exec_lo
                                        ; implicit-def: $vgpr22
                                        ; implicit-def: $vgpr16_vgpr17
	s_and_saveexec_b32 s47, s45
	s_cbranch_execz .LBB82_17
; %bb.23:                               ;   in Loop: Header=BB82_18 Depth=3
	v_lshl_add_u32 v22, v10, 3, 0
	s_and_not1_b32 s44, s44, exec_lo
	ds_load_b64 v[16:17], v22
	s_wait_dscnt 0x0
	v_cmp_eq_u64_e32 vcc_lo, v[16:17], v[12:13]
	s_or_not1_b32 s46, vcc_lo, exec_lo
	s_branch .LBB82_17
.LBB82_24:                              ;   in Loop: Header=BB82_15 Depth=2
	s_or_b32 exec_lo, exec_lo, s42
	s_and_saveexec_b32 s42, s43
	s_delay_alu instid0(SALU_CYCLE_1)
	s_xor_b32 s42, exec_lo, s42
	s_cbranch_execz .LBB82_13
; %bb.25:                               ;   in Loop: Header=BB82_15 Depth=2
	v_mov_b32_e32 v10, v14
	s_branch .LBB82_13
.LBB82_26:
	s_or_b32 exec_lo, exec_lo, s3
.LBB82_27:
	s_delay_alu instid0(SALU_CYCLE_1)
	s_and_not1_b32 vcc_lo, exec_lo, s39
	s_cbranch_vccnz .LBB82_44
; %bb.28:
	s_wait_kmcnt 0x0
	s_lshl_b64 s[0:1], s[26:27], 3
	v_mov_b32_e32 v1, 0
	s_add_nc_u64 s[0:1], s[4:5], s[0:1]
	s_mov_b32 s3, exec_lo
	s_load_b128 s[12:15], s[0:1], 0x0
	s_wait_xcnt 0x0
	s_mov_b32 s1, 0
	s_mov_b32 s0, s23
	s_delay_alu instid0(SALU_CYCLE_1) | instskip(SKIP_1) | instid1(VALU_DEP_1)
	v_sub_nc_u64_e64 v[2:3], v[0:1], s[0:1]
	s_wait_kmcnt 0x0
	v_add_nc_u64_e32 v[2:3], s[12:13], v[2:3]
	s_sub_nc_u64 s[4:5], s[14:15], s[0:1]
	s_delay_alu instid0(VALU_DEP_1) | instid1(SALU_CYCLE_1)
	v_cmpx_gt_i64_e64 s[4:5], v[2:3]
	s_cbranch_execz .LBB82_43
; %bb.29:
	s_mov_b32 s12, s1
	s_branch .LBB82_32
.LBB82_30:                              ;   in Loop: Header=BB82_32 Depth=1
	s_or_b32 exec_lo, exec_lo, s14
.LBB82_31:                              ;   in Loop: Header=BB82_32 Depth=1
	s_delay_alu instid0(SALU_CYCLE_1)
	s_or_b32 exec_lo, exec_lo, s13
	s_wait_loadcnt 0x0
	v_mul_f32_e32 v1, s33, v1
	v_lshl_add_u32 v4, v4, 2, 0
	v_add_nc_u64_e32 v[2:3], 0x80, v[2:3]
	ds_add_f32 v4, v1 offset:2048
	v_cmp_le_i64_e32 vcc_lo, s[4:5], v[2:3]
	s_or_b32 s12, vcc_lo, s12
	s_delay_alu instid0(SALU_CYCLE_1)
	s_and_not1_b32 exec_lo, exec_lo, s12
	s_cbranch_execz .LBB82_43
.LBB82_32:                              ; =>This Loop Header: Depth=1
                                        ;     Child Loop BB82_35 Depth 2
	v_lshl_add_u64 v[4:5], v[2:3], 3, s[6:7]
	v_lshl_add_u64 v[6:7], v[2:3], 2, s[8:9]
	s_mov_b32 s13, exec_lo
	global_load_b64 v[4:5], v[4:5], off
	global_load_b32 v1, v[6:7], off
	s_wait_loadcnt 0x1
	s_wait_xcnt 0x0
	v_sub_nc_u64_e64 v[6:7], v[4:5], s[0:1]
	s_delay_alu instid0(VALU_DEP_1) | instskip(NEXT) | instid1(VALU_DEP_1)
	v_mul_lo_u32 v4, 0x89, v6
	v_and_b32_e32 v4, 0xff, v4
	s_delay_alu instid0(VALU_DEP_1)
	v_lshl_add_u32 v12, v4, 3, 0
	ds_load_b64 v[10:11], v12
	s_wait_dscnt 0x0
	v_cmpx_ne_u64_e64 v[10:11], v[6:7]
	s_cbranch_execz .LBB82_31
; %bb.33:                               ;   in Loop: Header=BB82_32 Depth=1
	s_mov_b32 s14, 0
                                        ; implicit-def: $sgpr15
                                        ; implicit-def: $sgpr16
	s_branch .LBB82_35
.LBB82_34:                              ;   in Loop: Header=BB82_35 Depth=2
	s_or_b32 exec_lo, exec_lo, s19
	s_delay_alu instid0(SALU_CYCLE_1) | instskip(NEXT) | instid1(SALU_CYCLE_1)
	s_and_b32 s17, exec_lo, s18
	s_or_b32 s14, s17, s14
	s_and_not1_b32 s15, s15, exec_lo
	s_and_b32 s17, s16, exec_lo
	s_delay_alu instid0(SALU_CYCLE_1)
	s_or_b32 s15, s15, s17
	s_and_not1_b32 exec_lo, exec_lo, s14
	s_cbranch_execz .LBB82_41
.LBB82_35:                              ;   Parent Loop BB82_32 Depth=1
                                        ; =>  This Inner Loop Header: Depth=2
	v_mov_b64_e32 v[8:9], v[4:5]
	s_mov_b32 s17, 0
	s_mov_b32 s18, exec_lo
                                        ; implicit-def: $vgpr4_vgpr5
	v_cmpx_ne_u64_e64 s[24:25], v[10:11]
	s_xor_b32 s18, exec_lo, s18
; %bb.36:                               ;   in Loop: Header=BB82_35 Depth=2
	s_delay_alu instid0(VALU_DEP_2) | instskip(SKIP_1) | instid1(VALU_DEP_1)
	v_add_nc_u32_e32 v4, 1, v8
	s_mov_b32 s17, exec_lo
                                        ; implicit-def: $vgpr12
	v_and_b32_e32 v4, 0xff, v4
; %bb.37:                               ;   in Loop: Header=BB82_35 Depth=2
	s_and_not1_saveexec_b32 s18, s18
	s_cbranch_execz .LBB82_39
; %bb.38:                               ;   in Loop: Header=BB82_35 Depth=2
	v_mov_b64_e32 v[4:5], s[24:25]
	s_and_not1_b32 s17, s17, exec_lo
	ds_cmpstore_rtn_b64 v[4:5], v12, v[6:7], v[4:5]
	s_wait_dscnt 0x0
	v_cmp_ne_u64_e32 vcc_lo, s[24:25], v[4:5]
	v_mov_b64_e32 v[4:5], v[8:9]
	s_and_b32 s19, vcc_lo, exec_lo
	s_delay_alu instid0(SALU_CYCLE_1)
	s_or_b32 s17, s17, s19
.LBB82_39:                              ;   in Loop: Header=BB82_35 Depth=2
	s_or_b32 exec_lo, exec_lo, s18
	s_mov_b32 s18, -1
	s_or_b32 s16, s16, exec_lo
                                        ; implicit-def: $vgpr12
                                        ; implicit-def: $vgpr10_vgpr11
	s_and_saveexec_b32 s19, s17
	s_cbranch_execz .LBB82_34
; %bb.40:                               ;   in Loop: Header=BB82_35 Depth=2
	v_lshl_add_u32 v12, v4, 3, 0
	s_and_not1_b32 s16, s16, exec_lo
	ds_load_b64 v[10:11], v12
	s_wait_dscnt 0x0
	v_cmp_eq_u64_e32 vcc_lo, v[10:11], v[6:7]
	s_or_not1_b32 s18, vcc_lo, exec_lo
	s_branch .LBB82_34
.LBB82_41:                              ;   in Loop: Header=BB82_32 Depth=1
	s_or_b32 exec_lo, exec_lo, s14
	s_and_saveexec_b32 s14, s15
	s_delay_alu instid0(SALU_CYCLE_1)
	s_xor_b32 s14, exec_lo, s14
	s_cbranch_execz .LBB82_30
; %bb.42:                               ;   in Loop: Header=BB82_32 Depth=1
	v_mov_b32_e32 v4, v8
	s_branch .LBB82_30
.LBB82_43:
	s_or_b32 exec_lo, exec_lo, s3
.LBB82_44:
	s_wait_dscnt 0x0
	s_barrier_signal -1
	s_barrier_wait -1
	s_and_saveexec_b32 s4, s2
	s_cbranch_execz .LBB82_57
; %bb.45:
	v_mbcnt_lo_u32_b32 v1, -1, 0
	v_dual_mov_b32 v3, 0 :: v_dual_lshrrev_b32 v2, 2, v0
	v_mov_b64_e32 v[4:5], 0
	v_cmp_lt_u32_e64 s0, 31, v0
	s_delay_alu instid0(VALU_DEP_4) | instskip(NEXT) | instid1(VALU_DEP_4)
	v_xor_b32_e32 v1, 31, v1
	v_and_b32_e32 v2, 24, v2
	v_cmp_lt_u32_e64 s1, 63, v0
	v_cmp_lt_u32_e64 s2, 0x5f, v0
	v_add3_u32 v7, v20, 0, 0x800
	v_lshrrev_b32_e64 v6, v1, -1
	v_add_nc_u32_e32 v1, 0, v2
	s_mov_b32 s5, 0
	v_cmp_eq_u32_e32 vcc_lo, 0x7f, v0
	s_branch .LBB82_47
.LBB82_46:                              ;   in Loop: Header=BB82_47 Depth=1
	s_or_b32 exec_lo, exec_lo, s3
	s_wait_dscnt 0x0
	s_barrier_signal -1
	s_barrier_wait -1
	ds_load_b64 v[8:9], v3 offset:3096
	v_add_co_u32 v18, s3, 0x80, v18
	s_xor_b32 s3, s3, -1
	v_add_nc_u32_e32 v7, 0x200, v7
	v_add_nc_u32_e32 v19, 0x400, v19
	s_and_b32 s3, exec_lo, s3
	s_delay_alu instid0(SALU_CYCLE_1)
	s_or_b32 s5, s3, s5
	s_wait_dscnt 0x0
	v_add_nc_u64_e32 v[4:5], v[8:9], v[4:5]
	s_and_not1_b32 exec_lo, exec_lo, s5
	s_cbranch_execz .LBB82_57
.LBB82_47:                              ; =>This Inner Loop Header: Depth=1
	ds_load_b64 v[8:9], v19
	ds_load_b32 v12, v7
	s_wait_dscnt 0x0
	s_barrier_signal -1
	s_barrier_wait -1
	v_cmp_gt_i64_e64 s3, s[24:25], v[8:9]
	s_bcnt1_i32_b32 s6, s3
	s_delay_alu instid0(SALU_CYCLE_1) | instskip(NEXT) | instid1(VALU_DEP_1)
	v_dual_mov_b32 v2, s6 :: v_dual_bitop2_b32 v10, s3, v6 bitop3:0x40
	v_bcnt_u32_b32 v10, v10, 0
	ds_store_b64 v1, v[2:3] offset:3072
	s_wait_dscnt 0x0
	s_barrier_signal -1
	s_barrier_wait -1
	s_and_saveexec_b32 s6, s0
	s_cbranch_execnz .LBB82_52
; %bb.48:                               ;   in Loop: Header=BB82_47 Depth=1
	s_or_b32 exec_lo, exec_lo, s6
	s_and_saveexec_b32 s6, s1
	s_cbranch_execnz .LBB82_53
.LBB82_49:                              ;   in Loop: Header=BB82_47 Depth=1
	s_or_b32 exec_lo, exec_lo, s6
	s_and_saveexec_b32 s6, s2
	s_cbranch_execnz .LBB82_54
.LBB82_50:                              ;   in Loop: Header=BB82_47 Depth=1
	s_or_b32 exec_lo, exec_lo, s6
	v_ashrrev_i32_e32 v11, 31, v10
	s_and_saveexec_b32 s6, s3
	s_cbranch_execnz .LBB82_55
.LBB82_51:                              ;   in Loop: Header=BB82_47 Depth=1
	s_or_b32 exec_lo, exec_lo, s6
	s_and_saveexec_b32 s3, vcc_lo
	s_cbranch_execz .LBB82_46
	s_branch .LBB82_56
.LBB82_52:                              ;   in Loop: Header=BB82_47 Depth=1
	ds_load_b32 v2, v3 offset:3072
	s_wait_dscnt 0x0
	v_add_nc_u32_e32 v10, v2, v10
	s_or_b32 exec_lo, exec_lo, s6
	s_and_saveexec_b32 s6, s1
	s_cbranch_execz .LBB82_49
.LBB82_53:                              ;   in Loop: Header=BB82_47 Depth=1
	ds_load_b32 v2, v3 offset:3080
	s_wait_dscnt 0x0
	v_add_nc_u32_e32 v10, v10, v2
	s_or_b32 exec_lo, exec_lo, s6
	s_and_saveexec_b32 s6, s2
	s_cbranch_execz .LBB82_50
.LBB82_54:                              ;   in Loop: Header=BB82_47 Depth=1
	ds_load_b32 v2, v3 offset:3088
	s_wait_dscnt 0x0
	v_add_nc_u32_e32 v10, v10, v2
	s_or_b32 exec_lo, exec_lo, s6
	s_delay_alu instid0(VALU_DEP_1)
	v_ashrrev_i32_e32 v11, 31, v10
	s_and_saveexec_b32 s6, s3
	s_cbranch_execz .LBB82_51
.LBB82_55:                              ;   in Loop: Header=BB82_47 Depth=1
	v_add3_u32 v2, v4, -1, v10
	v_add_nc_u32_e32 v13, v4, v10
	s_delay_alu instid0(VALU_DEP_2) | instskip(NEXT) | instid1(VALU_DEP_2)
	v_lshl_add_u32 v2, v2, 3, 0
	v_lshl_add_u32 v13, v13, 2, 0
	ds_store_b64 v2, v[8:9]
	ds_store_b32 v13, v12 offset:2044
	s_or_b32 exec_lo, exec_lo, s6
	s_and_saveexec_b32 s3, vcc_lo
	s_cbranch_execz .LBB82_46
.LBB82_56:                              ;   in Loop: Header=BB82_47 Depth=1
	ds_store_b64 v3, v[10:11] offset:3096
	s_branch .LBB82_46
.LBB82_57:
	s_or_b32 exec_lo, exec_lo, s4
	s_wait_kmcnt 0x0
	s_lshl_b64 s[0:1], s[26:27], 3
	v_mov_b32_e32 v1, 0
	s_add_nc_u64 s[4:5], s[10:11], s[0:1]
	s_mov_b32 s6, exec_lo
	s_load_b128 s[0:3], s[4:5], 0x0
	s_wait_kmcnt 0x0
	s_sub_nc_u64 s[4:5], s[2:3], s[0:1]
	s_delay_alu instid0(SALU_CYCLE_1)
	v_cmpx_gt_i64_e64 s[4:5], v[0:1]
	s_cbranch_execz .LBB82_67
; %bb.58:
	s_sub_nc_u64 s[8:9], s[0:1], s[2:3]
	s_and_b64 s[6:7], s[4:5], 7
	v_cmp_lt_u64_e64 s10, s[8:9], -7
	s_and_b64 s[2:3], s[4:5], -8
	s_mov_b32 s23, 0
	s_cmp_lg_u64 s[6:7], 0
	s_sub_nc_u64 s[0:1], s[0:1], s[22:23]
	s_cselect_b32 s11, -1, 0
	s_mov_b32 s12, 0
	s_branch .LBB82_60
.LBB82_59:                              ;   in Loop: Header=BB82_60 Depth=1
	v_add_nc_u64_e32 v[0:1], 0x80, v[0:1]
	s_wait_dscnt 0x1
	s_delay_alu instid0(VALU_DEP_2)
	v_lshl_add_u64 v[2:3], v[4:5], 2, s[34:35]
	s_wait_dscnt 0x0
	global_store_b32 v[2:3], v6, off
	v_cmp_le_i64_e32 vcc_lo, s[4:5], v[0:1]
	s_or_b32 s12, vcc_lo, s12
	s_wait_xcnt 0x0
	s_and_not1_b32 exec_lo, exec_lo, s12
	s_cbranch_execz .LBB82_67
.LBB82_60:                              ; =>This Loop Header: Depth=1
                                        ;     Child Loop BB82_62 Depth 2
                                        ;     Child Loop BB82_66 Depth 2
	v_lshl_add_u32 v2, v0, 3, 0
	v_lshlrev_b32_e32 v3, 2, v0
	s_and_not1_b32 vcc_lo, exec_lo, s10
	s_mov_b64 s[8:9], 0
	s_delay_alu instid0(VALU_DEP_1)
	v_sub_nc_u32_e32 v4, v2, v3
	ds_load_b64 v[2:3], v2
	ds_load_b32 v6, v4 offset:2048
	v_mov_b64_e32 v[4:5], s[0:1]
	s_cbranch_vccnz .LBB82_64
; %bb.61:                               ;   in Loop: Header=BB82_60 Depth=1
	v_mov_b64_e32 v[4:5], s[0:1]
	s_mov_b32 s13, 0
.LBB82_62:                              ;   Parent Loop BB82_60 Depth=1
                                        ; =>  This Inner Loop Header: Depth=2
	s_delay_alu instid0(SALU_CYCLE_1)
	v_dual_mov_b32 v7, s13 :: v_dual_mov_b32 v17, s23
	s_add_nc_u64 s[8:9], s[8:9], 8
	s_add_co_i32 s13, s13, 64
	s_cmp_eq_u64 s[2:3], s[8:9]
	ds_load_2addr_b64 v[8:11], v7 offset1:1
	ds_load_2addr_b64 v[12:15], v7 offset0:2 offset1:3
	s_wait_dscnt 0x1
	v_cmp_gt_i64_e32 vcc_lo, v[2:3], v[8:9]
	v_cndmask_b32_e64 v16, 0, 1, vcc_lo
	v_cmp_gt_i64_e32 vcc_lo, v[2:3], v[10:11]
	ds_load_2addr_b64 v[8:11], v7 offset0:4 offset1:5
	v_add_nc_u64_e32 v[4:5], v[4:5], v[16:17]
	v_cndmask_b32_e64 v18, 0, 1, vcc_lo
	s_wait_dscnt 0x1
	v_cmp_gt_i64_e32 vcc_lo, v[2:3], v[12:13]
	v_cndmask_b32_e64 v16, 0, 1, vcc_lo
	v_cmp_gt_i64_e32 vcc_lo, v[2:3], v[14:15]
	ds_load_2addr_b64 v[12:15], v7 offset0:6 offset1:7
	v_mov_b32_e32 v19, s23
	s_delay_alu instid0(VALU_DEP_1) | instskip(SKIP_4) | instid1(VALU_DEP_4)
	v_add_nc_u64_e32 v[4:5], v[4:5], v[18:19]
	v_cndmask_b32_e64 v18, 0, 1, vcc_lo
	s_wait_dscnt 0x1
	v_cmp_gt_i64_e32 vcc_lo, v[2:3], v[8:9]
	v_mov_b32_e32 v9, s23
	v_add_nc_u64_e32 v[4:5], v[4:5], v[16:17]
	v_cndmask_b32_e64 v16, 0, 1, vcc_lo
	v_cmp_gt_i64_e32 vcc_lo, v[2:3], v[10:11]
	v_mov_b32_e32 v11, s23
	s_delay_alu instid0(VALU_DEP_4) | instskip(SKIP_3) | instid1(VALU_DEP_3)
	v_add_nc_u64_e32 v[4:5], v[4:5], v[18:19]
	v_cndmask_b32_e64 v8, 0, 1, vcc_lo
	s_wait_dscnt 0x0
	v_cmp_gt_i64_e32 vcc_lo, v[2:3], v[12:13]
	v_add_nc_u64_e32 v[4:5], v[4:5], v[16:17]
	v_cndmask_b32_e64 v10, 0, 1, vcc_lo
	v_cmp_gt_i64_e32 vcc_lo, v[2:3], v[14:15]
	s_delay_alu instid0(VALU_DEP_3) | instskip(SKIP_1) | instid1(VALU_DEP_2)
	v_add_nc_u64_e32 v[4:5], v[4:5], v[8:9]
	v_cndmask_b32_e64 v8, 0, 1, vcc_lo
	v_add_nc_u64_e32 v[4:5], v[4:5], v[10:11]
	s_delay_alu instid0(VALU_DEP_1)
	v_add_nc_u64_e32 v[4:5], v[4:5], v[8:9]
	s_cbranch_scc0 .LBB82_62
; %bb.63:                               ;   in Loop: Header=BB82_60 Depth=1
	s_mov_b64 s[8:9], s[2:3]
.LBB82_64:                              ;   in Loop: Header=BB82_60 Depth=1
	s_and_not1_b32 vcc_lo, exec_lo, s11
	s_cbranch_vccnz .LBB82_59
; %bb.65:                               ;   in Loop: Header=BB82_60 Depth=1
	s_lshl_b32 s8, s8, 3
	s_delay_alu instid0(SALU_CYCLE_1)
	s_add_co_i32 s13, s8, 0
	s_mov_b64 s[8:9], s[6:7]
.LBB82_66:                              ;   Parent Loop BB82_60 Depth=1
                                        ; =>  This Inner Loop Header: Depth=2
	v_dual_mov_b32 v7, s13 :: v_dual_mov_b32 v11, s23
	s_add_nc_u64 s[8:9], s[8:9], -1
	s_add_co_i32 s13, s13, 8
	s_cmp_lg_u64 s[8:9], 0
	ds_load_b64 v[8:9], v7
	s_wait_dscnt 0x0
	v_cmp_gt_i64_e32 vcc_lo, v[2:3], v[8:9]
	v_cndmask_b32_e64 v10, 0, 1, vcc_lo
	s_delay_alu instid0(VALU_DEP_1)
	v_add_nc_u64_e32 v[4:5], v[4:5], v[10:11]
	s_cbranch_scc1 .LBB82_66
	s_branch .LBB82_59
.LBB82_67:
	s_endpgm
	.section	.rodata,"a",@progbits
	.p2align	6, 0x0
	.amdhsa_kernel _ZN9rocsparseL41csrgemm_numeric_fill_block_per_row_kernelILj128ELj16ELj256ELj137ELj32EllfEEvT5_PKS1_S3_NS_24const_host_device_scalarIT6_EEPKT4_S3_PKS5_S9_S3_SB_S6_S9_S3_SB_S9_S3_PS5_21rocsparse_index_base_SD_SD_SD_bbb
		.amdhsa_group_segment_fixed_size 0
		.amdhsa_private_segment_fixed_size 0
		.amdhsa_kernarg_size 156
		.amdhsa_user_sgpr_count 2
		.amdhsa_user_sgpr_dispatch_ptr 0
		.amdhsa_user_sgpr_queue_ptr 0
		.amdhsa_user_sgpr_kernarg_segment_ptr 1
		.amdhsa_user_sgpr_dispatch_id 0
		.amdhsa_user_sgpr_kernarg_preload_length 0
		.amdhsa_user_sgpr_kernarg_preload_offset 0
		.amdhsa_user_sgpr_private_segment_size 0
		.amdhsa_wavefront_size32 1
		.amdhsa_uses_dynamic_stack 0
		.amdhsa_enable_private_segment 0
		.amdhsa_system_sgpr_workgroup_id_x 1
		.amdhsa_system_sgpr_workgroup_id_y 0
		.amdhsa_system_sgpr_workgroup_id_z 0
		.amdhsa_system_sgpr_workgroup_info 0
		.amdhsa_system_vgpr_workitem_id 0
		.amdhsa_next_free_vgpr 23
		.amdhsa_next_free_sgpr 48
		.amdhsa_named_barrier_count 0
		.amdhsa_reserve_vcc 1
		.amdhsa_float_round_mode_32 0
		.amdhsa_float_round_mode_16_64 0
		.amdhsa_float_denorm_mode_32 3
		.amdhsa_float_denorm_mode_16_64 3
		.amdhsa_fp16_overflow 0
		.amdhsa_memory_ordered 1
		.amdhsa_forward_progress 1
		.amdhsa_inst_pref_size 22
		.amdhsa_round_robin_scheduling 0
		.amdhsa_exception_fp_ieee_invalid_op 0
		.amdhsa_exception_fp_denorm_src 0
		.amdhsa_exception_fp_ieee_div_zero 0
		.amdhsa_exception_fp_ieee_overflow 0
		.amdhsa_exception_fp_ieee_underflow 0
		.amdhsa_exception_fp_ieee_inexact 0
		.amdhsa_exception_int_div_zero 0
	.end_amdhsa_kernel
	.section	.text._ZN9rocsparseL41csrgemm_numeric_fill_block_per_row_kernelILj128ELj16ELj256ELj137ELj32EllfEEvT5_PKS1_S3_NS_24const_host_device_scalarIT6_EEPKT4_S3_PKS5_S9_S3_SB_S6_S9_S3_SB_S9_S3_PS5_21rocsparse_index_base_SD_SD_SD_bbb,"axG",@progbits,_ZN9rocsparseL41csrgemm_numeric_fill_block_per_row_kernelILj128ELj16ELj256ELj137ELj32EllfEEvT5_PKS1_S3_NS_24const_host_device_scalarIT6_EEPKT4_S3_PKS5_S9_S3_SB_S6_S9_S3_SB_S9_S3_PS5_21rocsparse_index_base_SD_SD_SD_bbb,comdat
.Lfunc_end82:
	.size	_ZN9rocsparseL41csrgemm_numeric_fill_block_per_row_kernelILj128ELj16ELj256ELj137ELj32EllfEEvT5_PKS1_S3_NS_24const_host_device_scalarIT6_EEPKT4_S3_PKS5_S9_S3_SB_S6_S9_S3_SB_S9_S3_PS5_21rocsparse_index_base_SD_SD_SD_bbb, .Lfunc_end82-_ZN9rocsparseL41csrgemm_numeric_fill_block_per_row_kernelILj128ELj16ELj256ELj137ELj32EllfEEvT5_PKS1_S3_NS_24const_host_device_scalarIT6_EEPKT4_S3_PKS5_S9_S3_SB_S6_S9_S3_SB_S9_S3_PS5_21rocsparse_index_base_SD_SD_SD_bbb
                                        ; -- End function
	.set _ZN9rocsparseL41csrgemm_numeric_fill_block_per_row_kernelILj128ELj16ELj256ELj137ELj32EllfEEvT5_PKS1_S3_NS_24const_host_device_scalarIT6_EEPKT4_S3_PKS5_S9_S3_SB_S6_S9_S3_SB_S9_S3_PS5_21rocsparse_index_base_SD_SD_SD_bbb.num_vgpr, 23
	.set _ZN9rocsparseL41csrgemm_numeric_fill_block_per_row_kernelILj128ELj16ELj256ELj137ELj32EllfEEvT5_PKS1_S3_NS_24const_host_device_scalarIT6_EEPKT4_S3_PKS5_S9_S3_SB_S6_S9_S3_SB_S9_S3_PS5_21rocsparse_index_base_SD_SD_SD_bbb.num_agpr, 0
	.set _ZN9rocsparseL41csrgemm_numeric_fill_block_per_row_kernelILj128ELj16ELj256ELj137ELj32EllfEEvT5_PKS1_S3_NS_24const_host_device_scalarIT6_EEPKT4_S3_PKS5_S9_S3_SB_S6_S9_S3_SB_S9_S3_PS5_21rocsparse_index_base_SD_SD_SD_bbb.numbered_sgpr, 48
	.set _ZN9rocsparseL41csrgemm_numeric_fill_block_per_row_kernelILj128ELj16ELj256ELj137ELj32EllfEEvT5_PKS1_S3_NS_24const_host_device_scalarIT6_EEPKT4_S3_PKS5_S9_S3_SB_S6_S9_S3_SB_S9_S3_PS5_21rocsparse_index_base_SD_SD_SD_bbb.num_named_barrier, 0
	.set _ZN9rocsparseL41csrgemm_numeric_fill_block_per_row_kernelILj128ELj16ELj256ELj137ELj32EllfEEvT5_PKS1_S3_NS_24const_host_device_scalarIT6_EEPKT4_S3_PKS5_S9_S3_SB_S6_S9_S3_SB_S9_S3_PS5_21rocsparse_index_base_SD_SD_SD_bbb.private_seg_size, 0
	.set _ZN9rocsparseL41csrgemm_numeric_fill_block_per_row_kernelILj128ELj16ELj256ELj137ELj32EllfEEvT5_PKS1_S3_NS_24const_host_device_scalarIT6_EEPKT4_S3_PKS5_S9_S3_SB_S6_S9_S3_SB_S9_S3_PS5_21rocsparse_index_base_SD_SD_SD_bbb.uses_vcc, 1
	.set _ZN9rocsparseL41csrgemm_numeric_fill_block_per_row_kernelILj128ELj16ELj256ELj137ELj32EllfEEvT5_PKS1_S3_NS_24const_host_device_scalarIT6_EEPKT4_S3_PKS5_S9_S3_SB_S6_S9_S3_SB_S9_S3_PS5_21rocsparse_index_base_SD_SD_SD_bbb.uses_flat_scratch, 0
	.set _ZN9rocsparseL41csrgemm_numeric_fill_block_per_row_kernelILj128ELj16ELj256ELj137ELj32EllfEEvT5_PKS1_S3_NS_24const_host_device_scalarIT6_EEPKT4_S3_PKS5_S9_S3_SB_S6_S9_S3_SB_S9_S3_PS5_21rocsparse_index_base_SD_SD_SD_bbb.has_dyn_sized_stack, 0
	.set _ZN9rocsparseL41csrgemm_numeric_fill_block_per_row_kernelILj128ELj16ELj256ELj137ELj32EllfEEvT5_PKS1_S3_NS_24const_host_device_scalarIT6_EEPKT4_S3_PKS5_S9_S3_SB_S6_S9_S3_SB_S9_S3_PS5_21rocsparse_index_base_SD_SD_SD_bbb.has_recursion, 0
	.set _ZN9rocsparseL41csrgemm_numeric_fill_block_per_row_kernelILj128ELj16ELj256ELj137ELj32EllfEEvT5_PKS1_S3_NS_24const_host_device_scalarIT6_EEPKT4_S3_PKS5_S9_S3_SB_S6_S9_S3_SB_S9_S3_PS5_21rocsparse_index_base_SD_SD_SD_bbb.has_indirect_call, 0
	.section	.AMDGPU.csdata,"",@progbits
; Kernel info:
; codeLenInByte = 2732
; TotalNumSgprs: 50
; NumVgprs: 23
; ScratchSize: 0
; MemoryBound: 0
; FloatMode: 240
; IeeeMode: 1
; LDSByteSize: 0 bytes/workgroup (compile time only)
; SGPRBlocks: 0
; VGPRBlocks: 1
; NumSGPRsForWavesPerEU: 50
; NumVGPRsForWavesPerEU: 23
; NamedBarCnt: 0
; Occupancy: 16
; WaveLimiterHint : 1
; COMPUTE_PGM_RSRC2:SCRATCH_EN: 0
; COMPUTE_PGM_RSRC2:USER_SGPR: 2
; COMPUTE_PGM_RSRC2:TRAP_HANDLER: 0
; COMPUTE_PGM_RSRC2:TGID_X_EN: 1
; COMPUTE_PGM_RSRC2:TGID_Y_EN: 0
; COMPUTE_PGM_RSRC2:TGID_Z_EN: 0
; COMPUTE_PGM_RSRC2:TIDIG_COMP_CNT: 0
	.section	.text._ZN9rocsparseL41csrgemm_numeric_fill_block_per_row_kernelILj128ELj16ELj256ELj137ELj64EllfEEvT5_PKS1_S3_NS_24const_host_device_scalarIT6_EEPKT4_S3_PKS5_S9_S3_SB_S6_S9_S3_SB_S9_S3_PS5_21rocsparse_index_base_SD_SD_SD_bbb,"axG",@progbits,_ZN9rocsparseL41csrgemm_numeric_fill_block_per_row_kernelILj128ELj16ELj256ELj137ELj64EllfEEvT5_PKS1_S3_NS_24const_host_device_scalarIT6_EEPKT4_S3_PKS5_S9_S3_SB_S6_S9_S3_SB_S9_S3_PS5_21rocsparse_index_base_SD_SD_SD_bbb,comdat
	.globl	_ZN9rocsparseL41csrgemm_numeric_fill_block_per_row_kernelILj128ELj16ELj256ELj137ELj64EllfEEvT5_PKS1_S3_NS_24const_host_device_scalarIT6_EEPKT4_S3_PKS5_S9_S3_SB_S6_S9_S3_SB_S9_S3_PS5_21rocsparse_index_base_SD_SD_SD_bbb ; -- Begin function _ZN9rocsparseL41csrgemm_numeric_fill_block_per_row_kernelILj128ELj16ELj256ELj137ELj64EllfEEvT5_PKS1_S3_NS_24const_host_device_scalarIT6_EEPKT4_S3_PKS5_S9_S3_SB_S6_S9_S3_SB_S9_S3_PS5_21rocsparse_index_base_SD_SD_SD_bbb
	.p2align	8
	.type	_ZN9rocsparseL41csrgemm_numeric_fill_block_per_row_kernelILj128ELj16ELj256ELj137ELj64EllfEEvT5_PKS1_S3_NS_24const_host_device_scalarIT6_EEPKT4_S3_PKS5_S9_S3_SB_S6_S9_S3_SB_S9_S3_PS5_21rocsparse_index_base_SD_SD_SD_bbb,@function
_ZN9rocsparseL41csrgemm_numeric_fill_block_per_row_kernelILj128ELj16ELj256ELj137ELj64EllfEEvT5_PKS1_S3_NS_24const_host_device_scalarIT6_EEPKT4_S3_PKS5_S9_S3_SB_S6_S9_S3_SB_S9_S3_PS5_21rocsparse_index_base_SD_SD_SD_bbb: ; @_ZN9rocsparseL41csrgemm_numeric_fill_block_per_row_kernelILj128ELj16ELj256ELj137ELj64EllfEEvT5_PKS1_S3_NS_24const_host_device_scalarIT6_EEPKT4_S3_PKS5_S9_S3_SB_S6_S9_S3_SB_S9_S3_PS5_21rocsparse_index_base_SD_SD_SD_bbb
; %bb.0:
	s_clause 0x2
	s_load_b32 s6, s[0:1], 0x98
	s_load_b64 s[4:5], s[0:1], 0x18
	s_load_b64 s[2:3], s[0:1], 0x50
	s_wait_kmcnt 0x0
	s_and_b32 s8, 1, s6
	s_bitcmp1_b32 s6, 16
	s_cselect_b32 s7, -1, 0
	s_cmp_eq_u32 s8, 1
	s_cselect_b32 s40, -1, 0
	s_delay_alu instid0(SALU_CYCLE_1) | instskip(SKIP_2) | instid1(SALU_CYCLE_1)
	s_and_b32 s8, s40, exec_lo
	s_cselect_b32 s38, s4, 0
	s_xor_b32 s8, s40, -1
	s_or_b32 s8, s7, s8
	s_delay_alu instid0(SALU_CYCLE_1)
	s_and_b32 vcc_lo, exec_lo, s8
	s_cbranch_vccnz .LBB83_2
; %bb.1:
	s_load_b32 s38, s[4:5], 0x0
.LBB83_2:
	s_load_b128 s[20:23], s[0:1], 0x88
	s_bitcmp1_b32 s6, 8
	s_cselect_b32 s39, -1, 0
	s_wait_xcnt 0x0
	s_and_b32 s4, s39, exec_lo
	s_cselect_b32 s33, s2, 0
	s_xor_b32 s4, s39, -1
	s_delay_alu instid0(SALU_CYCLE_1) | instskip(NEXT) | instid1(SALU_CYCLE_1)
	s_or_b32 s4, s7, s4
	s_and_b32 vcc_lo, exec_lo, s4
	s_cbranch_vccnz .LBB83_4
; %bb.3:
	s_load_b32 s33, s[2:3], 0x0
.LBB83_4:
	s_load_b128 s[24:27], s[0:1], 0x0
	s_wait_xcnt 0x0
	v_cmp_gt_u32_e64 s2, 0x100, v0
	v_lshlrev_b32_e32 v20, 2, v0
	v_or_b32_e32 v18, 0xffffff80, v0
	v_lshl_add_u32 v19, v0, 3, 0
	s_and_saveexec_b32 s3, s2
	s_cbranch_execz .LBB83_7
; %bb.5:
	s_wait_kmcnt 0x0
	v_mov_b64_e32 v[2:3], s[24:25]
	v_add3_u32 v1, v20, 0, 0x800
	v_or_b32_e32 v4, 0xffffff80, v0
	v_lshl_add_u32 v5, v0, 3, 0
	v_mov_b32_e32 v6, 0
	s_mov_b32 s4, 0
.LBB83_6:                               ; =>This Inner Loop Header: Depth=1
	s_delay_alu instid0(VALU_DEP_3)
	v_add_co_u32 v4, s5, 0x80, v4
	s_xor_b32 s5, s5, -1
	ds_store_b64 v5, v[2:3]
	ds_store_b32 v1, v6
	v_add_nc_u32_e32 v1, 0x200, v1
	v_add_nc_u32_e32 v5, 0x400, v5
	s_and_b32 s5, exec_lo, s5
	s_delay_alu instid0(SALU_CYCLE_1) | instskip(NEXT) | instid1(SALU_CYCLE_1)
	s_or_b32 s4, s5, s4
	s_and_not1_b32 exec_lo, exec_lo, s4
	s_cbranch_execnz .LBB83_6
.LBB83_7:
	s_or_b32 exec_lo, exec_lo, s3
	s_clause 0x4
	s_load_b64 s[34:35], s[0:1], 0x80
	s_load_b256 s[4:11], s[0:1], 0x58
	s_load_b128 s[28:31], s[0:1], 0x40
	s_load_b64 s[36:37], s[0:1], 0x10
	s_load_b256 s[12:19], s[0:1], 0x20
	s_wait_dscnt 0x0
	s_barrier_signal -1
	s_barrier_wait -1
	s_wait_kmcnt 0x0
	s_load_b64 s[0:1], s[26:27], 0x0
	s_bfe_u32 s3, ttmp6, 0x4000c
	s_wait_xcnt 0x0
	s_and_b32 s26, ttmp6, 15
	s_add_co_i32 s3, s3, 1
	s_getreg_b32 s27, hwreg(HW_REG_IB_STS2, 6, 4)
	s_mul_i32 s3, ttmp9, s3
	s_delay_alu instid0(SALU_CYCLE_1)
	s_add_co_i32 s26, s26, s3
	s_wait_kmcnt 0x0
	s_lshl_b64 s[0:1], s[0:1], 3
	s_cmp_eq_u32 s27, 0
	s_add_nc_u64 s[0:1], s[36:37], s[0:1]
	s_cselect_b32 s3, ttmp9, s26
	s_and_b32 vcc_lo, exec_lo, s40
	s_load_b64 s[26:27], s[0:1], s3 offset:0x0 scale_offset
	s_wait_xcnt 0x0
	s_mov_b32 s1, 0
	s_cbranch_vccz .LBB83_27
; %bb.8:
	s_wait_kmcnt 0x0
	s_lshl_b64 s[36:37], s[26:27], 3
	v_dual_mov_b32 v5, 0 :: v_dual_lshrrev_b32 v4, 4, v0
	s_add_nc_u64 s[12:13], s[12:13], s[36:37]
	s_mov_b32 s0, s20
	s_load_b128 s[40:43], s[12:13], 0x0
	s_mov_b32 s3, exec_lo
	v_sub_nc_u64_e64 v[2:3], v[4:5], s[0:1]
	s_wait_kmcnt 0x0
	s_delay_alu instid0(VALU_DEP_1)
	v_add_nc_u64_e32 v[2:3], s[40:41], v[2:3]
	s_sub_nc_u64 s[12:13], s[42:43], s[0:1]
	s_delay_alu instid0(VALU_DEP_1) | instid1(SALU_CYCLE_1)
	v_cmpx_gt_i64_e64 s[12:13], v[2:3]
	s_cbranch_execz .LBB83_26
; %bb.9:
	v_and_b32_e32 v4, 15, v0
	s_mov_b32 s37, 0
	s_mov_b32 s36, s21
	;; [unrolled: 1-line block ×3, first 2 shown]
	s_delay_alu instid0(VALU_DEP_1)
	v_sub_nc_u64_e64 v[4:5], v[4:5], s[36:37]
	s_branch .LBB83_11
.LBB83_10:                              ;   in Loop: Header=BB83_11 Depth=1
	s_or_b32 exec_lo, exec_lo, s21
	v_add_nc_u64_e32 v[2:3], 8, v[2:3]
	s_delay_alu instid0(VALU_DEP_1) | instskip(SKIP_1) | instid1(SALU_CYCLE_1)
	v_cmp_le_i64_e32 vcc_lo, s[12:13], v[2:3]
	s_or_b32 s20, vcc_lo, s20
	s_and_not1_b32 exec_lo, exec_lo, s20
	s_cbranch_execz .LBB83_26
.LBB83_11:                              ; =>This Loop Header: Depth=1
                                        ;     Child Loop BB83_15 Depth 2
                                        ;       Child Loop BB83_18 Depth 3
	v_lshl_add_u64 v[6:7], v[2:3], 3, s[14:15]
	s_mov_b32 s21, exec_lo
	global_load_b64 v[6:7], v[6:7], off
	s_wait_loadcnt 0x0
	s_wait_xcnt 0x0
	v_sub_nc_u64_e64 v[6:7], v[6:7], s[0:1]
	s_delay_alu instid0(VALU_DEP_1)
	v_lshl_add_u64 v[6:7], v[6:7], 3, s[18:19]
	global_load_b128 v[8:11], v[6:7], off
	s_wait_loadcnt 0x0
	s_wait_xcnt 0x0
	v_sub_nc_u64_e64 v[6:7], v[10:11], s[36:37]
	v_add_nc_u64_e32 v[8:9], v[8:9], v[4:5]
	s_delay_alu instid0(VALU_DEP_1)
	v_cmpx_lt_i64_e64 v[8:9], v[6:7]
	s_cbranch_execz .LBB83_10
; %bb.12:                               ;   in Loop: Header=BB83_11 Depth=1
	v_lshl_add_u64 v[10:11], v[2:3], 2, s[16:17]
	s_mov_b32 s40, 0
	global_load_b32 v1, v[10:11], off
	s_wait_loadcnt 0x0
	v_mul_f32_e32 v1, s38, v1
	s_branch .LBB83_15
.LBB83_13:                              ;   in Loop: Header=BB83_15 Depth=2
	s_or_b32 exec_lo, exec_lo, s42
.LBB83_14:                              ;   in Loop: Header=BB83_15 Depth=2
	s_delay_alu instid0(SALU_CYCLE_1)
	s_or_b32 exec_lo, exec_lo, s41
	s_wait_loadcnt 0x0
	v_mul_f32_e32 v11, v1, v21
	v_lshl_add_u32 v10, v10, 2, 0
	v_add_nc_u64_e32 v[8:9], 16, v[8:9]
	ds_add_f32 v10, v11 offset:2048
	v_cmp_ge_i64_e32 vcc_lo, v[8:9], v[6:7]
	s_or_b32 s40, vcc_lo, s40
	s_delay_alu instid0(SALU_CYCLE_1)
	s_and_not1_b32 exec_lo, exec_lo, s40
	s_cbranch_execz .LBB83_10
.LBB83_15:                              ;   Parent Loop BB83_11 Depth=1
                                        ; =>  This Loop Header: Depth=2
                                        ;       Child Loop BB83_18 Depth 3
	s_wait_xcnt 0x0
	v_lshl_add_u64 v[10:11], v[8:9], 3, s[28:29]
	v_lshl_add_u64 v[12:13], v[8:9], 2, s[30:31]
	s_mov_b32 s41, exec_lo
	global_load_b64 v[10:11], v[10:11], off
	global_load_b32 v21, v[12:13], off
	s_wait_loadcnt 0x1
	s_wait_xcnt 0x0
	v_sub_nc_u64_e64 v[12:13], v[10:11], s[36:37]
	s_delay_alu instid0(VALU_DEP_1) | instskip(NEXT) | instid1(VALU_DEP_1)
	v_mul_lo_u32 v10, 0x89, v12
	v_and_b32_e32 v10, 0xff, v10
	s_delay_alu instid0(VALU_DEP_1)
	v_lshl_add_u32 v22, v10, 3, 0
	ds_load_b64 v[16:17], v22
	s_wait_dscnt 0x0
	v_cmpx_ne_u64_e64 v[16:17], v[12:13]
	s_cbranch_execz .LBB83_14
; %bb.16:                               ;   in Loop: Header=BB83_15 Depth=2
	s_mov_b32 s42, 0
                                        ; implicit-def: $sgpr43
                                        ; implicit-def: $sgpr44
	s_branch .LBB83_18
.LBB83_17:                              ;   in Loop: Header=BB83_18 Depth=3
	s_or_b32 exec_lo, exec_lo, s47
	s_delay_alu instid0(SALU_CYCLE_1) | instskip(NEXT) | instid1(SALU_CYCLE_1)
	s_and_b32 s45, exec_lo, s46
	s_or_b32 s42, s45, s42
	s_and_not1_b32 s43, s43, exec_lo
	s_and_b32 s45, s44, exec_lo
	s_delay_alu instid0(SALU_CYCLE_1)
	s_or_b32 s43, s43, s45
	s_and_not1_b32 exec_lo, exec_lo, s42
	s_cbranch_execz .LBB83_24
.LBB83_18:                              ;   Parent Loop BB83_11 Depth=1
                                        ;     Parent Loop BB83_15 Depth=2
                                        ; =>    This Inner Loop Header: Depth=3
	v_mov_b64_e32 v[14:15], v[10:11]
	s_mov_b32 s45, 0
	s_mov_b32 s46, exec_lo
                                        ; implicit-def: $vgpr10_vgpr11
	v_cmpx_ne_u64_e64 s[24:25], v[16:17]
	s_xor_b32 s46, exec_lo, s46
; %bb.19:                               ;   in Loop: Header=BB83_18 Depth=3
	s_delay_alu instid0(VALU_DEP_2) | instskip(SKIP_1) | instid1(VALU_DEP_1)
	v_add_nc_u32_e32 v10, 1, v14
	s_mov_b32 s45, exec_lo
                                        ; implicit-def: $vgpr22
	v_and_b32_e32 v10, 0xff, v10
; %bb.20:                               ;   in Loop: Header=BB83_18 Depth=3
	s_and_not1_saveexec_b32 s46, s46
	s_cbranch_execz .LBB83_22
; %bb.21:                               ;   in Loop: Header=BB83_18 Depth=3
	v_mov_b64_e32 v[10:11], s[24:25]
	s_and_not1_b32 s45, s45, exec_lo
	ds_cmpstore_rtn_b64 v[10:11], v22, v[12:13], v[10:11]
	s_wait_dscnt 0x0
	v_cmp_ne_u64_e32 vcc_lo, s[24:25], v[10:11]
	v_mov_b64_e32 v[10:11], v[14:15]
	s_and_b32 s47, vcc_lo, exec_lo
	s_delay_alu instid0(SALU_CYCLE_1)
	s_or_b32 s45, s45, s47
.LBB83_22:                              ;   in Loop: Header=BB83_18 Depth=3
	s_or_b32 exec_lo, exec_lo, s46
	s_mov_b32 s46, -1
	s_or_b32 s44, s44, exec_lo
                                        ; implicit-def: $vgpr22
                                        ; implicit-def: $vgpr16_vgpr17
	s_and_saveexec_b32 s47, s45
	s_cbranch_execz .LBB83_17
; %bb.23:                               ;   in Loop: Header=BB83_18 Depth=3
	v_lshl_add_u32 v22, v10, 3, 0
	s_and_not1_b32 s44, s44, exec_lo
	ds_load_b64 v[16:17], v22
	s_wait_dscnt 0x0
	v_cmp_eq_u64_e32 vcc_lo, v[16:17], v[12:13]
	s_or_not1_b32 s46, vcc_lo, exec_lo
	s_branch .LBB83_17
.LBB83_24:                              ;   in Loop: Header=BB83_15 Depth=2
	s_or_b32 exec_lo, exec_lo, s42
	s_and_saveexec_b32 s42, s43
	s_delay_alu instid0(SALU_CYCLE_1)
	s_xor_b32 s42, exec_lo, s42
	s_cbranch_execz .LBB83_13
; %bb.25:                               ;   in Loop: Header=BB83_15 Depth=2
	v_mov_b32_e32 v10, v14
	s_branch .LBB83_13
.LBB83_26:
	s_or_b32 exec_lo, exec_lo, s3
.LBB83_27:
	s_delay_alu instid0(SALU_CYCLE_1)
	s_and_not1_b32 vcc_lo, exec_lo, s39
	s_cbranch_vccnz .LBB83_44
; %bb.28:
	s_wait_kmcnt 0x0
	s_lshl_b64 s[0:1], s[26:27], 3
	v_mov_b32_e32 v1, 0
	s_add_nc_u64 s[0:1], s[4:5], s[0:1]
	s_mov_b32 s3, exec_lo
	s_load_b128 s[12:15], s[0:1], 0x0
	s_wait_xcnt 0x0
	s_mov_b32 s1, 0
	s_mov_b32 s0, s23
	s_delay_alu instid0(SALU_CYCLE_1) | instskip(SKIP_1) | instid1(VALU_DEP_1)
	v_sub_nc_u64_e64 v[2:3], v[0:1], s[0:1]
	s_wait_kmcnt 0x0
	v_add_nc_u64_e32 v[2:3], s[12:13], v[2:3]
	s_sub_nc_u64 s[4:5], s[14:15], s[0:1]
	s_delay_alu instid0(VALU_DEP_1) | instid1(SALU_CYCLE_1)
	v_cmpx_gt_i64_e64 s[4:5], v[2:3]
	s_cbranch_execz .LBB83_43
; %bb.29:
	s_mov_b32 s12, s1
	s_branch .LBB83_32
.LBB83_30:                              ;   in Loop: Header=BB83_32 Depth=1
	s_or_b32 exec_lo, exec_lo, s14
.LBB83_31:                              ;   in Loop: Header=BB83_32 Depth=1
	s_delay_alu instid0(SALU_CYCLE_1)
	s_or_b32 exec_lo, exec_lo, s13
	s_wait_loadcnt 0x0
	v_mul_f32_e32 v1, s33, v1
	v_lshl_add_u32 v4, v4, 2, 0
	v_add_nc_u64_e32 v[2:3], 0x80, v[2:3]
	ds_add_f32 v4, v1 offset:2048
	v_cmp_le_i64_e32 vcc_lo, s[4:5], v[2:3]
	s_or_b32 s12, vcc_lo, s12
	s_delay_alu instid0(SALU_CYCLE_1)
	s_and_not1_b32 exec_lo, exec_lo, s12
	s_cbranch_execz .LBB83_43
.LBB83_32:                              ; =>This Loop Header: Depth=1
                                        ;     Child Loop BB83_35 Depth 2
	v_lshl_add_u64 v[4:5], v[2:3], 3, s[6:7]
	v_lshl_add_u64 v[6:7], v[2:3], 2, s[8:9]
	s_mov_b32 s13, exec_lo
	global_load_b64 v[4:5], v[4:5], off
	global_load_b32 v1, v[6:7], off
	s_wait_loadcnt 0x1
	s_wait_xcnt 0x0
	v_sub_nc_u64_e64 v[6:7], v[4:5], s[0:1]
	s_delay_alu instid0(VALU_DEP_1) | instskip(NEXT) | instid1(VALU_DEP_1)
	v_mul_lo_u32 v4, 0x89, v6
	v_and_b32_e32 v4, 0xff, v4
	s_delay_alu instid0(VALU_DEP_1)
	v_lshl_add_u32 v12, v4, 3, 0
	ds_load_b64 v[10:11], v12
	s_wait_dscnt 0x0
	v_cmpx_ne_u64_e64 v[10:11], v[6:7]
	s_cbranch_execz .LBB83_31
; %bb.33:                               ;   in Loop: Header=BB83_32 Depth=1
	s_mov_b32 s14, 0
                                        ; implicit-def: $sgpr15
                                        ; implicit-def: $sgpr16
	s_branch .LBB83_35
.LBB83_34:                              ;   in Loop: Header=BB83_35 Depth=2
	s_or_b32 exec_lo, exec_lo, s19
	s_delay_alu instid0(SALU_CYCLE_1) | instskip(NEXT) | instid1(SALU_CYCLE_1)
	s_and_b32 s17, exec_lo, s18
	s_or_b32 s14, s17, s14
	s_and_not1_b32 s15, s15, exec_lo
	s_and_b32 s17, s16, exec_lo
	s_delay_alu instid0(SALU_CYCLE_1)
	s_or_b32 s15, s15, s17
	s_and_not1_b32 exec_lo, exec_lo, s14
	s_cbranch_execz .LBB83_41
.LBB83_35:                              ;   Parent Loop BB83_32 Depth=1
                                        ; =>  This Inner Loop Header: Depth=2
	v_mov_b64_e32 v[8:9], v[4:5]
	s_mov_b32 s17, 0
	s_mov_b32 s18, exec_lo
                                        ; implicit-def: $vgpr4_vgpr5
	v_cmpx_ne_u64_e64 s[24:25], v[10:11]
	s_xor_b32 s18, exec_lo, s18
; %bb.36:                               ;   in Loop: Header=BB83_35 Depth=2
	s_delay_alu instid0(VALU_DEP_2) | instskip(SKIP_1) | instid1(VALU_DEP_1)
	v_add_nc_u32_e32 v4, 1, v8
	s_mov_b32 s17, exec_lo
                                        ; implicit-def: $vgpr12
	v_and_b32_e32 v4, 0xff, v4
; %bb.37:                               ;   in Loop: Header=BB83_35 Depth=2
	s_and_not1_saveexec_b32 s18, s18
	s_cbranch_execz .LBB83_39
; %bb.38:                               ;   in Loop: Header=BB83_35 Depth=2
	v_mov_b64_e32 v[4:5], s[24:25]
	s_and_not1_b32 s17, s17, exec_lo
	ds_cmpstore_rtn_b64 v[4:5], v12, v[6:7], v[4:5]
	s_wait_dscnt 0x0
	v_cmp_ne_u64_e32 vcc_lo, s[24:25], v[4:5]
	v_mov_b64_e32 v[4:5], v[8:9]
	s_and_b32 s19, vcc_lo, exec_lo
	s_delay_alu instid0(SALU_CYCLE_1)
	s_or_b32 s17, s17, s19
.LBB83_39:                              ;   in Loop: Header=BB83_35 Depth=2
	s_or_b32 exec_lo, exec_lo, s18
	s_mov_b32 s18, -1
	s_or_b32 s16, s16, exec_lo
                                        ; implicit-def: $vgpr12
                                        ; implicit-def: $vgpr10_vgpr11
	s_and_saveexec_b32 s19, s17
	s_cbranch_execz .LBB83_34
; %bb.40:                               ;   in Loop: Header=BB83_35 Depth=2
	v_lshl_add_u32 v12, v4, 3, 0
	s_and_not1_b32 s16, s16, exec_lo
	ds_load_b64 v[10:11], v12
	s_wait_dscnt 0x0
	v_cmp_eq_u64_e32 vcc_lo, v[10:11], v[6:7]
	s_or_not1_b32 s18, vcc_lo, exec_lo
	s_branch .LBB83_34
.LBB83_41:                              ;   in Loop: Header=BB83_32 Depth=1
	s_or_b32 exec_lo, exec_lo, s14
	s_and_saveexec_b32 s14, s15
	s_delay_alu instid0(SALU_CYCLE_1)
	s_xor_b32 s14, exec_lo, s14
	s_cbranch_execz .LBB83_30
; %bb.42:                               ;   in Loop: Header=BB83_32 Depth=1
	v_mov_b32_e32 v4, v8
	s_branch .LBB83_30
.LBB83_43:
	s_or_b32 exec_lo, exec_lo, s3
.LBB83_44:
	s_wait_dscnt 0x0
	s_barrier_signal -1
	s_barrier_wait -1
	s_and_saveexec_b32 s3, s2
	s_cbranch_execz .LBB83_53
; %bb.45:
	v_mbcnt_lo_u32_b32 v1, -1, 0
	v_dual_mov_b32 v3, 0 :: v_dual_lshrrev_b32 v2, 3, v0
	v_mov_b64_e32 v[4:5], 0
	v_cmp_eq_u32_e64 s0, 0x7f, v0
	s_delay_alu instid0(VALU_DEP_4) | instskip(NEXT) | instid1(VALU_DEP_4)
	v_xor_b32_e32 v1, 31, v1
	v_and_b32_e32 v2, 8, v2
	v_add3_u32 v7, v20, 0, 0x800
	s_mov_b32 s2, 0
	v_cmp_lt_u32_e32 vcc_lo, 63, v0
	v_lshrrev_b32_e64 v6, v1, -1
	v_add_nc_u32_e32 v1, 0, v2
	s_branch .LBB83_47
.LBB83_46:                              ;   in Loop: Header=BB83_47 Depth=1
	s_or_b32 exec_lo, exec_lo, s1
	s_wait_dscnt 0x0
	s_barrier_signal -1
	s_barrier_wait -1
	ds_load_b64 v[8:9], v3 offset:3080
	v_add_co_u32 v18, s1, 0x80, v18
	s_xor_b32 s1, s1, -1
	v_add_nc_u32_e32 v7, 0x200, v7
	v_add_nc_u32_e32 v19, 0x400, v19
	s_and_b32 s1, exec_lo, s1
	s_delay_alu instid0(SALU_CYCLE_1)
	s_or_b32 s2, s1, s2
	s_wait_dscnt 0x0
	v_add_nc_u64_e32 v[4:5], v[8:9], v[4:5]
	s_and_not1_b32 exec_lo, exec_lo, s2
	s_cbranch_execz .LBB83_53
.LBB83_47:                              ; =>This Inner Loop Header: Depth=1
	ds_load_b64 v[8:9], v19
	ds_load_b32 v12, v7
	s_wait_dscnt 0x0
	s_barrier_signal -1
	s_barrier_wait -1
	v_mov_b32_e32 v11, v3
	v_cmp_gt_i64_e64 s1, s[24:25], v[8:9]
	s_delay_alu instid0(VALU_DEP_1) | instskip(SKIP_1) | instid1(SALU_CYCLE_1)
	v_and_b32_e32 v2, s1, v6
	s_bcnt1_i32_b32 s4, s1
	v_mov_b32_e32 v10, s4
	s_delay_alu instid0(VALU_DEP_2)
	v_bcnt_u32_b32 v2, v2, 0
	ds_store_b64 v1, v[10:11] offset:3072
	s_wait_dscnt 0x0
	v_mov_b64_e32 v[10:11], v[2:3]
	s_barrier_signal -1
	s_barrier_wait -1
	s_and_saveexec_b32 s4, vcc_lo
	s_cbranch_execnz .LBB83_50
; %bb.48:                               ;   in Loop: Header=BB83_47 Depth=1
	s_or_b32 exec_lo, exec_lo, s4
	s_and_saveexec_b32 s4, s1
	s_cbranch_execnz .LBB83_51
.LBB83_49:                              ;   in Loop: Header=BB83_47 Depth=1
	s_or_b32 exec_lo, exec_lo, s4
	s_and_saveexec_b32 s1, s0
	s_cbranch_execz .LBB83_46
	s_branch .LBB83_52
.LBB83_50:                              ;   in Loop: Header=BB83_47 Depth=1
	ds_load_b64 v[10:11], v3 offset:3072
	s_wait_dscnt 0x0
	v_add_nc_u64_e32 v[10:11], v[10:11], v[2:3]
	s_or_b32 exec_lo, exec_lo, s4
	s_and_saveexec_b32 s4, s1
	s_cbranch_execz .LBB83_49
.LBB83_51:                              ;   in Loop: Header=BB83_47 Depth=1
	s_delay_alu instid0(VALU_DEP_1) | instskip(SKIP_1) | instid1(VALU_DEP_2)
	v_add3_u32 v2, v4, -1, v10
	v_add_nc_u32_e32 v11, v4, v10
	v_lshl_add_u32 v2, v2, 3, 0
	s_delay_alu instid0(VALU_DEP_2)
	v_lshl_add_u32 v11, v11, 2, 0
	ds_store_b64 v2, v[8:9]
	ds_store_b32 v11, v12 offset:2044
	s_or_b32 exec_lo, exec_lo, s4
	s_and_saveexec_b32 s1, s0
	s_cbranch_execz .LBB83_46
.LBB83_52:                              ;   in Loop: Header=BB83_47 Depth=1
	v_ashrrev_i32_e32 v11, 31, v10
	ds_store_b64 v3, v[10:11] offset:3080
	s_branch .LBB83_46
.LBB83_53:
	s_or_b32 exec_lo, exec_lo, s3
	s_wait_kmcnt 0x0
	s_lshl_b64 s[0:1], s[26:27], 3
	v_mov_b32_e32 v1, 0
	s_add_nc_u64 s[4:5], s[10:11], s[0:1]
	s_mov_b32 s6, exec_lo
	s_load_b128 s[0:3], s[4:5], 0x0
	s_wait_kmcnt 0x0
	s_sub_nc_u64 s[4:5], s[2:3], s[0:1]
	s_delay_alu instid0(SALU_CYCLE_1)
	v_cmpx_gt_i64_e64 s[4:5], v[0:1]
	s_cbranch_execz .LBB83_63
; %bb.54:
	s_sub_nc_u64 s[8:9], s[0:1], s[2:3]
	s_and_b64 s[6:7], s[4:5], 7
	v_cmp_lt_u64_e64 s10, s[8:9], -7
	s_and_b64 s[2:3], s[4:5], -8
	s_mov_b32 s23, 0
	s_cmp_lg_u64 s[6:7], 0
	s_sub_nc_u64 s[0:1], s[0:1], s[22:23]
	s_cselect_b32 s11, -1, 0
	s_mov_b32 s12, 0
	s_branch .LBB83_56
.LBB83_55:                              ;   in Loop: Header=BB83_56 Depth=1
	v_add_nc_u64_e32 v[0:1], 0x80, v[0:1]
	s_wait_dscnt 0x1
	s_delay_alu instid0(VALU_DEP_2)
	v_lshl_add_u64 v[2:3], v[4:5], 2, s[34:35]
	s_wait_dscnt 0x0
	global_store_b32 v[2:3], v6, off
	v_cmp_le_i64_e32 vcc_lo, s[4:5], v[0:1]
	s_or_b32 s12, vcc_lo, s12
	s_wait_xcnt 0x0
	s_and_not1_b32 exec_lo, exec_lo, s12
	s_cbranch_execz .LBB83_63
.LBB83_56:                              ; =>This Loop Header: Depth=1
                                        ;     Child Loop BB83_58 Depth 2
                                        ;     Child Loop BB83_62 Depth 2
	v_lshl_add_u32 v2, v0, 3, 0
	v_lshlrev_b32_e32 v3, 2, v0
	s_and_not1_b32 vcc_lo, exec_lo, s10
	s_mov_b64 s[8:9], 0
	s_delay_alu instid0(VALU_DEP_1)
	v_sub_nc_u32_e32 v4, v2, v3
	ds_load_b64 v[2:3], v2
	ds_load_b32 v6, v4 offset:2048
	v_mov_b64_e32 v[4:5], s[0:1]
	s_cbranch_vccnz .LBB83_60
; %bb.57:                               ;   in Loop: Header=BB83_56 Depth=1
	v_mov_b64_e32 v[4:5], s[0:1]
	s_mov_b32 s13, 0
.LBB83_58:                              ;   Parent Loop BB83_56 Depth=1
                                        ; =>  This Inner Loop Header: Depth=2
	s_delay_alu instid0(SALU_CYCLE_1)
	v_dual_mov_b32 v7, s13 :: v_dual_mov_b32 v17, s23
	s_add_nc_u64 s[8:9], s[8:9], 8
	s_add_co_i32 s13, s13, 64
	s_cmp_eq_u64 s[2:3], s[8:9]
	ds_load_2addr_b64 v[8:11], v7 offset1:1
	ds_load_2addr_b64 v[12:15], v7 offset0:2 offset1:3
	s_wait_dscnt 0x1
	v_cmp_gt_i64_e32 vcc_lo, v[2:3], v[8:9]
	v_cndmask_b32_e64 v16, 0, 1, vcc_lo
	v_cmp_gt_i64_e32 vcc_lo, v[2:3], v[10:11]
	ds_load_2addr_b64 v[8:11], v7 offset0:4 offset1:5
	v_add_nc_u64_e32 v[4:5], v[4:5], v[16:17]
	v_cndmask_b32_e64 v18, 0, 1, vcc_lo
	s_wait_dscnt 0x1
	v_cmp_gt_i64_e32 vcc_lo, v[2:3], v[12:13]
	v_cndmask_b32_e64 v16, 0, 1, vcc_lo
	v_cmp_gt_i64_e32 vcc_lo, v[2:3], v[14:15]
	ds_load_2addr_b64 v[12:15], v7 offset0:6 offset1:7
	v_mov_b32_e32 v19, s23
	s_delay_alu instid0(VALU_DEP_1) | instskip(SKIP_4) | instid1(VALU_DEP_4)
	v_add_nc_u64_e32 v[4:5], v[4:5], v[18:19]
	v_cndmask_b32_e64 v18, 0, 1, vcc_lo
	s_wait_dscnt 0x1
	v_cmp_gt_i64_e32 vcc_lo, v[2:3], v[8:9]
	v_mov_b32_e32 v9, s23
	v_add_nc_u64_e32 v[4:5], v[4:5], v[16:17]
	v_cndmask_b32_e64 v16, 0, 1, vcc_lo
	v_cmp_gt_i64_e32 vcc_lo, v[2:3], v[10:11]
	v_mov_b32_e32 v11, s23
	s_delay_alu instid0(VALU_DEP_4) | instskip(SKIP_3) | instid1(VALU_DEP_3)
	v_add_nc_u64_e32 v[4:5], v[4:5], v[18:19]
	v_cndmask_b32_e64 v8, 0, 1, vcc_lo
	s_wait_dscnt 0x0
	v_cmp_gt_i64_e32 vcc_lo, v[2:3], v[12:13]
	v_add_nc_u64_e32 v[4:5], v[4:5], v[16:17]
	v_cndmask_b32_e64 v10, 0, 1, vcc_lo
	v_cmp_gt_i64_e32 vcc_lo, v[2:3], v[14:15]
	s_delay_alu instid0(VALU_DEP_3) | instskip(SKIP_1) | instid1(VALU_DEP_2)
	v_add_nc_u64_e32 v[4:5], v[4:5], v[8:9]
	v_cndmask_b32_e64 v8, 0, 1, vcc_lo
	v_add_nc_u64_e32 v[4:5], v[4:5], v[10:11]
	s_delay_alu instid0(VALU_DEP_1)
	v_add_nc_u64_e32 v[4:5], v[4:5], v[8:9]
	s_cbranch_scc0 .LBB83_58
; %bb.59:                               ;   in Loop: Header=BB83_56 Depth=1
	s_mov_b64 s[8:9], s[2:3]
.LBB83_60:                              ;   in Loop: Header=BB83_56 Depth=1
	s_and_not1_b32 vcc_lo, exec_lo, s11
	s_cbranch_vccnz .LBB83_55
; %bb.61:                               ;   in Loop: Header=BB83_56 Depth=1
	s_lshl_b32 s8, s8, 3
	s_delay_alu instid0(SALU_CYCLE_1)
	s_add_co_i32 s13, s8, 0
	s_mov_b64 s[8:9], s[6:7]
.LBB83_62:                              ;   Parent Loop BB83_56 Depth=1
                                        ; =>  This Inner Loop Header: Depth=2
	v_dual_mov_b32 v7, s13 :: v_dual_mov_b32 v11, s23
	s_add_nc_u64 s[8:9], s[8:9], -1
	s_add_co_i32 s13, s13, 8
	s_cmp_lg_u64 s[8:9], 0
	ds_load_b64 v[8:9], v7
	s_wait_dscnt 0x0
	v_cmp_gt_i64_e32 vcc_lo, v[2:3], v[8:9]
	v_cndmask_b32_e64 v10, 0, 1, vcc_lo
	s_delay_alu instid0(VALU_DEP_1)
	v_add_nc_u64_e32 v[4:5], v[4:5], v[10:11]
	s_cbranch_scc1 .LBB83_62
	s_branch .LBB83_55
.LBB83_63:
	s_endpgm
	.section	.rodata,"a",@progbits
	.p2align	6, 0x0
	.amdhsa_kernel _ZN9rocsparseL41csrgemm_numeric_fill_block_per_row_kernelILj128ELj16ELj256ELj137ELj64EllfEEvT5_PKS1_S3_NS_24const_host_device_scalarIT6_EEPKT4_S3_PKS5_S9_S3_SB_S6_S9_S3_SB_S9_S3_PS5_21rocsparse_index_base_SD_SD_SD_bbb
		.amdhsa_group_segment_fixed_size 0
		.amdhsa_private_segment_fixed_size 0
		.amdhsa_kernarg_size 156
		.amdhsa_user_sgpr_count 2
		.amdhsa_user_sgpr_dispatch_ptr 0
		.amdhsa_user_sgpr_queue_ptr 0
		.amdhsa_user_sgpr_kernarg_segment_ptr 1
		.amdhsa_user_sgpr_dispatch_id 0
		.amdhsa_user_sgpr_kernarg_preload_length 0
		.amdhsa_user_sgpr_kernarg_preload_offset 0
		.amdhsa_user_sgpr_private_segment_size 0
		.amdhsa_wavefront_size32 1
		.amdhsa_uses_dynamic_stack 0
		.amdhsa_enable_private_segment 0
		.amdhsa_system_sgpr_workgroup_id_x 1
		.amdhsa_system_sgpr_workgroup_id_y 0
		.amdhsa_system_sgpr_workgroup_id_z 0
		.amdhsa_system_sgpr_workgroup_info 0
		.amdhsa_system_vgpr_workitem_id 0
		.amdhsa_next_free_vgpr 23
		.amdhsa_next_free_sgpr 48
		.amdhsa_named_barrier_count 0
		.amdhsa_reserve_vcc 1
		.amdhsa_float_round_mode_32 0
		.amdhsa_float_round_mode_16_64 0
		.amdhsa_float_denorm_mode_32 3
		.amdhsa_float_denorm_mode_16_64 3
		.amdhsa_fp16_overflow 0
		.amdhsa_memory_ordered 1
		.amdhsa_forward_progress 1
		.amdhsa_inst_pref_size 21
		.amdhsa_round_robin_scheduling 0
		.amdhsa_exception_fp_ieee_invalid_op 0
		.amdhsa_exception_fp_denorm_src 0
		.amdhsa_exception_fp_ieee_div_zero 0
		.amdhsa_exception_fp_ieee_overflow 0
		.amdhsa_exception_fp_ieee_underflow 0
		.amdhsa_exception_fp_ieee_inexact 0
		.amdhsa_exception_int_div_zero 0
	.end_amdhsa_kernel
	.section	.text._ZN9rocsparseL41csrgemm_numeric_fill_block_per_row_kernelILj128ELj16ELj256ELj137ELj64EllfEEvT5_PKS1_S3_NS_24const_host_device_scalarIT6_EEPKT4_S3_PKS5_S9_S3_SB_S6_S9_S3_SB_S9_S3_PS5_21rocsparse_index_base_SD_SD_SD_bbb,"axG",@progbits,_ZN9rocsparseL41csrgemm_numeric_fill_block_per_row_kernelILj128ELj16ELj256ELj137ELj64EllfEEvT5_PKS1_S3_NS_24const_host_device_scalarIT6_EEPKT4_S3_PKS5_S9_S3_SB_S6_S9_S3_SB_S9_S3_PS5_21rocsparse_index_base_SD_SD_SD_bbb,comdat
.Lfunc_end83:
	.size	_ZN9rocsparseL41csrgemm_numeric_fill_block_per_row_kernelILj128ELj16ELj256ELj137ELj64EllfEEvT5_PKS1_S3_NS_24const_host_device_scalarIT6_EEPKT4_S3_PKS5_S9_S3_SB_S6_S9_S3_SB_S9_S3_PS5_21rocsparse_index_base_SD_SD_SD_bbb, .Lfunc_end83-_ZN9rocsparseL41csrgemm_numeric_fill_block_per_row_kernelILj128ELj16ELj256ELj137ELj64EllfEEvT5_PKS1_S3_NS_24const_host_device_scalarIT6_EEPKT4_S3_PKS5_S9_S3_SB_S6_S9_S3_SB_S9_S3_PS5_21rocsparse_index_base_SD_SD_SD_bbb
                                        ; -- End function
	.set _ZN9rocsparseL41csrgemm_numeric_fill_block_per_row_kernelILj128ELj16ELj256ELj137ELj64EllfEEvT5_PKS1_S3_NS_24const_host_device_scalarIT6_EEPKT4_S3_PKS5_S9_S3_SB_S6_S9_S3_SB_S9_S3_PS5_21rocsparse_index_base_SD_SD_SD_bbb.num_vgpr, 23
	.set _ZN9rocsparseL41csrgemm_numeric_fill_block_per_row_kernelILj128ELj16ELj256ELj137ELj64EllfEEvT5_PKS1_S3_NS_24const_host_device_scalarIT6_EEPKT4_S3_PKS5_S9_S3_SB_S6_S9_S3_SB_S9_S3_PS5_21rocsparse_index_base_SD_SD_SD_bbb.num_agpr, 0
	.set _ZN9rocsparseL41csrgemm_numeric_fill_block_per_row_kernelILj128ELj16ELj256ELj137ELj64EllfEEvT5_PKS1_S3_NS_24const_host_device_scalarIT6_EEPKT4_S3_PKS5_S9_S3_SB_S6_S9_S3_SB_S9_S3_PS5_21rocsparse_index_base_SD_SD_SD_bbb.numbered_sgpr, 48
	.set _ZN9rocsparseL41csrgemm_numeric_fill_block_per_row_kernelILj128ELj16ELj256ELj137ELj64EllfEEvT5_PKS1_S3_NS_24const_host_device_scalarIT6_EEPKT4_S3_PKS5_S9_S3_SB_S6_S9_S3_SB_S9_S3_PS5_21rocsparse_index_base_SD_SD_SD_bbb.num_named_barrier, 0
	.set _ZN9rocsparseL41csrgemm_numeric_fill_block_per_row_kernelILj128ELj16ELj256ELj137ELj64EllfEEvT5_PKS1_S3_NS_24const_host_device_scalarIT6_EEPKT4_S3_PKS5_S9_S3_SB_S6_S9_S3_SB_S9_S3_PS5_21rocsparse_index_base_SD_SD_SD_bbb.private_seg_size, 0
	.set _ZN9rocsparseL41csrgemm_numeric_fill_block_per_row_kernelILj128ELj16ELj256ELj137ELj64EllfEEvT5_PKS1_S3_NS_24const_host_device_scalarIT6_EEPKT4_S3_PKS5_S9_S3_SB_S6_S9_S3_SB_S9_S3_PS5_21rocsparse_index_base_SD_SD_SD_bbb.uses_vcc, 1
	.set _ZN9rocsparseL41csrgemm_numeric_fill_block_per_row_kernelILj128ELj16ELj256ELj137ELj64EllfEEvT5_PKS1_S3_NS_24const_host_device_scalarIT6_EEPKT4_S3_PKS5_S9_S3_SB_S6_S9_S3_SB_S9_S3_PS5_21rocsparse_index_base_SD_SD_SD_bbb.uses_flat_scratch, 0
	.set _ZN9rocsparseL41csrgemm_numeric_fill_block_per_row_kernelILj128ELj16ELj256ELj137ELj64EllfEEvT5_PKS1_S3_NS_24const_host_device_scalarIT6_EEPKT4_S3_PKS5_S9_S3_SB_S6_S9_S3_SB_S9_S3_PS5_21rocsparse_index_base_SD_SD_SD_bbb.has_dyn_sized_stack, 0
	.set _ZN9rocsparseL41csrgemm_numeric_fill_block_per_row_kernelILj128ELj16ELj256ELj137ELj64EllfEEvT5_PKS1_S3_NS_24const_host_device_scalarIT6_EEPKT4_S3_PKS5_S9_S3_SB_S6_S9_S3_SB_S9_S3_PS5_21rocsparse_index_base_SD_SD_SD_bbb.has_recursion, 0
	.set _ZN9rocsparseL41csrgemm_numeric_fill_block_per_row_kernelILj128ELj16ELj256ELj137ELj64EllfEEvT5_PKS1_S3_NS_24const_host_device_scalarIT6_EEPKT4_S3_PKS5_S9_S3_SB_S6_S9_S3_SB_S9_S3_PS5_21rocsparse_index_base_SD_SD_SD_bbb.has_indirect_call, 0
	.section	.AMDGPU.csdata,"",@progbits
; Kernel info:
; codeLenInByte = 2636
; TotalNumSgprs: 50
; NumVgprs: 23
; ScratchSize: 0
; MemoryBound: 0
; FloatMode: 240
; IeeeMode: 1
; LDSByteSize: 0 bytes/workgroup (compile time only)
; SGPRBlocks: 0
; VGPRBlocks: 1
; NumSGPRsForWavesPerEU: 50
; NumVGPRsForWavesPerEU: 23
; NamedBarCnt: 0
; Occupancy: 16
; WaveLimiterHint : 1
; COMPUTE_PGM_RSRC2:SCRATCH_EN: 0
; COMPUTE_PGM_RSRC2:USER_SGPR: 2
; COMPUTE_PGM_RSRC2:TRAP_HANDLER: 0
; COMPUTE_PGM_RSRC2:TGID_X_EN: 1
; COMPUTE_PGM_RSRC2:TGID_Y_EN: 0
; COMPUTE_PGM_RSRC2:TGID_Z_EN: 0
; COMPUTE_PGM_RSRC2:TIDIG_COMP_CNT: 0
	.section	.text._ZN9rocsparseL41csrgemm_numeric_fill_block_per_row_kernelILj256ELj32ELj512ELj137ELj32EllfEEvT5_PKS1_S3_NS_24const_host_device_scalarIT6_EEPKT4_S3_PKS5_S9_S3_SB_S6_S9_S3_SB_S9_S3_PS5_21rocsparse_index_base_SD_SD_SD_bbb,"axG",@progbits,_ZN9rocsparseL41csrgemm_numeric_fill_block_per_row_kernelILj256ELj32ELj512ELj137ELj32EllfEEvT5_PKS1_S3_NS_24const_host_device_scalarIT6_EEPKT4_S3_PKS5_S9_S3_SB_S6_S9_S3_SB_S9_S3_PS5_21rocsparse_index_base_SD_SD_SD_bbb,comdat
	.globl	_ZN9rocsparseL41csrgemm_numeric_fill_block_per_row_kernelILj256ELj32ELj512ELj137ELj32EllfEEvT5_PKS1_S3_NS_24const_host_device_scalarIT6_EEPKT4_S3_PKS5_S9_S3_SB_S6_S9_S3_SB_S9_S3_PS5_21rocsparse_index_base_SD_SD_SD_bbb ; -- Begin function _ZN9rocsparseL41csrgemm_numeric_fill_block_per_row_kernelILj256ELj32ELj512ELj137ELj32EllfEEvT5_PKS1_S3_NS_24const_host_device_scalarIT6_EEPKT4_S3_PKS5_S9_S3_SB_S6_S9_S3_SB_S9_S3_PS5_21rocsparse_index_base_SD_SD_SD_bbb
	.p2align	8
	.type	_ZN9rocsparseL41csrgemm_numeric_fill_block_per_row_kernelILj256ELj32ELj512ELj137ELj32EllfEEvT5_PKS1_S3_NS_24const_host_device_scalarIT6_EEPKT4_S3_PKS5_S9_S3_SB_S6_S9_S3_SB_S9_S3_PS5_21rocsparse_index_base_SD_SD_SD_bbb,@function
_ZN9rocsparseL41csrgemm_numeric_fill_block_per_row_kernelILj256ELj32ELj512ELj137ELj32EllfEEvT5_PKS1_S3_NS_24const_host_device_scalarIT6_EEPKT4_S3_PKS5_S9_S3_SB_S6_S9_S3_SB_S9_S3_PS5_21rocsparse_index_base_SD_SD_SD_bbb: ; @_ZN9rocsparseL41csrgemm_numeric_fill_block_per_row_kernelILj256ELj32ELj512ELj137ELj32EllfEEvT5_PKS1_S3_NS_24const_host_device_scalarIT6_EEPKT4_S3_PKS5_S9_S3_SB_S6_S9_S3_SB_S9_S3_PS5_21rocsparse_index_base_SD_SD_SD_bbb
; %bb.0:
	s_clause 0x2
	s_load_b32 s6, s[0:1], 0x98
	s_load_b64 s[4:5], s[0:1], 0x18
	s_load_b64 s[2:3], s[0:1], 0x50
	s_wait_kmcnt 0x0
	s_and_b32 s8, 1, s6
	s_bitcmp1_b32 s6, 16
	s_cselect_b32 s7, -1, 0
	s_cmp_eq_u32 s8, 1
	s_cselect_b32 s40, -1, 0
	s_delay_alu instid0(SALU_CYCLE_1) | instskip(SKIP_2) | instid1(SALU_CYCLE_1)
	s_and_b32 s8, s40, exec_lo
	s_cselect_b32 s38, s4, 0
	s_xor_b32 s8, s40, -1
	s_or_b32 s8, s7, s8
	s_delay_alu instid0(SALU_CYCLE_1)
	s_and_b32 vcc_lo, exec_lo, s8
	s_cbranch_vccnz .LBB84_2
; %bb.1:
	s_load_b32 s38, s[4:5], 0x0
.LBB84_2:
	s_load_b128 s[20:23], s[0:1], 0x88
	s_bitcmp1_b32 s6, 8
	s_cselect_b32 s39, -1, 0
	s_wait_xcnt 0x0
	s_and_b32 s4, s39, exec_lo
	s_cselect_b32 s33, s2, 0
	s_xor_b32 s4, s39, -1
	s_delay_alu instid0(SALU_CYCLE_1) | instskip(NEXT) | instid1(SALU_CYCLE_1)
	s_or_b32 s4, s7, s4
	s_and_b32 vcc_lo, exec_lo, s4
	s_cbranch_vccnz .LBB84_4
; %bb.3:
	s_load_b32 s33, s[2:3], 0x0
.LBB84_4:
	s_load_b128 s[24:27], s[0:1], 0x0
	s_wait_xcnt 0x0
	v_cmp_gt_u32_e64 s2, 0x200, v0
	v_lshlrev_b32_e32 v22, 2, v0
	v_or_b32_e32 v20, 0xffffff00, v0
	v_lshl_add_u32 v21, v0, 3, 0
	s_and_saveexec_b32 s3, s2
	s_cbranch_execz .LBB84_7
; %bb.5:
	s_wait_kmcnt 0x0
	v_mov_b64_e32 v[2:3], s[24:25]
	v_add3_u32 v1, v22, 0, 0x1000
	v_or_b32_e32 v4, 0xffffff00, v0
	v_lshl_add_u32 v5, v0, 3, 0
	v_mov_b32_e32 v6, 0
	s_mov_b32 s4, 0
.LBB84_6:                               ; =>This Inner Loop Header: Depth=1
	s_delay_alu instid0(VALU_DEP_3)
	v_add_co_u32 v4, s5, 0x100, v4
	s_xor_b32 s5, s5, -1
	ds_store_b64 v5, v[2:3]
	ds_store_b32 v1, v6
	v_add_nc_u32_e32 v1, 0x400, v1
	v_add_nc_u32_e32 v5, 0x800, v5
	s_and_b32 s5, exec_lo, s5
	s_delay_alu instid0(SALU_CYCLE_1) | instskip(NEXT) | instid1(SALU_CYCLE_1)
	s_or_b32 s4, s5, s4
	s_and_not1_b32 exec_lo, exec_lo, s4
	s_cbranch_execnz .LBB84_6
.LBB84_7:
	s_or_b32 exec_lo, exec_lo, s3
	s_clause 0x4
	s_load_b64 s[34:35], s[0:1], 0x80
	s_load_b256 s[4:11], s[0:1], 0x58
	s_load_b128 s[28:31], s[0:1], 0x40
	s_load_b64 s[36:37], s[0:1], 0x10
	s_load_b256 s[12:19], s[0:1], 0x20
	s_wait_dscnt 0x0
	s_barrier_signal -1
	s_barrier_wait -1
	s_wait_kmcnt 0x0
	s_load_b64 s[0:1], s[26:27], 0x0
	s_bfe_u32 s3, ttmp6, 0x4000c
	s_wait_xcnt 0x0
	s_and_b32 s26, ttmp6, 15
	s_add_co_i32 s3, s3, 1
	s_getreg_b32 s27, hwreg(HW_REG_IB_STS2, 6, 4)
	s_mul_i32 s3, ttmp9, s3
	v_lshrrev_b32_e32 v2, 5, v0
	s_add_co_i32 s26, s26, s3
	s_wait_kmcnt 0x0
	s_lshl_b64 s[0:1], s[0:1], 3
	s_cmp_eq_u32 s27, 0
	s_add_nc_u64 s[0:1], s[36:37], s[0:1]
	s_cselect_b32 s3, ttmp9, s26
	s_and_b32 vcc_lo, exec_lo, s40
	s_load_b64 s[26:27], s[0:1], s3 offset:0x0 scale_offset
	s_wait_xcnt 0x0
	s_mov_b32 s1, 0
	s_cbranch_vccz .LBB84_27
; %bb.8:
	s_wait_kmcnt 0x0
	s_lshl_b64 s[36:37], s[26:27], 3
	v_mov_b32_e32 v3, 0
	s_add_nc_u64 s[12:13], s[12:13], s[36:37]
	s_mov_b32 s0, s20
	s_load_b128 s[40:43], s[12:13], 0x0
	s_mov_b32 s3, exec_lo
	v_sub_nc_u64_e64 v[4:5], v[2:3], s[0:1]
	s_wait_kmcnt 0x0
	s_delay_alu instid0(VALU_DEP_1)
	v_add_nc_u64_e32 v[4:5], s[40:41], v[4:5]
	s_sub_nc_u64 s[12:13], s[42:43], s[0:1]
	s_delay_alu instid0(VALU_DEP_1) | instid1(SALU_CYCLE_1)
	v_cmpx_gt_i64_e64 s[12:13], v[4:5]
	s_cbranch_execz .LBB84_26
; %bb.9:
	v_dual_mov_b32 v7, v3 :: v_dual_bitop2_b32 v6, 31, v0 bitop3:0x40
	s_mov_b32 s37, 0
	s_mov_b32 s36, s21
	s_mov_b32 s20, s37
	s_delay_alu instid0(VALU_DEP_1)
	v_sub_nc_u64_e64 v[6:7], v[6:7], s[36:37]
	s_branch .LBB84_11
.LBB84_10:                              ;   in Loop: Header=BB84_11 Depth=1
	s_or_b32 exec_lo, exec_lo, s21
	v_add_nc_u64_e32 v[4:5], 8, v[4:5]
	s_delay_alu instid0(VALU_DEP_1) | instskip(SKIP_1) | instid1(SALU_CYCLE_1)
	v_cmp_le_i64_e32 vcc_lo, s[12:13], v[4:5]
	s_or_b32 s20, vcc_lo, s20
	s_and_not1_b32 exec_lo, exec_lo, s20
	s_cbranch_execz .LBB84_26
.LBB84_11:                              ; =>This Loop Header: Depth=1
                                        ;     Child Loop BB84_15 Depth 2
                                        ;       Child Loop BB84_18 Depth 3
	v_lshl_add_u64 v[8:9], v[4:5], 3, s[14:15]
	s_mov_b32 s21, exec_lo
	global_load_b64 v[8:9], v[8:9], off
	s_wait_loadcnt 0x0
	s_wait_xcnt 0x0
	v_sub_nc_u64_e64 v[8:9], v[8:9], s[0:1]
	s_delay_alu instid0(VALU_DEP_1)
	v_lshl_add_u64 v[8:9], v[8:9], 3, s[18:19]
	global_load_b128 v[10:13], v[8:9], off
	s_wait_loadcnt 0x0
	s_wait_xcnt 0x0
	v_sub_nc_u64_e64 v[8:9], v[12:13], s[36:37]
	v_add_nc_u64_e32 v[10:11], v[10:11], v[6:7]
	s_delay_alu instid0(VALU_DEP_1)
	v_cmpx_lt_i64_e64 v[10:11], v[8:9]
	s_cbranch_execz .LBB84_10
; %bb.12:                               ;   in Loop: Header=BB84_11 Depth=1
	v_lshl_add_u64 v[12:13], v[4:5], 2, s[16:17]
	s_mov_b32 s40, 0
	global_load_b32 v1, v[12:13], off
	s_wait_loadcnt 0x0
	v_mul_f32_e32 v1, s38, v1
	s_branch .LBB84_15
.LBB84_13:                              ;   in Loop: Header=BB84_15 Depth=2
	s_or_b32 exec_lo, exec_lo, s42
.LBB84_14:                              ;   in Loop: Header=BB84_15 Depth=2
	s_delay_alu instid0(SALU_CYCLE_1)
	s_or_b32 exec_lo, exec_lo, s41
	s_wait_loadcnt 0x0
	v_mul_f32_e32 v3, v1, v3
	v_lshl_add_u32 v12, v12, 2, 0
	v_add_nc_u64_e32 v[10:11], 32, v[10:11]
	ds_add_f32 v12, v3 offset:4096
	v_cmp_ge_i64_e32 vcc_lo, v[10:11], v[8:9]
	s_or_b32 s40, vcc_lo, s40
	s_delay_alu instid0(SALU_CYCLE_1)
	s_and_not1_b32 exec_lo, exec_lo, s40
	s_cbranch_execz .LBB84_10
.LBB84_15:                              ;   Parent Loop BB84_11 Depth=1
                                        ; =>  This Loop Header: Depth=2
                                        ;       Child Loop BB84_18 Depth 3
	s_wait_xcnt 0x0
	v_lshl_add_u64 v[12:13], v[10:11], 3, s[28:29]
	v_lshl_add_u64 v[14:15], v[10:11], 2, s[30:31]
	s_mov_b32 s41, exec_lo
	global_load_b64 v[12:13], v[12:13], off
	global_load_b32 v3, v[14:15], off
	s_wait_loadcnt 0x1
	s_wait_xcnt 0x0
	v_sub_nc_u64_e64 v[14:15], v[12:13], s[36:37]
	s_delay_alu instid0(VALU_DEP_1) | instskip(NEXT) | instid1(VALU_DEP_1)
	v_mul_lo_u32 v12, 0x89, v14
	v_and_b32_e32 v12, 0x1ff, v12
	s_delay_alu instid0(VALU_DEP_1)
	v_lshl_add_u32 v23, v12, 3, 0
	ds_load_b64 v[18:19], v23
	s_wait_dscnt 0x0
	v_cmpx_ne_u64_e64 v[18:19], v[14:15]
	s_cbranch_execz .LBB84_14
; %bb.16:                               ;   in Loop: Header=BB84_15 Depth=2
	s_mov_b32 s42, 0
                                        ; implicit-def: $sgpr43
                                        ; implicit-def: $sgpr44
	s_branch .LBB84_18
.LBB84_17:                              ;   in Loop: Header=BB84_18 Depth=3
	s_or_b32 exec_lo, exec_lo, s47
	s_delay_alu instid0(SALU_CYCLE_1) | instskip(NEXT) | instid1(SALU_CYCLE_1)
	s_and_b32 s45, exec_lo, s46
	s_or_b32 s42, s45, s42
	s_and_not1_b32 s43, s43, exec_lo
	s_and_b32 s45, s44, exec_lo
	s_delay_alu instid0(SALU_CYCLE_1)
	s_or_b32 s43, s43, s45
	s_and_not1_b32 exec_lo, exec_lo, s42
	s_cbranch_execz .LBB84_24
.LBB84_18:                              ;   Parent Loop BB84_11 Depth=1
                                        ;     Parent Loop BB84_15 Depth=2
                                        ; =>    This Inner Loop Header: Depth=3
	v_mov_b64_e32 v[16:17], v[12:13]
	s_mov_b32 s45, 0
	s_mov_b32 s46, exec_lo
                                        ; implicit-def: $vgpr12_vgpr13
	v_cmpx_ne_u64_e64 s[24:25], v[18:19]
	s_xor_b32 s46, exec_lo, s46
; %bb.19:                               ;   in Loop: Header=BB84_18 Depth=3
	s_delay_alu instid0(VALU_DEP_2) | instskip(SKIP_1) | instid1(VALU_DEP_1)
	v_add_nc_u32_e32 v12, 1, v16
	s_mov_b32 s45, exec_lo
                                        ; implicit-def: $vgpr23
	v_and_b32_e32 v12, 0x1ff, v12
; %bb.20:                               ;   in Loop: Header=BB84_18 Depth=3
	s_and_not1_saveexec_b32 s46, s46
	s_cbranch_execz .LBB84_22
; %bb.21:                               ;   in Loop: Header=BB84_18 Depth=3
	v_mov_b64_e32 v[12:13], s[24:25]
	s_and_not1_b32 s45, s45, exec_lo
	ds_cmpstore_rtn_b64 v[12:13], v23, v[14:15], v[12:13]
	s_wait_dscnt 0x0
	v_cmp_ne_u64_e32 vcc_lo, s[24:25], v[12:13]
	v_mov_b64_e32 v[12:13], v[16:17]
	s_and_b32 s47, vcc_lo, exec_lo
	s_delay_alu instid0(SALU_CYCLE_1)
	s_or_b32 s45, s45, s47
.LBB84_22:                              ;   in Loop: Header=BB84_18 Depth=3
	s_or_b32 exec_lo, exec_lo, s46
	s_mov_b32 s46, -1
	s_or_b32 s44, s44, exec_lo
                                        ; implicit-def: $vgpr23
                                        ; implicit-def: $vgpr18_vgpr19
	s_and_saveexec_b32 s47, s45
	s_cbranch_execz .LBB84_17
; %bb.23:                               ;   in Loop: Header=BB84_18 Depth=3
	v_lshl_add_u32 v23, v12, 3, 0
	s_and_not1_b32 s44, s44, exec_lo
	ds_load_b64 v[18:19], v23
	s_wait_dscnt 0x0
	v_cmp_eq_u64_e32 vcc_lo, v[18:19], v[14:15]
	s_or_not1_b32 s46, vcc_lo, exec_lo
	s_branch .LBB84_17
.LBB84_24:                              ;   in Loop: Header=BB84_15 Depth=2
	s_or_b32 exec_lo, exec_lo, s42
	s_and_saveexec_b32 s42, s43
	s_delay_alu instid0(SALU_CYCLE_1)
	s_xor_b32 s42, exec_lo, s42
	s_cbranch_execz .LBB84_13
; %bb.25:                               ;   in Loop: Header=BB84_15 Depth=2
	v_mov_b32_e32 v12, v16
	s_branch .LBB84_13
.LBB84_26:
	s_or_b32 exec_lo, exec_lo, s3
.LBB84_27:
	s_delay_alu instid0(SALU_CYCLE_1)
	s_and_not1_b32 vcc_lo, exec_lo, s39
	s_cbranch_vccnz .LBB84_44
; %bb.28:
	s_wait_kmcnt 0x0
	s_lshl_b64 s[0:1], s[26:27], 3
	v_mov_b32_e32 v1, 0
	s_add_nc_u64 s[0:1], s[4:5], s[0:1]
	s_mov_b32 s3, exec_lo
	s_load_b128 s[12:15], s[0:1], 0x0
	s_wait_xcnt 0x0
	s_mov_b32 s1, 0
	s_mov_b32 s0, s23
	s_delay_alu instid0(SALU_CYCLE_1) | instskip(SKIP_1) | instid1(VALU_DEP_1)
	v_sub_nc_u64_e64 v[4:5], v[0:1], s[0:1]
	s_wait_kmcnt 0x0
	v_add_nc_u64_e32 v[4:5], s[12:13], v[4:5]
	s_sub_nc_u64 s[4:5], s[14:15], s[0:1]
	s_delay_alu instid0(VALU_DEP_1) | instid1(SALU_CYCLE_1)
	v_cmpx_gt_i64_e64 s[4:5], v[4:5]
	s_cbranch_execz .LBB84_43
; %bb.29:
	s_mov_b32 s12, s1
	s_branch .LBB84_32
.LBB84_30:                              ;   in Loop: Header=BB84_32 Depth=1
	s_or_b32 exec_lo, exec_lo, s14
.LBB84_31:                              ;   in Loop: Header=BB84_32 Depth=1
	s_delay_alu instid0(SALU_CYCLE_1)
	s_or_b32 exec_lo, exec_lo, s13
	s_wait_loadcnt 0x0
	v_mul_f32_e32 v1, s33, v1
	v_lshl_add_u32 v3, v6, 2, 0
	v_add_nc_u64_e32 v[4:5], 0x100, v[4:5]
	ds_add_f32 v3, v1 offset:4096
	v_cmp_le_i64_e32 vcc_lo, s[4:5], v[4:5]
	s_or_b32 s12, vcc_lo, s12
	s_delay_alu instid0(SALU_CYCLE_1)
	s_and_not1_b32 exec_lo, exec_lo, s12
	s_cbranch_execz .LBB84_43
.LBB84_32:                              ; =>This Loop Header: Depth=1
                                        ;     Child Loop BB84_35 Depth 2
	v_lshl_add_u64 v[6:7], v[4:5], 3, s[6:7]
	v_lshl_add_u64 v[8:9], v[4:5], 2, s[8:9]
	s_mov_b32 s13, exec_lo
	global_load_b64 v[6:7], v[6:7], off
	global_load_b32 v1, v[8:9], off
	s_wait_loadcnt 0x1
	s_wait_xcnt 0x0
	v_sub_nc_u64_e64 v[8:9], v[6:7], s[0:1]
	s_delay_alu instid0(VALU_DEP_1) | instskip(NEXT) | instid1(VALU_DEP_1)
	v_mul_lo_u32 v3, 0x89, v8
	v_and_b32_e32 v6, 0x1ff, v3
	s_delay_alu instid0(VALU_DEP_1)
	v_lshl_add_u32 v3, v6, 3, 0
	ds_load_b64 v[12:13], v3
	s_wait_dscnt 0x0
	v_cmpx_ne_u64_e64 v[12:13], v[8:9]
	s_cbranch_execz .LBB84_31
; %bb.33:                               ;   in Loop: Header=BB84_32 Depth=1
	s_mov_b32 s14, 0
                                        ; implicit-def: $sgpr15
                                        ; implicit-def: $sgpr16
	s_branch .LBB84_35
.LBB84_34:                              ;   in Loop: Header=BB84_35 Depth=2
	s_or_b32 exec_lo, exec_lo, s19
	s_delay_alu instid0(SALU_CYCLE_1) | instskip(NEXT) | instid1(SALU_CYCLE_1)
	s_and_b32 s17, exec_lo, s18
	s_or_b32 s14, s17, s14
	s_and_not1_b32 s15, s15, exec_lo
	s_and_b32 s17, s16, exec_lo
	s_delay_alu instid0(SALU_CYCLE_1)
	s_or_b32 s15, s15, s17
	s_and_not1_b32 exec_lo, exec_lo, s14
	s_cbranch_execz .LBB84_41
.LBB84_35:                              ;   Parent Loop BB84_32 Depth=1
                                        ; =>  This Inner Loop Header: Depth=2
	v_mov_b64_e32 v[10:11], v[6:7]
	s_mov_b32 s17, 0
	s_mov_b32 s18, exec_lo
                                        ; implicit-def: $vgpr6_vgpr7
	v_cmpx_ne_u64_e64 s[24:25], v[12:13]
	s_xor_b32 s18, exec_lo, s18
; %bb.36:                               ;   in Loop: Header=BB84_35 Depth=2
	s_delay_alu instid0(VALU_DEP_2) | instskip(SKIP_1) | instid1(VALU_DEP_1)
	v_add_nc_u32_e32 v3, 1, v10
	s_mov_b32 s17, exec_lo
	v_and_b32_e32 v6, 0x1ff, v3
                                        ; implicit-def: $vgpr3
; %bb.37:                               ;   in Loop: Header=BB84_35 Depth=2
	s_and_not1_saveexec_b32 s18, s18
	s_cbranch_execz .LBB84_39
; %bb.38:                               ;   in Loop: Header=BB84_35 Depth=2
	v_mov_b64_e32 v[6:7], s[24:25]
	s_and_not1_b32 s17, s17, exec_lo
	ds_cmpstore_rtn_b64 v[6:7], v3, v[8:9], v[6:7]
	s_wait_dscnt 0x0
	v_cmp_ne_u64_e32 vcc_lo, s[24:25], v[6:7]
	v_mov_b64_e32 v[6:7], v[10:11]
	s_and_b32 s19, vcc_lo, exec_lo
	s_delay_alu instid0(SALU_CYCLE_1)
	s_or_b32 s17, s17, s19
.LBB84_39:                              ;   in Loop: Header=BB84_35 Depth=2
	s_or_b32 exec_lo, exec_lo, s18
	s_mov_b32 s18, -1
	s_or_b32 s16, s16, exec_lo
                                        ; implicit-def: $vgpr3
                                        ; implicit-def: $vgpr12_vgpr13
	s_and_saveexec_b32 s19, s17
	s_cbranch_execz .LBB84_34
; %bb.40:                               ;   in Loop: Header=BB84_35 Depth=2
	v_lshl_add_u32 v3, v6, 3, 0
	s_and_not1_b32 s16, s16, exec_lo
	ds_load_b64 v[12:13], v3
	s_wait_dscnt 0x0
	v_cmp_eq_u64_e32 vcc_lo, v[12:13], v[8:9]
	s_or_not1_b32 s18, vcc_lo, exec_lo
	s_branch .LBB84_34
.LBB84_41:                              ;   in Loop: Header=BB84_32 Depth=1
	s_or_b32 exec_lo, exec_lo, s14
	s_and_saveexec_b32 s14, s15
	s_delay_alu instid0(SALU_CYCLE_1)
	s_xor_b32 s14, exec_lo, s14
	s_cbranch_execz .LBB84_30
; %bb.42:                               ;   in Loop: Header=BB84_32 Depth=1
	v_mov_b32_e32 v6, v10
	s_branch .LBB84_30
.LBB84_43:
	s_or_b32 exec_lo, exec_lo, s3
.LBB84_44:
	s_wait_dscnt 0x0
	s_barrier_signal -1
	s_barrier_wait -1
	s_and_saveexec_b32 s8, s2
	s_cbranch_execz .LBB84_65
; %bb.45:
	v_mbcnt_lo_u32_b32 v4, -1, 0
	v_mov_b32_e32 v3, 0
	v_lshl_add_u32 v1, v2, 3, 0
	v_mov_b64_e32 v[6:7], 0
	v_cmp_lt_u32_e64 s0, 31, v0
	v_xor_b32_e32 v2, 31, v4
	v_cmp_lt_u32_e64 s1, 63, v0
	v_cmp_lt_u32_e64 s2, 0x5f, v0
	;; [unrolled: 1-line block ×4, first 2 shown]
	v_lshrrev_b32_e64 v4, v2, -1
	v_cmp_lt_u32_e64 s5, 0xbf, v0
	v_cmp_lt_u32_e64 s6, 0xdf, v0
	v_add3_u32 v5, v22, 0, 0x1000
	s_mov_b32 s9, 0
	v_cmp_eq_u32_e32 vcc_lo, 0xff, v0
	s_branch .LBB84_47
.LBB84_46:                              ;   in Loop: Header=BB84_47 Depth=1
	s_or_b32 exec_lo, exec_lo, s7
	s_wait_dscnt 0x0
	s_barrier_signal -1
	s_barrier_wait -1
	ds_load_b64 v[8:9], v3 offset:6200
	v_add_co_u32 v20, s7, 0x100, v20
	s_xor_b32 s7, s7, -1
	v_add_nc_u32_e32 v5, 0x400, v5
	v_add_nc_u32_e32 v21, 0x800, v21
	s_and_b32 s7, exec_lo, s7
	s_delay_alu instid0(SALU_CYCLE_1)
	s_or_b32 s9, s7, s9
	s_wait_dscnt 0x0
	v_add_nc_u64_e32 v[6:7], v[8:9], v[6:7]
	s_and_not1_b32 exec_lo, exec_lo, s9
	s_cbranch_execz .LBB84_65
.LBB84_47:                              ; =>This Inner Loop Header: Depth=1
	ds_load_b64 v[8:9], v21
	ds_load_b32 v12, v5
	s_wait_dscnt 0x0
	s_barrier_signal -1
	s_barrier_wait -1
	v_cmp_gt_i64_e64 s7, s[24:25], v[8:9]
	s_bcnt1_i32_b32 s12, s7
	s_delay_alu instid0(SALU_CYCLE_1) | instskip(NEXT) | instid1(VALU_DEP_1)
	v_dual_mov_b32 v2, s12 :: v_dual_bitop2_b32 v10, s7, v4 bitop3:0x40
	v_bcnt_u32_b32 v10, v10, 0
	ds_store_b64 v1, v[2:3] offset:6144
	s_wait_dscnt 0x0
	s_barrier_signal -1
	s_barrier_wait -1
	s_and_saveexec_b32 s12, s0
	s_cbranch_execnz .LBB84_56
; %bb.48:                               ;   in Loop: Header=BB84_47 Depth=1
	s_or_b32 exec_lo, exec_lo, s12
	s_and_saveexec_b32 s12, s1
	s_cbranch_execnz .LBB84_57
.LBB84_49:                              ;   in Loop: Header=BB84_47 Depth=1
	s_or_b32 exec_lo, exec_lo, s12
	s_and_saveexec_b32 s12, s2
	s_cbranch_execnz .LBB84_58
.LBB84_50:                              ;   in Loop: Header=BB84_47 Depth=1
	s_or_b32 exec_lo, exec_lo, s12
	s_and_saveexec_b32 s12, s3
	s_cbranch_execnz .LBB84_59
.LBB84_51:                              ;   in Loop: Header=BB84_47 Depth=1
	s_or_b32 exec_lo, exec_lo, s12
	s_and_saveexec_b32 s12, s4
	s_cbranch_execnz .LBB84_60
.LBB84_52:                              ;   in Loop: Header=BB84_47 Depth=1
	s_or_b32 exec_lo, exec_lo, s12
	s_and_saveexec_b32 s12, s5
	s_cbranch_execnz .LBB84_61
.LBB84_53:                              ;   in Loop: Header=BB84_47 Depth=1
	s_or_b32 exec_lo, exec_lo, s12
	s_and_saveexec_b32 s12, s6
	s_cbranch_execnz .LBB84_62
.LBB84_54:                              ;   in Loop: Header=BB84_47 Depth=1
	s_or_b32 exec_lo, exec_lo, s12
	v_ashrrev_i32_e32 v11, 31, v10
	s_and_saveexec_b32 s12, s7
	s_cbranch_execnz .LBB84_63
.LBB84_55:                              ;   in Loop: Header=BB84_47 Depth=1
	s_or_b32 exec_lo, exec_lo, s12
	s_and_saveexec_b32 s7, vcc_lo
	s_cbranch_execz .LBB84_46
	s_branch .LBB84_64
.LBB84_56:                              ;   in Loop: Header=BB84_47 Depth=1
	ds_load_b32 v2, v3 offset:6144
	s_wait_dscnt 0x0
	v_add_nc_u32_e32 v10, v2, v10
	s_or_b32 exec_lo, exec_lo, s12
	s_and_saveexec_b32 s12, s1
	s_cbranch_execz .LBB84_49
.LBB84_57:                              ;   in Loop: Header=BB84_47 Depth=1
	ds_load_b32 v2, v3 offset:6152
	s_wait_dscnt 0x0
	v_add_nc_u32_e32 v10, v10, v2
	s_or_b32 exec_lo, exec_lo, s12
	s_and_saveexec_b32 s12, s2
	s_cbranch_execz .LBB84_50
.LBB84_58:                              ;   in Loop: Header=BB84_47 Depth=1
	ds_load_b32 v2, v3 offset:6160
	s_wait_dscnt 0x0
	v_add_nc_u32_e32 v10, v10, v2
	s_or_b32 exec_lo, exec_lo, s12
	s_and_saveexec_b32 s12, s3
	s_cbranch_execz .LBB84_51
.LBB84_59:                              ;   in Loop: Header=BB84_47 Depth=1
	ds_load_b32 v2, v3 offset:6168
	s_wait_dscnt 0x0
	v_add_nc_u32_e32 v10, v10, v2
	s_or_b32 exec_lo, exec_lo, s12
	s_and_saveexec_b32 s12, s4
	s_cbranch_execz .LBB84_52
.LBB84_60:                              ;   in Loop: Header=BB84_47 Depth=1
	ds_load_b32 v2, v3 offset:6176
	s_wait_dscnt 0x0
	v_add_nc_u32_e32 v10, v10, v2
	s_or_b32 exec_lo, exec_lo, s12
	s_and_saveexec_b32 s12, s5
	s_cbranch_execz .LBB84_53
.LBB84_61:                              ;   in Loop: Header=BB84_47 Depth=1
	ds_load_b32 v2, v3 offset:6184
	s_wait_dscnt 0x0
	v_add_nc_u32_e32 v10, v10, v2
	s_or_b32 exec_lo, exec_lo, s12
	s_and_saveexec_b32 s12, s6
	s_cbranch_execz .LBB84_54
.LBB84_62:                              ;   in Loop: Header=BB84_47 Depth=1
	ds_load_b32 v2, v3 offset:6192
	s_wait_dscnt 0x0
	v_add_nc_u32_e32 v10, v10, v2
	s_or_b32 exec_lo, exec_lo, s12
	s_delay_alu instid0(VALU_DEP_1)
	v_ashrrev_i32_e32 v11, 31, v10
	s_and_saveexec_b32 s12, s7
	s_cbranch_execz .LBB84_55
.LBB84_63:                              ;   in Loop: Header=BB84_47 Depth=1
	v_add3_u32 v2, v6, -1, v10
	v_add_nc_u32_e32 v13, v6, v10
	s_delay_alu instid0(VALU_DEP_2) | instskip(NEXT) | instid1(VALU_DEP_2)
	v_lshl_add_u32 v2, v2, 3, 0
	v_lshl_add_u32 v13, v13, 2, 0
	ds_store_b64 v2, v[8:9]
	ds_store_b32 v13, v12 offset:4092
	s_or_b32 exec_lo, exec_lo, s12
	s_and_saveexec_b32 s7, vcc_lo
	s_cbranch_execz .LBB84_46
.LBB84_64:                              ;   in Loop: Header=BB84_47 Depth=1
	ds_store_b64 v3, v[10:11] offset:6200
	s_branch .LBB84_46
.LBB84_65:
	s_or_b32 exec_lo, exec_lo, s8
	s_wait_kmcnt 0x0
	s_lshl_b64 s[0:1], s[26:27], 3
	v_mov_b32_e32 v1, 0
	s_add_nc_u64 s[4:5], s[10:11], s[0:1]
	s_mov_b32 s6, exec_lo
	s_load_b128 s[0:3], s[4:5], 0x0
	s_wait_kmcnt 0x0
	s_sub_nc_u64 s[4:5], s[2:3], s[0:1]
	s_delay_alu instid0(SALU_CYCLE_1)
	v_cmpx_gt_i64_e64 s[4:5], v[0:1]
	s_cbranch_execz .LBB84_75
; %bb.66:
	s_sub_nc_u64 s[8:9], s[0:1], s[2:3]
	s_and_b64 s[6:7], s[4:5], 7
	v_cmp_lt_u64_e64 s10, s[8:9], -7
	s_and_b64 s[2:3], s[4:5], -8
	s_mov_b32 s23, 0
	s_cmp_lg_u64 s[6:7], 0
	s_sub_nc_u64 s[0:1], s[0:1], s[22:23]
	s_cselect_b32 s11, -1, 0
	s_mov_b32 s12, 0
	s_branch .LBB84_68
.LBB84_67:                              ;   in Loop: Header=BB84_68 Depth=1
	v_add_nc_u64_e32 v[0:1], 0x100, v[0:1]
	s_wait_dscnt 0x1
	s_delay_alu instid0(VALU_DEP_2)
	v_lshl_add_u64 v[2:3], v[4:5], 2, s[34:35]
	s_wait_dscnt 0x0
	global_store_b32 v[2:3], v6, off
	v_cmp_le_i64_e32 vcc_lo, s[4:5], v[0:1]
	s_or_b32 s12, vcc_lo, s12
	s_wait_xcnt 0x0
	s_and_not1_b32 exec_lo, exec_lo, s12
	s_cbranch_execz .LBB84_75
.LBB84_68:                              ; =>This Loop Header: Depth=1
                                        ;     Child Loop BB84_70 Depth 2
                                        ;     Child Loop BB84_74 Depth 2
	v_lshl_add_u32 v2, v0, 3, 0
	v_lshlrev_b32_e32 v3, 2, v0
	s_and_not1_b32 vcc_lo, exec_lo, s10
	s_mov_b64 s[8:9], 0
	s_delay_alu instid0(VALU_DEP_1)
	v_sub_nc_u32_e32 v4, v2, v3
	ds_load_b64 v[2:3], v2
	ds_load_b32 v6, v4 offset:4096
	v_mov_b64_e32 v[4:5], s[0:1]
	s_cbranch_vccnz .LBB84_72
; %bb.69:                               ;   in Loop: Header=BB84_68 Depth=1
	v_mov_b64_e32 v[4:5], s[0:1]
	s_mov_b32 s13, 0
.LBB84_70:                              ;   Parent Loop BB84_68 Depth=1
                                        ; =>  This Inner Loop Header: Depth=2
	s_delay_alu instid0(SALU_CYCLE_1)
	v_dual_mov_b32 v7, s13 :: v_dual_mov_b32 v17, s23
	s_add_nc_u64 s[8:9], s[8:9], 8
	s_add_co_i32 s13, s13, 64
	s_cmp_eq_u64 s[2:3], s[8:9]
	ds_load_2addr_b64 v[8:11], v7 offset1:1
	ds_load_2addr_b64 v[12:15], v7 offset0:2 offset1:3
	s_wait_dscnt 0x1
	v_cmp_gt_i64_e32 vcc_lo, v[2:3], v[8:9]
	v_cndmask_b32_e64 v16, 0, 1, vcc_lo
	v_cmp_gt_i64_e32 vcc_lo, v[2:3], v[10:11]
	ds_load_2addr_b64 v[8:11], v7 offset0:4 offset1:5
	v_add_nc_u64_e32 v[4:5], v[4:5], v[16:17]
	v_cndmask_b32_e64 v18, 0, 1, vcc_lo
	s_wait_dscnt 0x1
	v_cmp_gt_i64_e32 vcc_lo, v[2:3], v[12:13]
	v_cndmask_b32_e64 v16, 0, 1, vcc_lo
	v_cmp_gt_i64_e32 vcc_lo, v[2:3], v[14:15]
	ds_load_2addr_b64 v[12:15], v7 offset0:6 offset1:7
	v_mov_b32_e32 v19, s23
	s_delay_alu instid0(VALU_DEP_1) | instskip(SKIP_4) | instid1(VALU_DEP_4)
	v_add_nc_u64_e32 v[4:5], v[4:5], v[18:19]
	v_cndmask_b32_e64 v18, 0, 1, vcc_lo
	s_wait_dscnt 0x1
	v_cmp_gt_i64_e32 vcc_lo, v[2:3], v[8:9]
	v_mov_b32_e32 v9, s23
	v_add_nc_u64_e32 v[4:5], v[4:5], v[16:17]
	v_cndmask_b32_e64 v16, 0, 1, vcc_lo
	v_cmp_gt_i64_e32 vcc_lo, v[2:3], v[10:11]
	v_mov_b32_e32 v11, s23
	s_delay_alu instid0(VALU_DEP_4) | instskip(SKIP_3) | instid1(VALU_DEP_3)
	v_add_nc_u64_e32 v[4:5], v[4:5], v[18:19]
	v_cndmask_b32_e64 v8, 0, 1, vcc_lo
	s_wait_dscnt 0x0
	v_cmp_gt_i64_e32 vcc_lo, v[2:3], v[12:13]
	v_add_nc_u64_e32 v[4:5], v[4:5], v[16:17]
	v_cndmask_b32_e64 v10, 0, 1, vcc_lo
	v_cmp_gt_i64_e32 vcc_lo, v[2:3], v[14:15]
	s_delay_alu instid0(VALU_DEP_3) | instskip(SKIP_1) | instid1(VALU_DEP_2)
	v_add_nc_u64_e32 v[4:5], v[4:5], v[8:9]
	v_cndmask_b32_e64 v8, 0, 1, vcc_lo
	v_add_nc_u64_e32 v[4:5], v[4:5], v[10:11]
	s_delay_alu instid0(VALU_DEP_1)
	v_add_nc_u64_e32 v[4:5], v[4:5], v[8:9]
	s_cbranch_scc0 .LBB84_70
; %bb.71:                               ;   in Loop: Header=BB84_68 Depth=1
	s_mov_b64 s[8:9], s[2:3]
.LBB84_72:                              ;   in Loop: Header=BB84_68 Depth=1
	s_and_not1_b32 vcc_lo, exec_lo, s11
	s_cbranch_vccnz .LBB84_67
; %bb.73:                               ;   in Loop: Header=BB84_68 Depth=1
	s_lshl_b32 s8, s8, 3
	s_delay_alu instid0(SALU_CYCLE_1)
	s_add_co_i32 s13, s8, 0
	s_mov_b64 s[8:9], s[6:7]
.LBB84_74:                              ;   Parent Loop BB84_68 Depth=1
                                        ; =>  This Inner Loop Header: Depth=2
	v_dual_mov_b32 v7, s13 :: v_dual_mov_b32 v11, s23
	s_add_nc_u64 s[8:9], s[8:9], -1
	s_add_co_i32 s13, s13, 8
	s_cmp_lg_u64 s[8:9], 0
	ds_load_b64 v[8:9], v7
	s_wait_dscnt 0x0
	v_cmp_gt_i64_e32 vcc_lo, v[2:3], v[8:9]
	v_cndmask_b32_e64 v10, 0, 1, vcc_lo
	s_delay_alu instid0(VALU_DEP_1)
	v_add_nc_u64_e32 v[4:5], v[4:5], v[10:11]
	s_cbranch_scc1 .LBB84_74
	s_branch .LBB84_67
.LBB84_75:
	s_endpgm
	.section	.rodata,"a",@progbits
	.p2align	6, 0x0
	.amdhsa_kernel _ZN9rocsparseL41csrgemm_numeric_fill_block_per_row_kernelILj256ELj32ELj512ELj137ELj32EllfEEvT5_PKS1_S3_NS_24const_host_device_scalarIT6_EEPKT4_S3_PKS5_S9_S3_SB_S6_S9_S3_SB_S9_S3_PS5_21rocsparse_index_base_SD_SD_SD_bbb
		.amdhsa_group_segment_fixed_size 0
		.amdhsa_private_segment_fixed_size 0
		.amdhsa_kernarg_size 156
		.amdhsa_user_sgpr_count 2
		.amdhsa_user_sgpr_dispatch_ptr 0
		.amdhsa_user_sgpr_queue_ptr 0
		.amdhsa_user_sgpr_kernarg_segment_ptr 1
		.amdhsa_user_sgpr_dispatch_id 0
		.amdhsa_user_sgpr_kernarg_preload_length 0
		.amdhsa_user_sgpr_kernarg_preload_offset 0
		.amdhsa_user_sgpr_private_segment_size 0
		.amdhsa_wavefront_size32 1
		.amdhsa_uses_dynamic_stack 0
		.amdhsa_enable_private_segment 0
		.amdhsa_system_sgpr_workgroup_id_x 1
		.amdhsa_system_sgpr_workgroup_id_y 0
		.amdhsa_system_sgpr_workgroup_id_z 0
		.amdhsa_system_sgpr_workgroup_info 0
		.amdhsa_system_vgpr_workitem_id 0
		.amdhsa_next_free_vgpr 24
		.amdhsa_next_free_sgpr 48
		.amdhsa_named_barrier_count 0
		.amdhsa_reserve_vcc 1
		.amdhsa_float_round_mode_32 0
		.amdhsa_float_round_mode_16_64 0
		.amdhsa_float_denorm_mode_32 3
		.amdhsa_float_denorm_mode_16_64 3
		.amdhsa_fp16_overflow 0
		.amdhsa_memory_ordered 1
		.amdhsa_forward_progress 1
		.amdhsa_inst_pref_size 23
		.amdhsa_round_robin_scheduling 0
		.amdhsa_exception_fp_ieee_invalid_op 0
		.amdhsa_exception_fp_denorm_src 0
		.amdhsa_exception_fp_ieee_div_zero 0
		.amdhsa_exception_fp_ieee_overflow 0
		.amdhsa_exception_fp_ieee_underflow 0
		.amdhsa_exception_fp_ieee_inexact 0
		.amdhsa_exception_int_div_zero 0
	.end_amdhsa_kernel
	.section	.text._ZN9rocsparseL41csrgemm_numeric_fill_block_per_row_kernelILj256ELj32ELj512ELj137ELj32EllfEEvT5_PKS1_S3_NS_24const_host_device_scalarIT6_EEPKT4_S3_PKS5_S9_S3_SB_S6_S9_S3_SB_S9_S3_PS5_21rocsparse_index_base_SD_SD_SD_bbb,"axG",@progbits,_ZN9rocsparseL41csrgemm_numeric_fill_block_per_row_kernelILj256ELj32ELj512ELj137ELj32EllfEEvT5_PKS1_S3_NS_24const_host_device_scalarIT6_EEPKT4_S3_PKS5_S9_S3_SB_S6_S9_S3_SB_S9_S3_PS5_21rocsparse_index_base_SD_SD_SD_bbb,comdat
.Lfunc_end84:
	.size	_ZN9rocsparseL41csrgemm_numeric_fill_block_per_row_kernelILj256ELj32ELj512ELj137ELj32EllfEEvT5_PKS1_S3_NS_24const_host_device_scalarIT6_EEPKT4_S3_PKS5_S9_S3_SB_S6_S9_S3_SB_S9_S3_PS5_21rocsparse_index_base_SD_SD_SD_bbb, .Lfunc_end84-_ZN9rocsparseL41csrgemm_numeric_fill_block_per_row_kernelILj256ELj32ELj512ELj137ELj32EllfEEvT5_PKS1_S3_NS_24const_host_device_scalarIT6_EEPKT4_S3_PKS5_S9_S3_SB_S6_S9_S3_SB_S9_S3_PS5_21rocsparse_index_base_SD_SD_SD_bbb
                                        ; -- End function
	.set _ZN9rocsparseL41csrgemm_numeric_fill_block_per_row_kernelILj256ELj32ELj512ELj137ELj32EllfEEvT5_PKS1_S3_NS_24const_host_device_scalarIT6_EEPKT4_S3_PKS5_S9_S3_SB_S6_S9_S3_SB_S9_S3_PS5_21rocsparse_index_base_SD_SD_SD_bbb.num_vgpr, 24
	.set _ZN9rocsparseL41csrgemm_numeric_fill_block_per_row_kernelILj256ELj32ELj512ELj137ELj32EllfEEvT5_PKS1_S3_NS_24const_host_device_scalarIT6_EEPKT4_S3_PKS5_S9_S3_SB_S6_S9_S3_SB_S9_S3_PS5_21rocsparse_index_base_SD_SD_SD_bbb.num_agpr, 0
	.set _ZN9rocsparseL41csrgemm_numeric_fill_block_per_row_kernelILj256ELj32ELj512ELj137ELj32EllfEEvT5_PKS1_S3_NS_24const_host_device_scalarIT6_EEPKT4_S3_PKS5_S9_S3_SB_S6_S9_S3_SB_S9_S3_PS5_21rocsparse_index_base_SD_SD_SD_bbb.numbered_sgpr, 48
	.set _ZN9rocsparseL41csrgemm_numeric_fill_block_per_row_kernelILj256ELj32ELj512ELj137ELj32EllfEEvT5_PKS1_S3_NS_24const_host_device_scalarIT6_EEPKT4_S3_PKS5_S9_S3_SB_S6_S9_S3_SB_S9_S3_PS5_21rocsparse_index_base_SD_SD_SD_bbb.num_named_barrier, 0
	.set _ZN9rocsparseL41csrgemm_numeric_fill_block_per_row_kernelILj256ELj32ELj512ELj137ELj32EllfEEvT5_PKS1_S3_NS_24const_host_device_scalarIT6_EEPKT4_S3_PKS5_S9_S3_SB_S6_S9_S3_SB_S9_S3_PS5_21rocsparse_index_base_SD_SD_SD_bbb.private_seg_size, 0
	.set _ZN9rocsparseL41csrgemm_numeric_fill_block_per_row_kernelILj256ELj32ELj512ELj137ELj32EllfEEvT5_PKS1_S3_NS_24const_host_device_scalarIT6_EEPKT4_S3_PKS5_S9_S3_SB_S6_S9_S3_SB_S9_S3_PS5_21rocsparse_index_base_SD_SD_SD_bbb.uses_vcc, 1
	.set _ZN9rocsparseL41csrgemm_numeric_fill_block_per_row_kernelILj256ELj32ELj512ELj137ELj32EllfEEvT5_PKS1_S3_NS_24const_host_device_scalarIT6_EEPKT4_S3_PKS5_S9_S3_SB_S6_S9_S3_SB_S9_S3_PS5_21rocsparse_index_base_SD_SD_SD_bbb.uses_flat_scratch, 0
	.set _ZN9rocsparseL41csrgemm_numeric_fill_block_per_row_kernelILj256ELj32ELj512ELj137ELj32EllfEEvT5_PKS1_S3_NS_24const_host_device_scalarIT6_EEPKT4_S3_PKS5_S9_S3_SB_S6_S9_S3_SB_S9_S3_PS5_21rocsparse_index_base_SD_SD_SD_bbb.has_dyn_sized_stack, 0
	.set _ZN9rocsparseL41csrgemm_numeric_fill_block_per_row_kernelILj256ELj32ELj512ELj137ELj32EllfEEvT5_PKS1_S3_NS_24const_host_device_scalarIT6_EEPKT4_S3_PKS5_S9_S3_SB_S6_S9_S3_SB_S9_S3_PS5_21rocsparse_index_base_SD_SD_SD_bbb.has_recursion, 0
	.set _ZN9rocsparseL41csrgemm_numeric_fill_block_per_row_kernelILj256ELj32ELj512ELj137ELj32EllfEEvT5_PKS1_S3_NS_24const_host_device_scalarIT6_EEPKT4_S3_PKS5_S9_S3_SB_S6_S9_S3_SB_S9_S3_PS5_21rocsparse_index_base_SD_SD_SD_bbb.has_indirect_call, 0
	.section	.AMDGPU.csdata,"",@progbits
; Kernel info:
; codeLenInByte = 2936
; TotalNumSgprs: 50
; NumVgprs: 24
; ScratchSize: 0
; MemoryBound: 0
; FloatMode: 240
; IeeeMode: 1
; LDSByteSize: 0 bytes/workgroup (compile time only)
; SGPRBlocks: 0
; VGPRBlocks: 1
; NumSGPRsForWavesPerEU: 50
; NumVGPRsForWavesPerEU: 24
; NamedBarCnt: 0
; Occupancy: 16
; WaveLimiterHint : 1
; COMPUTE_PGM_RSRC2:SCRATCH_EN: 0
; COMPUTE_PGM_RSRC2:USER_SGPR: 2
; COMPUTE_PGM_RSRC2:TRAP_HANDLER: 0
; COMPUTE_PGM_RSRC2:TGID_X_EN: 1
; COMPUTE_PGM_RSRC2:TGID_Y_EN: 0
; COMPUTE_PGM_RSRC2:TGID_Z_EN: 0
; COMPUTE_PGM_RSRC2:TIDIG_COMP_CNT: 0
	.section	.text._ZN9rocsparseL41csrgemm_numeric_fill_block_per_row_kernelILj256ELj32ELj512ELj137ELj64EllfEEvT5_PKS1_S3_NS_24const_host_device_scalarIT6_EEPKT4_S3_PKS5_S9_S3_SB_S6_S9_S3_SB_S9_S3_PS5_21rocsparse_index_base_SD_SD_SD_bbb,"axG",@progbits,_ZN9rocsparseL41csrgemm_numeric_fill_block_per_row_kernelILj256ELj32ELj512ELj137ELj64EllfEEvT5_PKS1_S3_NS_24const_host_device_scalarIT6_EEPKT4_S3_PKS5_S9_S3_SB_S6_S9_S3_SB_S9_S3_PS5_21rocsparse_index_base_SD_SD_SD_bbb,comdat
	.globl	_ZN9rocsparseL41csrgemm_numeric_fill_block_per_row_kernelILj256ELj32ELj512ELj137ELj64EllfEEvT5_PKS1_S3_NS_24const_host_device_scalarIT6_EEPKT4_S3_PKS5_S9_S3_SB_S6_S9_S3_SB_S9_S3_PS5_21rocsparse_index_base_SD_SD_SD_bbb ; -- Begin function _ZN9rocsparseL41csrgemm_numeric_fill_block_per_row_kernelILj256ELj32ELj512ELj137ELj64EllfEEvT5_PKS1_S3_NS_24const_host_device_scalarIT6_EEPKT4_S3_PKS5_S9_S3_SB_S6_S9_S3_SB_S9_S3_PS5_21rocsparse_index_base_SD_SD_SD_bbb
	.p2align	8
	.type	_ZN9rocsparseL41csrgemm_numeric_fill_block_per_row_kernelILj256ELj32ELj512ELj137ELj64EllfEEvT5_PKS1_S3_NS_24const_host_device_scalarIT6_EEPKT4_S3_PKS5_S9_S3_SB_S6_S9_S3_SB_S9_S3_PS5_21rocsparse_index_base_SD_SD_SD_bbb,@function
_ZN9rocsparseL41csrgemm_numeric_fill_block_per_row_kernelILj256ELj32ELj512ELj137ELj64EllfEEvT5_PKS1_S3_NS_24const_host_device_scalarIT6_EEPKT4_S3_PKS5_S9_S3_SB_S6_S9_S3_SB_S9_S3_PS5_21rocsparse_index_base_SD_SD_SD_bbb: ; @_ZN9rocsparseL41csrgemm_numeric_fill_block_per_row_kernelILj256ELj32ELj512ELj137ELj64EllfEEvT5_PKS1_S3_NS_24const_host_device_scalarIT6_EEPKT4_S3_PKS5_S9_S3_SB_S6_S9_S3_SB_S9_S3_PS5_21rocsparse_index_base_SD_SD_SD_bbb
; %bb.0:
	s_clause 0x2
	s_load_b32 s6, s[0:1], 0x98
	s_load_b64 s[4:5], s[0:1], 0x18
	s_load_b64 s[2:3], s[0:1], 0x50
	s_wait_kmcnt 0x0
	s_and_b32 s8, 1, s6
	s_bitcmp1_b32 s6, 16
	s_cselect_b32 s7, -1, 0
	s_cmp_eq_u32 s8, 1
	s_cselect_b32 s40, -1, 0
	s_delay_alu instid0(SALU_CYCLE_1) | instskip(SKIP_2) | instid1(SALU_CYCLE_1)
	s_and_b32 s8, s40, exec_lo
	s_cselect_b32 s38, s4, 0
	s_xor_b32 s8, s40, -1
	s_or_b32 s8, s7, s8
	s_delay_alu instid0(SALU_CYCLE_1)
	s_and_b32 vcc_lo, exec_lo, s8
	s_cbranch_vccnz .LBB85_2
; %bb.1:
	s_load_b32 s38, s[4:5], 0x0
.LBB85_2:
	s_load_b128 s[20:23], s[0:1], 0x88
	s_bitcmp1_b32 s6, 8
	s_cselect_b32 s39, -1, 0
	s_wait_xcnt 0x0
	s_and_b32 s4, s39, exec_lo
	s_cselect_b32 s33, s2, 0
	s_xor_b32 s4, s39, -1
	s_delay_alu instid0(SALU_CYCLE_1) | instskip(NEXT) | instid1(SALU_CYCLE_1)
	s_or_b32 s4, s7, s4
	s_and_b32 vcc_lo, exec_lo, s4
	s_cbranch_vccnz .LBB85_4
; %bb.3:
	s_load_b32 s33, s[2:3], 0x0
.LBB85_4:
	s_load_b128 s[24:27], s[0:1], 0x0
	s_wait_xcnt 0x0
	v_cmp_gt_u32_e64 s2, 0x200, v0
	v_lshlrev_b32_e32 v20, 2, v0
	v_or_b32_e32 v18, 0xffffff00, v0
	v_lshl_add_u32 v19, v0, 3, 0
	s_and_saveexec_b32 s3, s2
	s_cbranch_execz .LBB85_7
; %bb.5:
	s_wait_kmcnt 0x0
	v_mov_b64_e32 v[2:3], s[24:25]
	v_add3_u32 v1, v20, 0, 0x1000
	v_or_b32_e32 v4, 0xffffff00, v0
	v_lshl_add_u32 v5, v0, 3, 0
	v_mov_b32_e32 v6, 0
	s_mov_b32 s4, 0
.LBB85_6:                               ; =>This Inner Loop Header: Depth=1
	s_delay_alu instid0(VALU_DEP_3)
	v_add_co_u32 v4, s5, 0x100, v4
	s_xor_b32 s5, s5, -1
	ds_store_b64 v5, v[2:3]
	ds_store_b32 v1, v6
	v_add_nc_u32_e32 v1, 0x400, v1
	v_add_nc_u32_e32 v5, 0x800, v5
	s_and_b32 s5, exec_lo, s5
	s_delay_alu instid0(SALU_CYCLE_1) | instskip(NEXT) | instid1(SALU_CYCLE_1)
	s_or_b32 s4, s5, s4
	s_and_not1_b32 exec_lo, exec_lo, s4
	s_cbranch_execnz .LBB85_6
.LBB85_7:
	s_or_b32 exec_lo, exec_lo, s3
	s_clause 0x4
	s_load_b64 s[34:35], s[0:1], 0x80
	s_load_b256 s[4:11], s[0:1], 0x58
	s_load_b128 s[28:31], s[0:1], 0x40
	s_load_b64 s[36:37], s[0:1], 0x10
	s_load_b256 s[12:19], s[0:1], 0x20
	s_wait_dscnt 0x0
	s_barrier_signal -1
	s_barrier_wait -1
	s_wait_kmcnt 0x0
	s_load_b64 s[0:1], s[26:27], 0x0
	s_bfe_u32 s3, ttmp6, 0x4000c
	s_wait_xcnt 0x0
	s_and_b32 s26, ttmp6, 15
	s_add_co_i32 s3, s3, 1
	s_getreg_b32 s27, hwreg(HW_REG_IB_STS2, 6, 4)
	s_mul_i32 s3, ttmp9, s3
	s_delay_alu instid0(SALU_CYCLE_1)
	s_add_co_i32 s26, s26, s3
	s_wait_kmcnt 0x0
	s_lshl_b64 s[0:1], s[0:1], 3
	s_cmp_eq_u32 s27, 0
	s_add_nc_u64 s[0:1], s[36:37], s[0:1]
	s_cselect_b32 s3, ttmp9, s26
	s_and_b32 vcc_lo, exec_lo, s40
	s_load_b64 s[26:27], s[0:1], s3 offset:0x0 scale_offset
	s_wait_xcnt 0x0
	s_mov_b32 s1, 0
	s_cbranch_vccz .LBB85_27
; %bb.8:
	s_wait_kmcnt 0x0
	s_lshl_b64 s[36:37], s[26:27], 3
	v_dual_mov_b32 v5, 0 :: v_dual_lshrrev_b32 v4, 5, v0
	s_add_nc_u64 s[12:13], s[12:13], s[36:37]
	s_mov_b32 s0, s20
	s_load_b128 s[40:43], s[12:13], 0x0
	s_mov_b32 s3, exec_lo
	v_sub_nc_u64_e64 v[2:3], v[4:5], s[0:1]
	s_wait_kmcnt 0x0
	s_delay_alu instid0(VALU_DEP_1)
	v_add_nc_u64_e32 v[2:3], s[40:41], v[2:3]
	s_sub_nc_u64 s[12:13], s[42:43], s[0:1]
	s_delay_alu instid0(VALU_DEP_1) | instid1(SALU_CYCLE_1)
	v_cmpx_gt_i64_e64 s[12:13], v[2:3]
	s_cbranch_execz .LBB85_26
; %bb.9:
	v_and_b32_e32 v4, 31, v0
	s_mov_b32 s37, 0
	s_mov_b32 s36, s21
	;; [unrolled: 1-line block ×3, first 2 shown]
	s_delay_alu instid0(VALU_DEP_1)
	v_sub_nc_u64_e64 v[4:5], v[4:5], s[36:37]
	s_branch .LBB85_11
.LBB85_10:                              ;   in Loop: Header=BB85_11 Depth=1
	s_or_b32 exec_lo, exec_lo, s21
	v_add_nc_u64_e32 v[2:3], 8, v[2:3]
	s_delay_alu instid0(VALU_DEP_1) | instskip(SKIP_1) | instid1(SALU_CYCLE_1)
	v_cmp_le_i64_e32 vcc_lo, s[12:13], v[2:3]
	s_or_b32 s20, vcc_lo, s20
	s_and_not1_b32 exec_lo, exec_lo, s20
	s_cbranch_execz .LBB85_26
.LBB85_11:                              ; =>This Loop Header: Depth=1
                                        ;     Child Loop BB85_15 Depth 2
                                        ;       Child Loop BB85_18 Depth 3
	v_lshl_add_u64 v[6:7], v[2:3], 3, s[14:15]
	s_mov_b32 s21, exec_lo
	global_load_b64 v[6:7], v[6:7], off
	s_wait_loadcnt 0x0
	s_wait_xcnt 0x0
	v_sub_nc_u64_e64 v[6:7], v[6:7], s[0:1]
	s_delay_alu instid0(VALU_DEP_1)
	v_lshl_add_u64 v[6:7], v[6:7], 3, s[18:19]
	global_load_b128 v[8:11], v[6:7], off
	s_wait_loadcnt 0x0
	s_wait_xcnt 0x0
	v_sub_nc_u64_e64 v[6:7], v[10:11], s[36:37]
	v_add_nc_u64_e32 v[8:9], v[8:9], v[4:5]
	s_delay_alu instid0(VALU_DEP_1)
	v_cmpx_lt_i64_e64 v[8:9], v[6:7]
	s_cbranch_execz .LBB85_10
; %bb.12:                               ;   in Loop: Header=BB85_11 Depth=1
	v_lshl_add_u64 v[10:11], v[2:3], 2, s[16:17]
	s_mov_b32 s40, 0
	global_load_b32 v1, v[10:11], off
	s_wait_loadcnt 0x0
	v_mul_f32_e32 v1, s38, v1
	s_branch .LBB85_15
.LBB85_13:                              ;   in Loop: Header=BB85_15 Depth=2
	s_or_b32 exec_lo, exec_lo, s42
.LBB85_14:                              ;   in Loop: Header=BB85_15 Depth=2
	s_delay_alu instid0(SALU_CYCLE_1)
	s_or_b32 exec_lo, exec_lo, s41
	s_wait_loadcnt 0x0
	v_mul_f32_e32 v11, v1, v21
	v_lshl_add_u32 v10, v10, 2, 0
	v_add_nc_u64_e32 v[8:9], 32, v[8:9]
	ds_add_f32 v10, v11 offset:4096
	v_cmp_ge_i64_e32 vcc_lo, v[8:9], v[6:7]
	s_or_b32 s40, vcc_lo, s40
	s_delay_alu instid0(SALU_CYCLE_1)
	s_and_not1_b32 exec_lo, exec_lo, s40
	s_cbranch_execz .LBB85_10
.LBB85_15:                              ;   Parent Loop BB85_11 Depth=1
                                        ; =>  This Loop Header: Depth=2
                                        ;       Child Loop BB85_18 Depth 3
	s_wait_xcnt 0x0
	v_lshl_add_u64 v[10:11], v[8:9], 3, s[28:29]
	v_lshl_add_u64 v[12:13], v[8:9], 2, s[30:31]
	s_mov_b32 s41, exec_lo
	global_load_b64 v[10:11], v[10:11], off
	global_load_b32 v21, v[12:13], off
	s_wait_loadcnt 0x1
	s_wait_xcnt 0x0
	v_sub_nc_u64_e64 v[12:13], v[10:11], s[36:37]
	s_delay_alu instid0(VALU_DEP_1) | instskip(NEXT) | instid1(VALU_DEP_1)
	v_mul_lo_u32 v10, 0x89, v12
	v_and_b32_e32 v10, 0x1ff, v10
	s_delay_alu instid0(VALU_DEP_1)
	v_lshl_add_u32 v22, v10, 3, 0
	ds_load_b64 v[16:17], v22
	s_wait_dscnt 0x0
	v_cmpx_ne_u64_e64 v[16:17], v[12:13]
	s_cbranch_execz .LBB85_14
; %bb.16:                               ;   in Loop: Header=BB85_15 Depth=2
	s_mov_b32 s42, 0
                                        ; implicit-def: $sgpr43
                                        ; implicit-def: $sgpr44
	s_branch .LBB85_18
.LBB85_17:                              ;   in Loop: Header=BB85_18 Depth=3
	s_or_b32 exec_lo, exec_lo, s47
	s_delay_alu instid0(SALU_CYCLE_1) | instskip(NEXT) | instid1(SALU_CYCLE_1)
	s_and_b32 s45, exec_lo, s46
	s_or_b32 s42, s45, s42
	s_and_not1_b32 s43, s43, exec_lo
	s_and_b32 s45, s44, exec_lo
	s_delay_alu instid0(SALU_CYCLE_1)
	s_or_b32 s43, s43, s45
	s_and_not1_b32 exec_lo, exec_lo, s42
	s_cbranch_execz .LBB85_24
.LBB85_18:                              ;   Parent Loop BB85_11 Depth=1
                                        ;     Parent Loop BB85_15 Depth=2
                                        ; =>    This Inner Loop Header: Depth=3
	v_mov_b64_e32 v[14:15], v[10:11]
	s_mov_b32 s45, 0
	s_mov_b32 s46, exec_lo
                                        ; implicit-def: $vgpr10_vgpr11
	v_cmpx_ne_u64_e64 s[24:25], v[16:17]
	s_xor_b32 s46, exec_lo, s46
; %bb.19:                               ;   in Loop: Header=BB85_18 Depth=3
	s_delay_alu instid0(VALU_DEP_2) | instskip(SKIP_1) | instid1(VALU_DEP_1)
	v_add_nc_u32_e32 v10, 1, v14
	s_mov_b32 s45, exec_lo
                                        ; implicit-def: $vgpr22
	v_and_b32_e32 v10, 0x1ff, v10
; %bb.20:                               ;   in Loop: Header=BB85_18 Depth=3
	s_and_not1_saveexec_b32 s46, s46
	s_cbranch_execz .LBB85_22
; %bb.21:                               ;   in Loop: Header=BB85_18 Depth=3
	v_mov_b64_e32 v[10:11], s[24:25]
	s_and_not1_b32 s45, s45, exec_lo
	ds_cmpstore_rtn_b64 v[10:11], v22, v[12:13], v[10:11]
	s_wait_dscnt 0x0
	v_cmp_ne_u64_e32 vcc_lo, s[24:25], v[10:11]
	v_mov_b64_e32 v[10:11], v[14:15]
	s_and_b32 s47, vcc_lo, exec_lo
	s_delay_alu instid0(SALU_CYCLE_1)
	s_or_b32 s45, s45, s47
.LBB85_22:                              ;   in Loop: Header=BB85_18 Depth=3
	s_or_b32 exec_lo, exec_lo, s46
	s_mov_b32 s46, -1
	s_or_b32 s44, s44, exec_lo
                                        ; implicit-def: $vgpr22
                                        ; implicit-def: $vgpr16_vgpr17
	s_and_saveexec_b32 s47, s45
	s_cbranch_execz .LBB85_17
; %bb.23:                               ;   in Loop: Header=BB85_18 Depth=3
	v_lshl_add_u32 v22, v10, 3, 0
	s_and_not1_b32 s44, s44, exec_lo
	ds_load_b64 v[16:17], v22
	s_wait_dscnt 0x0
	v_cmp_eq_u64_e32 vcc_lo, v[16:17], v[12:13]
	s_or_not1_b32 s46, vcc_lo, exec_lo
	s_branch .LBB85_17
.LBB85_24:                              ;   in Loop: Header=BB85_15 Depth=2
	s_or_b32 exec_lo, exec_lo, s42
	s_and_saveexec_b32 s42, s43
	s_delay_alu instid0(SALU_CYCLE_1)
	s_xor_b32 s42, exec_lo, s42
	s_cbranch_execz .LBB85_13
; %bb.25:                               ;   in Loop: Header=BB85_15 Depth=2
	v_mov_b32_e32 v10, v14
	s_branch .LBB85_13
.LBB85_26:
	s_or_b32 exec_lo, exec_lo, s3
.LBB85_27:
	s_delay_alu instid0(SALU_CYCLE_1)
	s_and_not1_b32 vcc_lo, exec_lo, s39
	s_cbranch_vccnz .LBB85_44
; %bb.28:
	s_wait_kmcnt 0x0
	s_lshl_b64 s[0:1], s[26:27], 3
	v_mov_b32_e32 v1, 0
	s_add_nc_u64 s[0:1], s[4:5], s[0:1]
	s_mov_b32 s3, exec_lo
	s_load_b128 s[12:15], s[0:1], 0x0
	s_wait_xcnt 0x0
	s_mov_b32 s1, 0
	s_mov_b32 s0, s23
	s_delay_alu instid0(SALU_CYCLE_1) | instskip(SKIP_1) | instid1(VALU_DEP_1)
	v_sub_nc_u64_e64 v[2:3], v[0:1], s[0:1]
	s_wait_kmcnt 0x0
	v_add_nc_u64_e32 v[2:3], s[12:13], v[2:3]
	s_sub_nc_u64 s[4:5], s[14:15], s[0:1]
	s_delay_alu instid0(VALU_DEP_1) | instid1(SALU_CYCLE_1)
	v_cmpx_gt_i64_e64 s[4:5], v[2:3]
	s_cbranch_execz .LBB85_43
; %bb.29:
	s_mov_b32 s12, s1
	s_branch .LBB85_32
.LBB85_30:                              ;   in Loop: Header=BB85_32 Depth=1
	s_or_b32 exec_lo, exec_lo, s14
.LBB85_31:                              ;   in Loop: Header=BB85_32 Depth=1
	s_delay_alu instid0(SALU_CYCLE_1)
	s_or_b32 exec_lo, exec_lo, s13
	s_wait_loadcnt 0x0
	v_mul_f32_e32 v1, s33, v1
	v_lshl_add_u32 v4, v4, 2, 0
	v_add_nc_u64_e32 v[2:3], 0x100, v[2:3]
	ds_add_f32 v4, v1 offset:4096
	v_cmp_le_i64_e32 vcc_lo, s[4:5], v[2:3]
	s_or_b32 s12, vcc_lo, s12
	s_delay_alu instid0(SALU_CYCLE_1)
	s_and_not1_b32 exec_lo, exec_lo, s12
	s_cbranch_execz .LBB85_43
.LBB85_32:                              ; =>This Loop Header: Depth=1
                                        ;     Child Loop BB85_35 Depth 2
	v_lshl_add_u64 v[4:5], v[2:3], 3, s[6:7]
	v_lshl_add_u64 v[6:7], v[2:3], 2, s[8:9]
	s_mov_b32 s13, exec_lo
	global_load_b64 v[4:5], v[4:5], off
	global_load_b32 v1, v[6:7], off
	s_wait_loadcnt 0x1
	s_wait_xcnt 0x0
	v_sub_nc_u64_e64 v[6:7], v[4:5], s[0:1]
	s_delay_alu instid0(VALU_DEP_1) | instskip(NEXT) | instid1(VALU_DEP_1)
	v_mul_lo_u32 v4, 0x89, v6
	v_and_b32_e32 v4, 0x1ff, v4
	s_delay_alu instid0(VALU_DEP_1)
	v_lshl_add_u32 v12, v4, 3, 0
	ds_load_b64 v[10:11], v12
	s_wait_dscnt 0x0
	v_cmpx_ne_u64_e64 v[10:11], v[6:7]
	s_cbranch_execz .LBB85_31
; %bb.33:                               ;   in Loop: Header=BB85_32 Depth=1
	s_mov_b32 s14, 0
                                        ; implicit-def: $sgpr15
                                        ; implicit-def: $sgpr16
	s_branch .LBB85_35
.LBB85_34:                              ;   in Loop: Header=BB85_35 Depth=2
	s_or_b32 exec_lo, exec_lo, s19
	s_delay_alu instid0(SALU_CYCLE_1) | instskip(NEXT) | instid1(SALU_CYCLE_1)
	s_and_b32 s17, exec_lo, s18
	s_or_b32 s14, s17, s14
	s_and_not1_b32 s15, s15, exec_lo
	s_and_b32 s17, s16, exec_lo
	s_delay_alu instid0(SALU_CYCLE_1)
	s_or_b32 s15, s15, s17
	s_and_not1_b32 exec_lo, exec_lo, s14
	s_cbranch_execz .LBB85_41
.LBB85_35:                              ;   Parent Loop BB85_32 Depth=1
                                        ; =>  This Inner Loop Header: Depth=2
	v_mov_b64_e32 v[8:9], v[4:5]
	s_mov_b32 s17, 0
	s_mov_b32 s18, exec_lo
                                        ; implicit-def: $vgpr4_vgpr5
	v_cmpx_ne_u64_e64 s[24:25], v[10:11]
	s_xor_b32 s18, exec_lo, s18
; %bb.36:                               ;   in Loop: Header=BB85_35 Depth=2
	s_delay_alu instid0(VALU_DEP_2) | instskip(SKIP_1) | instid1(VALU_DEP_1)
	v_add_nc_u32_e32 v4, 1, v8
	s_mov_b32 s17, exec_lo
                                        ; implicit-def: $vgpr12
	v_and_b32_e32 v4, 0x1ff, v4
; %bb.37:                               ;   in Loop: Header=BB85_35 Depth=2
	s_and_not1_saveexec_b32 s18, s18
	s_cbranch_execz .LBB85_39
; %bb.38:                               ;   in Loop: Header=BB85_35 Depth=2
	v_mov_b64_e32 v[4:5], s[24:25]
	s_and_not1_b32 s17, s17, exec_lo
	ds_cmpstore_rtn_b64 v[4:5], v12, v[6:7], v[4:5]
	s_wait_dscnt 0x0
	v_cmp_ne_u64_e32 vcc_lo, s[24:25], v[4:5]
	v_mov_b64_e32 v[4:5], v[8:9]
	s_and_b32 s19, vcc_lo, exec_lo
	s_delay_alu instid0(SALU_CYCLE_1)
	s_or_b32 s17, s17, s19
.LBB85_39:                              ;   in Loop: Header=BB85_35 Depth=2
	s_or_b32 exec_lo, exec_lo, s18
	s_mov_b32 s18, -1
	s_or_b32 s16, s16, exec_lo
                                        ; implicit-def: $vgpr12
                                        ; implicit-def: $vgpr10_vgpr11
	s_and_saveexec_b32 s19, s17
	s_cbranch_execz .LBB85_34
; %bb.40:                               ;   in Loop: Header=BB85_35 Depth=2
	v_lshl_add_u32 v12, v4, 3, 0
	s_and_not1_b32 s16, s16, exec_lo
	ds_load_b64 v[10:11], v12
	s_wait_dscnt 0x0
	v_cmp_eq_u64_e32 vcc_lo, v[10:11], v[6:7]
	s_or_not1_b32 s18, vcc_lo, exec_lo
	s_branch .LBB85_34
.LBB85_41:                              ;   in Loop: Header=BB85_32 Depth=1
	s_or_b32 exec_lo, exec_lo, s14
	s_and_saveexec_b32 s14, s15
	s_delay_alu instid0(SALU_CYCLE_1)
	s_xor_b32 s14, exec_lo, s14
	s_cbranch_execz .LBB85_30
; %bb.42:                               ;   in Loop: Header=BB85_32 Depth=1
	v_mov_b32_e32 v4, v8
	s_branch .LBB85_30
.LBB85_43:
	s_or_b32 exec_lo, exec_lo, s3
.LBB85_44:
	s_wait_dscnt 0x0
	s_barrier_signal -1
	s_barrier_wait -1
	s_and_saveexec_b32 s4, s2
	s_cbranch_execz .LBB85_57
; %bb.45:
	v_mbcnt_lo_u32_b32 v1, -1, 0
	v_dual_mov_b32 v3, 0 :: v_dual_lshrrev_b32 v2, 3, v0
	v_mov_b64_e32 v[4:5], 0
	v_cmp_lt_u32_e64 s0, 63, v0
	s_delay_alu instid0(VALU_DEP_4) | instskip(NEXT) | instid1(VALU_DEP_4)
	v_xor_b32_e32 v1, 31, v1
	v_and_b32_e32 v2, 24, v2
	v_cmp_lt_u32_e64 s1, 0x7f, v0
	v_cmp_lt_u32_e64 s2, 0xbf, v0
	v_add3_u32 v7, v20, 0, 0x1000
	v_lshrrev_b32_e64 v6, v1, -1
	v_add_nc_u32_e32 v1, 0, v2
	s_mov_b32 s5, 0
	v_cmp_eq_u32_e32 vcc_lo, 0xff, v0
	s_branch .LBB85_47
.LBB85_46:                              ;   in Loop: Header=BB85_47 Depth=1
	s_or_b32 exec_lo, exec_lo, s3
	s_wait_dscnt 0x0
	s_barrier_signal -1
	s_barrier_wait -1
	ds_load_b64 v[8:9], v3 offset:6168
	v_add_co_u32 v18, s3, 0x100, v18
	s_xor_b32 s3, s3, -1
	v_add_nc_u32_e32 v7, 0x400, v7
	v_add_nc_u32_e32 v19, 0x800, v19
	s_and_b32 s3, exec_lo, s3
	s_delay_alu instid0(SALU_CYCLE_1)
	s_or_b32 s5, s3, s5
	s_wait_dscnt 0x0
	v_add_nc_u64_e32 v[4:5], v[8:9], v[4:5]
	s_and_not1_b32 exec_lo, exec_lo, s5
	s_cbranch_execz .LBB85_57
.LBB85_47:                              ; =>This Inner Loop Header: Depth=1
	ds_load_b64 v[8:9], v19
	ds_load_b32 v12, v7
	s_wait_dscnt 0x0
	s_barrier_signal -1
	s_barrier_wait -1
	v_cmp_gt_i64_e64 s3, s[24:25], v[8:9]
	s_bcnt1_i32_b32 s6, s3
	s_delay_alu instid0(SALU_CYCLE_1) | instskip(NEXT) | instid1(VALU_DEP_1)
	v_dual_mov_b32 v2, s6 :: v_dual_bitop2_b32 v10, s3, v6 bitop3:0x40
	v_bcnt_u32_b32 v10, v10, 0
	ds_store_b64 v1, v[2:3] offset:6144
	s_wait_dscnt 0x0
	s_barrier_signal -1
	s_barrier_wait -1
	s_and_saveexec_b32 s6, s0
	s_cbranch_execnz .LBB85_52
; %bb.48:                               ;   in Loop: Header=BB85_47 Depth=1
	s_or_b32 exec_lo, exec_lo, s6
	s_and_saveexec_b32 s6, s1
	s_cbranch_execnz .LBB85_53
.LBB85_49:                              ;   in Loop: Header=BB85_47 Depth=1
	s_or_b32 exec_lo, exec_lo, s6
	s_and_saveexec_b32 s6, s2
	s_cbranch_execnz .LBB85_54
.LBB85_50:                              ;   in Loop: Header=BB85_47 Depth=1
	s_or_b32 exec_lo, exec_lo, s6
	v_ashrrev_i32_e32 v11, 31, v10
	s_and_saveexec_b32 s6, s3
	s_cbranch_execnz .LBB85_55
.LBB85_51:                              ;   in Loop: Header=BB85_47 Depth=1
	s_or_b32 exec_lo, exec_lo, s6
	s_and_saveexec_b32 s3, vcc_lo
	s_cbranch_execz .LBB85_46
	s_branch .LBB85_56
.LBB85_52:                              ;   in Loop: Header=BB85_47 Depth=1
	ds_load_b32 v2, v3 offset:6144
	s_wait_dscnt 0x0
	v_add_nc_u32_e32 v10, v2, v10
	s_or_b32 exec_lo, exec_lo, s6
	s_and_saveexec_b32 s6, s1
	s_cbranch_execz .LBB85_49
.LBB85_53:                              ;   in Loop: Header=BB85_47 Depth=1
	ds_load_b32 v2, v3 offset:6152
	s_wait_dscnt 0x0
	v_add_nc_u32_e32 v10, v10, v2
	s_or_b32 exec_lo, exec_lo, s6
	s_and_saveexec_b32 s6, s2
	s_cbranch_execz .LBB85_50
.LBB85_54:                              ;   in Loop: Header=BB85_47 Depth=1
	ds_load_b32 v2, v3 offset:6160
	s_wait_dscnt 0x0
	v_add_nc_u32_e32 v10, v10, v2
	s_or_b32 exec_lo, exec_lo, s6
	s_delay_alu instid0(VALU_DEP_1)
	v_ashrrev_i32_e32 v11, 31, v10
	s_and_saveexec_b32 s6, s3
	s_cbranch_execz .LBB85_51
.LBB85_55:                              ;   in Loop: Header=BB85_47 Depth=1
	v_add3_u32 v2, v4, -1, v10
	v_add_nc_u32_e32 v13, v4, v10
	s_delay_alu instid0(VALU_DEP_2) | instskip(NEXT) | instid1(VALU_DEP_2)
	v_lshl_add_u32 v2, v2, 3, 0
	v_lshl_add_u32 v13, v13, 2, 0
	ds_store_b64 v2, v[8:9]
	ds_store_b32 v13, v12 offset:4092
	s_or_b32 exec_lo, exec_lo, s6
	s_and_saveexec_b32 s3, vcc_lo
	s_cbranch_execz .LBB85_46
.LBB85_56:                              ;   in Loop: Header=BB85_47 Depth=1
	ds_store_b64 v3, v[10:11] offset:6168
	s_branch .LBB85_46
.LBB85_57:
	s_or_b32 exec_lo, exec_lo, s4
	s_wait_kmcnt 0x0
	s_lshl_b64 s[0:1], s[26:27], 3
	v_mov_b32_e32 v1, 0
	s_add_nc_u64 s[4:5], s[10:11], s[0:1]
	s_mov_b32 s6, exec_lo
	s_load_b128 s[0:3], s[4:5], 0x0
	s_wait_kmcnt 0x0
	s_sub_nc_u64 s[4:5], s[2:3], s[0:1]
	s_delay_alu instid0(SALU_CYCLE_1)
	v_cmpx_gt_i64_e64 s[4:5], v[0:1]
	s_cbranch_execz .LBB85_67
; %bb.58:
	s_sub_nc_u64 s[8:9], s[0:1], s[2:3]
	s_and_b64 s[6:7], s[4:5], 7
	v_cmp_lt_u64_e64 s10, s[8:9], -7
	s_and_b64 s[2:3], s[4:5], -8
	s_mov_b32 s23, 0
	s_cmp_lg_u64 s[6:7], 0
	s_sub_nc_u64 s[0:1], s[0:1], s[22:23]
	s_cselect_b32 s11, -1, 0
	s_mov_b32 s12, 0
	s_branch .LBB85_60
.LBB85_59:                              ;   in Loop: Header=BB85_60 Depth=1
	v_add_nc_u64_e32 v[0:1], 0x100, v[0:1]
	s_wait_dscnt 0x1
	s_delay_alu instid0(VALU_DEP_2)
	v_lshl_add_u64 v[2:3], v[4:5], 2, s[34:35]
	s_wait_dscnt 0x0
	global_store_b32 v[2:3], v6, off
	v_cmp_le_i64_e32 vcc_lo, s[4:5], v[0:1]
	s_or_b32 s12, vcc_lo, s12
	s_wait_xcnt 0x0
	s_and_not1_b32 exec_lo, exec_lo, s12
	s_cbranch_execz .LBB85_67
.LBB85_60:                              ; =>This Loop Header: Depth=1
                                        ;     Child Loop BB85_62 Depth 2
                                        ;     Child Loop BB85_66 Depth 2
	v_lshl_add_u32 v2, v0, 3, 0
	v_lshlrev_b32_e32 v3, 2, v0
	s_and_not1_b32 vcc_lo, exec_lo, s10
	s_mov_b64 s[8:9], 0
	s_delay_alu instid0(VALU_DEP_1)
	v_sub_nc_u32_e32 v4, v2, v3
	ds_load_b64 v[2:3], v2
	ds_load_b32 v6, v4 offset:4096
	v_mov_b64_e32 v[4:5], s[0:1]
	s_cbranch_vccnz .LBB85_64
; %bb.61:                               ;   in Loop: Header=BB85_60 Depth=1
	v_mov_b64_e32 v[4:5], s[0:1]
	s_mov_b32 s13, 0
.LBB85_62:                              ;   Parent Loop BB85_60 Depth=1
                                        ; =>  This Inner Loop Header: Depth=2
	s_delay_alu instid0(SALU_CYCLE_1)
	v_dual_mov_b32 v7, s13 :: v_dual_mov_b32 v17, s23
	s_add_nc_u64 s[8:9], s[8:9], 8
	s_add_co_i32 s13, s13, 64
	s_cmp_eq_u64 s[2:3], s[8:9]
	ds_load_2addr_b64 v[8:11], v7 offset1:1
	ds_load_2addr_b64 v[12:15], v7 offset0:2 offset1:3
	s_wait_dscnt 0x1
	v_cmp_gt_i64_e32 vcc_lo, v[2:3], v[8:9]
	v_cndmask_b32_e64 v16, 0, 1, vcc_lo
	v_cmp_gt_i64_e32 vcc_lo, v[2:3], v[10:11]
	ds_load_2addr_b64 v[8:11], v7 offset0:4 offset1:5
	v_add_nc_u64_e32 v[4:5], v[4:5], v[16:17]
	v_cndmask_b32_e64 v18, 0, 1, vcc_lo
	s_wait_dscnt 0x1
	v_cmp_gt_i64_e32 vcc_lo, v[2:3], v[12:13]
	v_cndmask_b32_e64 v16, 0, 1, vcc_lo
	v_cmp_gt_i64_e32 vcc_lo, v[2:3], v[14:15]
	ds_load_2addr_b64 v[12:15], v7 offset0:6 offset1:7
	v_mov_b32_e32 v19, s23
	s_delay_alu instid0(VALU_DEP_1) | instskip(SKIP_4) | instid1(VALU_DEP_4)
	v_add_nc_u64_e32 v[4:5], v[4:5], v[18:19]
	v_cndmask_b32_e64 v18, 0, 1, vcc_lo
	s_wait_dscnt 0x1
	v_cmp_gt_i64_e32 vcc_lo, v[2:3], v[8:9]
	v_mov_b32_e32 v9, s23
	v_add_nc_u64_e32 v[4:5], v[4:5], v[16:17]
	v_cndmask_b32_e64 v16, 0, 1, vcc_lo
	v_cmp_gt_i64_e32 vcc_lo, v[2:3], v[10:11]
	v_mov_b32_e32 v11, s23
	s_delay_alu instid0(VALU_DEP_4) | instskip(SKIP_3) | instid1(VALU_DEP_3)
	v_add_nc_u64_e32 v[4:5], v[4:5], v[18:19]
	v_cndmask_b32_e64 v8, 0, 1, vcc_lo
	s_wait_dscnt 0x0
	v_cmp_gt_i64_e32 vcc_lo, v[2:3], v[12:13]
	v_add_nc_u64_e32 v[4:5], v[4:5], v[16:17]
	v_cndmask_b32_e64 v10, 0, 1, vcc_lo
	v_cmp_gt_i64_e32 vcc_lo, v[2:3], v[14:15]
	s_delay_alu instid0(VALU_DEP_3) | instskip(SKIP_1) | instid1(VALU_DEP_2)
	v_add_nc_u64_e32 v[4:5], v[4:5], v[8:9]
	v_cndmask_b32_e64 v8, 0, 1, vcc_lo
	v_add_nc_u64_e32 v[4:5], v[4:5], v[10:11]
	s_delay_alu instid0(VALU_DEP_1)
	v_add_nc_u64_e32 v[4:5], v[4:5], v[8:9]
	s_cbranch_scc0 .LBB85_62
; %bb.63:                               ;   in Loop: Header=BB85_60 Depth=1
	s_mov_b64 s[8:9], s[2:3]
.LBB85_64:                              ;   in Loop: Header=BB85_60 Depth=1
	s_and_not1_b32 vcc_lo, exec_lo, s11
	s_cbranch_vccnz .LBB85_59
; %bb.65:                               ;   in Loop: Header=BB85_60 Depth=1
	s_lshl_b32 s8, s8, 3
	s_delay_alu instid0(SALU_CYCLE_1)
	s_add_co_i32 s13, s8, 0
	s_mov_b64 s[8:9], s[6:7]
.LBB85_66:                              ;   Parent Loop BB85_60 Depth=1
                                        ; =>  This Inner Loop Header: Depth=2
	v_dual_mov_b32 v7, s13 :: v_dual_mov_b32 v11, s23
	s_add_nc_u64 s[8:9], s[8:9], -1
	s_add_co_i32 s13, s13, 8
	s_cmp_lg_u64 s[8:9], 0
	ds_load_b64 v[8:9], v7
	s_wait_dscnt 0x0
	v_cmp_gt_i64_e32 vcc_lo, v[2:3], v[8:9]
	v_cndmask_b32_e64 v10, 0, 1, vcc_lo
	s_delay_alu instid0(VALU_DEP_1)
	v_add_nc_u64_e32 v[4:5], v[4:5], v[10:11]
	s_cbranch_scc1 .LBB85_66
	s_branch .LBB85_59
.LBB85_67:
	s_endpgm
	.section	.rodata,"a",@progbits
	.p2align	6, 0x0
	.amdhsa_kernel _ZN9rocsparseL41csrgemm_numeric_fill_block_per_row_kernelILj256ELj32ELj512ELj137ELj64EllfEEvT5_PKS1_S3_NS_24const_host_device_scalarIT6_EEPKT4_S3_PKS5_S9_S3_SB_S6_S9_S3_SB_S9_S3_PS5_21rocsparse_index_base_SD_SD_SD_bbb
		.amdhsa_group_segment_fixed_size 0
		.amdhsa_private_segment_fixed_size 0
		.amdhsa_kernarg_size 156
		.amdhsa_user_sgpr_count 2
		.amdhsa_user_sgpr_dispatch_ptr 0
		.amdhsa_user_sgpr_queue_ptr 0
		.amdhsa_user_sgpr_kernarg_segment_ptr 1
		.amdhsa_user_sgpr_dispatch_id 0
		.amdhsa_user_sgpr_kernarg_preload_length 0
		.amdhsa_user_sgpr_kernarg_preload_offset 0
		.amdhsa_user_sgpr_private_segment_size 0
		.amdhsa_wavefront_size32 1
		.amdhsa_uses_dynamic_stack 0
		.amdhsa_enable_private_segment 0
		.amdhsa_system_sgpr_workgroup_id_x 1
		.amdhsa_system_sgpr_workgroup_id_y 0
		.amdhsa_system_sgpr_workgroup_id_z 0
		.amdhsa_system_sgpr_workgroup_info 0
		.amdhsa_system_vgpr_workitem_id 0
		.amdhsa_next_free_vgpr 23
		.amdhsa_next_free_sgpr 48
		.amdhsa_named_barrier_count 0
		.amdhsa_reserve_vcc 1
		.amdhsa_float_round_mode_32 0
		.amdhsa_float_round_mode_16_64 0
		.amdhsa_float_denorm_mode_32 3
		.amdhsa_float_denorm_mode_16_64 3
		.amdhsa_fp16_overflow 0
		.amdhsa_memory_ordered 1
		.amdhsa_forward_progress 1
		.amdhsa_inst_pref_size 22
		.amdhsa_round_robin_scheduling 0
		.amdhsa_exception_fp_ieee_invalid_op 0
		.amdhsa_exception_fp_denorm_src 0
		.amdhsa_exception_fp_ieee_div_zero 0
		.amdhsa_exception_fp_ieee_overflow 0
		.amdhsa_exception_fp_ieee_underflow 0
		.amdhsa_exception_fp_ieee_inexact 0
		.amdhsa_exception_int_div_zero 0
	.end_amdhsa_kernel
	.section	.text._ZN9rocsparseL41csrgemm_numeric_fill_block_per_row_kernelILj256ELj32ELj512ELj137ELj64EllfEEvT5_PKS1_S3_NS_24const_host_device_scalarIT6_EEPKT4_S3_PKS5_S9_S3_SB_S6_S9_S3_SB_S9_S3_PS5_21rocsparse_index_base_SD_SD_SD_bbb,"axG",@progbits,_ZN9rocsparseL41csrgemm_numeric_fill_block_per_row_kernelILj256ELj32ELj512ELj137ELj64EllfEEvT5_PKS1_S3_NS_24const_host_device_scalarIT6_EEPKT4_S3_PKS5_S9_S3_SB_S6_S9_S3_SB_S9_S3_PS5_21rocsparse_index_base_SD_SD_SD_bbb,comdat
.Lfunc_end85:
	.size	_ZN9rocsparseL41csrgemm_numeric_fill_block_per_row_kernelILj256ELj32ELj512ELj137ELj64EllfEEvT5_PKS1_S3_NS_24const_host_device_scalarIT6_EEPKT4_S3_PKS5_S9_S3_SB_S6_S9_S3_SB_S9_S3_PS5_21rocsparse_index_base_SD_SD_SD_bbb, .Lfunc_end85-_ZN9rocsparseL41csrgemm_numeric_fill_block_per_row_kernelILj256ELj32ELj512ELj137ELj64EllfEEvT5_PKS1_S3_NS_24const_host_device_scalarIT6_EEPKT4_S3_PKS5_S9_S3_SB_S6_S9_S3_SB_S9_S3_PS5_21rocsparse_index_base_SD_SD_SD_bbb
                                        ; -- End function
	.set _ZN9rocsparseL41csrgemm_numeric_fill_block_per_row_kernelILj256ELj32ELj512ELj137ELj64EllfEEvT5_PKS1_S3_NS_24const_host_device_scalarIT6_EEPKT4_S3_PKS5_S9_S3_SB_S6_S9_S3_SB_S9_S3_PS5_21rocsparse_index_base_SD_SD_SD_bbb.num_vgpr, 23
	.set _ZN9rocsparseL41csrgemm_numeric_fill_block_per_row_kernelILj256ELj32ELj512ELj137ELj64EllfEEvT5_PKS1_S3_NS_24const_host_device_scalarIT6_EEPKT4_S3_PKS5_S9_S3_SB_S6_S9_S3_SB_S9_S3_PS5_21rocsparse_index_base_SD_SD_SD_bbb.num_agpr, 0
	.set _ZN9rocsparseL41csrgemm_numeric_fill_block_per_row_kernelILj256ELj32ELj512ELj137ELj64EllfEEvT5_PKS1_S3_NS_24const_host_device_scalarIT6_EEPKT4_S3_PKS5_S9_S3_SB_S6_S9_S3_SB_S9_S3_PS5_21rocsparse_index_base_SD_SD_SD_bbb.numbered_sgpr, 48
	.set _ZN9rocsparseL41csrgemm_numeric_fill_block_per_row_kernelILj256ELj32ELj512ELj137ELj64EllfEEvT5_PKS1_S3_NS_24const_host_device_scalarIT6_EEPKT4_S3_PKS5_S9_S3_SB_S6_S9_S3_SB_S9_S3_PS5_21rocsparse_index_base_SD_SD_SD_bbb.num_named_barrier, 0
	.set _ZN9rocsparseL41csrgemm_numeric_fill_block_per_row_kernelILj256ELj32ELj512ELj137ELj64EllfEEvT5_PKS1_S3_NS_24const_host_device_scalarIT6_EEPKT4_S3_PKS5_S9_S3_SB_S6_S9_S3_SB_S9_S3_PS5_21rocsparse_index_base_SD_SD_SD_bbb.private_seg_size, 0
	.set _ZN9rocsparseL41csrgemm_numeric_fill_block_per_row_kernelILj256ELj32ELj512ELj137ELj64EllfEEvT5_PKS1_S3_NS_24const_host_device_scalarIT6_EEPKT4_S3_PKS5_S9_S3_SB_S6_S9_S3_SB_S9_S3_PS5_21rocsparse_index_base_SD_SD_SD_bbb.uses_vcc, 1
	.set _ZN9rocsparseL41csrgemm_numeric_fill_block_per_row_kernelILj256ELj32ELj512ELj137ELj64EllfEEvT5_PKS1_S3_NS_24const_host_device_scalarIT6_EEPKT4_S3_PKS5_S9_S3_SB_S6_S9_S3_SB_S9_S3_PS5_21rocsparse_index_base_SD_SD_SD_bbb.uses_flat_scratch, 0
	.set _ZN9rocsparseL41csrgemm_numeric_fill_block_per_row_kernelILj256ELj32ELj512ELj137ELj64EllfEEvT5_PKS1_S3_NS_24const_host_device_scalarIT6_EEPKT4_S3_PKS5_S9_S3_SB_S6_S9_S3_SB_S9_S3_PS5_21rocsparse_index_base_SD_SD_SD_bbb.has_dyn_sized_stack, 0
	.set _ZN9rocsparseL41csrgemm_numeric_fill_block_per_row_kernelILj256ELj32ELj512ELj137ELj64EllfEEvT5_PKS1_S3_NS_24const_host_device_scalarIT6_EEPKT4_S3_PKS5_S9_S3_SB_S6_S9_S3_SB_S9_S3_PS5_21rocsparse_index_base_SD_SD_SD_bbb.has_recursion, 0
	.set _ZN9rocsparseL41csrgemm_numeric_fill_block_per_row_kernelILj256ELj32ELj512ELj137ELj64EllfEEvT5_PKS1_S3_NS_24const_host_device_scalarIT6_EEPKT4_S3_PKS5_S9_S3_SB_S6_S9_S3_SB_S9_S3_PS5_21rocsparse_index_base_SD_SD_SD_bbb.has_indirect_call, 0
	.section	.AMDGPU.csdata,"",@progbits
; Kernel info:
; codeLenInByte = 2736
; TotalNumSgprs: 50
; NumVgprs: 23
; ScratchSize: 0
; MemoryBound: 0
; FloatMode: 240
; IeeeMode: 1
; LDSByteSize: 0 bytes/workgroup (compile time only)
; SGPRBlocks: 0
; VGPRBlocks: 1
; NumSGPRsForWavesPerEU: 50
; NumVGPRsForWavesPerEU: 23
; NamedBarCnt: 0
; Occupancy: 16
; WaveLimiterHint : 1
; COMPUTE_PGM_RSRC2:SCRATCH_EN: 0
; COMPUTE_PGM_RSRC2:USER_SGPR: 2
; COMPUTE_PGM_RSRC2:TRAP_HANDLER: 0
; COMPUTE_PGM_RSRC2:TGID_X_EN: 1
; COMPUTE_PGM_RSRC2:TGID_Y_EN: 0
; COMPUTE_PGM_RSRC2:TGID_Z_EN: 0
; COMPUTE_PGM_RSRC2:TIDIG_COMP_CNT: 0
	.section	.text._ZN9rocsparseL41csrgemm_numeric_fill_block_per_row_kernelILj512ELj32ELj1024ELj137ELj32EllfEEvT5_PKS1_S3_NS_24const_host_device_scalarIT6_EEPKT4_S3_PKS5_S9_S3_SB_S6_S9_S3_SB_S9_S3_PS5_21rocsparse_index_base_SD_SD_SD_bbb,"axG",@progbits,_ZN9rocsparseL41csrgemm_numeric_fill_block_per_row_kernelILj512ELj32ELj1024ELj137ELj32EllfEEvT5_PKS1_S3_NS_24const_host_device_scalarIT6_EEPKT4_S3_PKS5_S9_S3_SB_S6_S9_S3_SB_S9_S3_PS5_21rocsparse_index_base_SD_SD_SD_bbb,comdat
	.globl	_ZN9rocsparseL41csrgemm_numeric_fill_block_per_row_kernelILj512ELj32ELj1024ELj137ELj32EllfEEvT5_PKS1_S3_NS_24const_host_device_scalarIT6_EEPKT4_S3_PKS5_S9_S3_SB_S6_S9_S3_SB_S9_S3_PS5_21rocsparse_index_base_SD_SD_SD_bbb ; -- Begin function _ZN9rocsparseL41csrgemm_numeric_fill_block_per_row_kernelILj512ELj32ELj1024ELj137ELj32EllfEEvT5_PKS1_S3_NS_24const_host_device_scalarIT6_EEPKT4_S3_PKS5_S9_S3_SB_S6_S9_S3_SB_S9_S3_PS5_21rocsparse_index_base_SD_SD_SD_bbb
	.p2align	8
	.type	_ZN9rocsparseL41csrgemm_numeric_fill_block_per_row_kernelILj512ELj32ELj1024ELj137ELj32EllfEEvT5_PKS1_S3_NS_24const_host_device_scalarIT6_EEPKT4_S3_PKS5_S9_S3_SB_S6_S9_S3_SB_S9_S3_PS5_21rocsparse_index_base_SD_SD_SD_bbb,@function
_ZN9rocsparseL41csrgemm_numeric_fill_block_per_row_kernelILj512ELj32ELj1024ELj137ELj32EllfEEvT5_PKS1_S3_NS_24const_host_device_scalarIT6_EEPKT4_S3_PKS5_S9_S3_SB_S6_S9_S3_SB_S9_S3_PS5_21rocsparse_index_base_SD_SD_SD_bbb: ; @_ZN9rocsparseL41csrgemm_numeric_fill_block_per_row_kernelILj512ELj32ELj1024ELj137ELj32EllfEEvT5_PKS1_S3_NS_24const_host_device_scalarIT6_EEPKT4_S3_PKS5_S9_S3_SB_S6_S9_S3_SB_S9_S3_PS5_21rocsparse_index_base_SD_SD_SD_bbb
; %bb.0:
	s_clause 0x3
	s_load_b32 s6, s[0:1], 0x98
	s_load_b64 s[2:3], s[0:1], 0x18
	s_load_b128 s[20:23], s[0:1], 0x88
	s_load_b64 s[4:5], s[0:1], 0x50
	s_wait_kmcnt 0x0
	s_and_b32 s8, 1, s6
	s_bitcmp1_b32 s6, 16
	s_cselect_b32 s7, -1, 0
	s_cmp_eq_u32 s8, 1
	s_cselect_b32 s38, -1, 0
	s_delay_alu instid0(SALU_CYCLE_1) | instskip(SKIP_2) | instid1(SALU_CYCLE_1)
	s_and_b32 s8, s38, exec_lo
	s_cselect_b32 s36, s2, 0
	s_xor_b32 s8, s38, -1
	s_or_b32 s8, s7, s8
	s_delay_alu instid0(SALU_CYCLE_1)
	s_and_b32 vcc_lo, exec_lo, s8
	s_cbranch_vccnz .LBB86_2
; %bb.1:
	s_load_b32 s36, s[2:3], 0x0
.LBB86_2:
	s_wait_xcnt 0x0
	s_load_b64 s[2:3], s[0:1], 0x8
	s_bitcmp1_b32 s6, 8
	s_cselect_b32 s37, -1, 0
	s_delay_alu instid0(SALU_CYCLE_1) | instskip(SKIP_2) | instid1(SALU_CYCLE_1)
	s_and_b32 s6, s37, exec_lo
	s_cselect_b32 s33, s4, 0
	s_xor_b32 s6, s37, -1
	s_or_b32 s6, s7, s6
	s_delay_alu instid0(SALU_CYCLE_1)
	s_and_b32 vcc_lo, exec_lo, s6
	s_cbranch_vccnz .LBB86_4
; %bb.3:
	s_load_b32 s33, s[4:5], 0x0
.LBB86_4:
	s_clause 0x4
	s_load_b64 s[30:31], s[0:1], 0x0
	s_load_b64 s[34:35], s[0:1], 0x10
	;; [unrolled: 1-line block ×3, first 2 shown]
	s_load_b256 s[12:19], s[0:1], 0x58
	s_load_b128 s[24:27], s[0:1], 0x40
	s_wait_xcnt 0x0
	s_load_b256 s[4:11], s[0:1], 0x20
	v_lshl_add_u32 v20, v0, 3, 0
	v_lshlrev_b32_e32 v1, 2, v0
	v_or_b32_e32 v21, 0xfffffe00, v0
	s_wait_xcnt 0x0
	s_mov_b32 s0, 0
	v_mov_b32_e32 v4, v20
	v_add3_u32 v22, v1, 0, 0x2000
	v_dual_mov_b32 v1, 0 :: v_dual_mov_b32 v5, v21
	s_delay_alu instid0(VALU_DEP_2)
	v_mov_b32_e32 v6, v22
	s_wait_kmcnt 0x0
	v_mov_b64_e32 v[2:3], s[30:31]
.LBB86_5:                               ; =>This Inner Loop Header: Depth=1
	s_delay_alu instid0(VALU_DEP_3)
	v_add_co_u32 v5, s1, 0x200, v5
	s_xor_b32 s1, s1, -1
	ds_store_b64 v4, v[2:3]
	ds_store_b32 v6, v1
	v_add_nc_u32_e32 v6, 0x800, v6
	v_add_nc_u32_e32 v4, 0x1000, v4
	s_and_b32 s1, exec_lo, s1
	s_delay_alu instid0(SALU_CYCLE_1) | instskip(NEXT) | instid1(SALU_CYCLE_1)
	s_or_b32 s0, s1, s0
	s_and_not1_b32 exec_lo, exec_lo, s0
	s_cbranch_execnz .LBB86_5
; %bb.6:
	s_or_b32 exec_lo, exec_lo, s0
	s_wait_dscnt 0x0
	s_barrier_signal -1
	s_barrier_wait -1
	s_load_b64 s[0:1], s[2:3], 0x0
	s_wait_xcnt 0x0
	s_bfe_u32 s2, ttmp6, 0x4000c
	s_and_b32 s3, ttmp6, 15
	s_add_co_i32 s2, s2, 1
	s_getreg_b32 s39, hwreg(HW_REG_IB_STS2, 6, 4)
	s_mul_i32 s2, ttmp9, s2
	v_lshrrev_b32_e32 v2, 5, v0
	s_add_co_i32 s3, s3, s2
	s_wait_kmcnt 0x0
	s_lshl_b64 s[0:1], s[0:1], 3
	s_cmp_eq_u32 s39, 0
	s_add_nc_u64 s[0:1], s[34:35], s[0:1]
	s_cselect_b32 s2, ttmp9, s3
	s_and_b32 vcc_lo, exec_lo, s38
	s_load_b64 s[34:35], s[0:1], s2 offset:0x0 scale_offset
	s_wait_xcnt 0x0
	s_mov_b32 s1, 0
	s_cbranch_vccz .LBB86_26
; %bb.7:
	s_wait_kmcnt 0x0
	s_lshl_b64 s[2:3], s[34:35], 3
	v_mov_b32_e32 v3, 0
	s_add_nc_u64 s[2:3], s[4:5], s[2:3]
	s_mov_b32 s0, s20
	s_load_b128 s[40:43], s[2:3], 0x0
	s_mov_b32 s20, exec_lo
	v_sub_nc_u64_e64 v[4:5], v[2:3], s[0:1]
	s_wait_kmcnt 0x0
	s_delay_alu instid0(VALU_DEP_1)
	v_add_nc_u64_e32 v[4:5], s[40:41], v[4:5]
	s_sub_nc_u64 s[2:3], s[42:43], s[0:1]
	s_delay_alu instid0(VALU_DEP_1) | instid1(SALU_CYCLE_1)
	v_cmpx_gt_i64_e64 s[2:3], v[4:5]
	s_cbranch_execz .LBB86_25
; %bb.8:
	v_dual_mov_b32 v7, v3 :: v_dual_bitop2_b32 v6, 31, v0 bitop3:0x40
	s_mov_b32 s5, 0
	s_mov_b32 s4, s21
	;; [unrolled: 1-line block ×3, first 2 shown]
	s_delay_alu instid0(VALU_DEP_1)
	v_sub_nc_u64_e64 v[6:7], v[6:7], s[4:5]
	s_branch .LBB86_10
.LBB86_9:                               ;   in Loop: Header=BB86_10 Depth=1
	s_or_b32 exec_lo, exec_lo, s38
	v_add_nc_u64_e32 v[4:5], 16, v[4:5]
	s_delay_alu instid0(VALU_DEP_1) | instskip(SKIP_1) | instid1(SALU_CYCLE_1)
	v_cmp_le_i64_e32 vcc_lo, s[2:3], v[4:5]
	s_or_b32 s21, vcc_lo, s21
	s_and_not1_b32 exec_lo, exec_lo, s21
	s_cbranch_execz .LBB86_25
.LBB86_10:                              ; =>This Loop Header: Depth=1
                                        ;     Child Loop BB86_14 Depth 2
                                        ;       Child Loop BB86_17 Depth 3
	v_lshl_add_u64 v[8:9], v[4:5], 3, s[6:7]
	s_mov_b32 s38, exec_lo
	global_load_b64 v[8:9], v[8:9], off
	s_wait_loadcnt 0x0
	s_wait_xcnt 0x0
	v_sub_nc_u64_e64 v[8:9], v[8:9], s[0:1]
	s_delay_alu instid0(VALU_DEP_1)
	v_lshl_add_u64 v[8:9], v[8:9], 3, s[10:11]
	global_load_b128 v[10:13], v[8:9], off
	s_wait_loadcnt 0x0
	s_wait_xcnt 0x0
	v_sub_nc_u64_e64 v[8:9], v[12:13], s[4:5]
	v_add_nc_u64_e32 v[10:11], v[10:11], v[6:7]
	s_delay_alu instid0(VALU_DEP_1)
	v_cmpx_lt_i64_e64 v[10:11], v[8:9]
	s_cbranch_execz .LBB86_9
; %bb.11:                               ;   in Loop: Header=BB86_10 Depth=1
	v_lshl_add_u64 v[12:13], v[4:5], 2, s[8:9]
	s_mov_b32 s39, 0
	global_load_b32 v1, v[12:13], off
	s_wait_loadcnt 0x0
	v_mul_f32_e32 v1, s36, v1
	s_branch .LBB86_14
.LBB86_12:                              ;   in Loop: Header=BB86_14 Depth=2
	s_or_b32 exec_lo, exec_lo, s41
.LBB86_13:                              ;   in Loop: Header=BB86_14 Depth=2
	s_delay_alu instid0(SALU_CYCLE_1)
	s_or_b32 exec_lo, exec_lo, s40
	s_wait_loadcnt 0x0
	v_mul_f32_e32 v3, v1, v3
	v_lshl_add_u32 v12, v12, 2, 0
	v_add_nc_u64_e32 v[10:11], 32, v[10:11]
	ds_add_f32 v12, v3 offset:8192
	v_cmp_ge_i64_e32 vcc_lo, v[10:11], v[8:9]
	s_or_b32 s39, vcc_lo, s39
	s_delay_alu instid0(SALU_CYCLE_1)
	s_and_not1_b32 exec_lo, exec_lo, s39
	s_cbranch_execz .LBB86_9
.LBB86_14:                              ;   Parent Loop BB86_10 Depth=1
                                        ; =>  This Loop Header: Depth=2
                                        ;       Child Loop BB86_17 Depth 3
	s_wait_xcnt 0x0
	v_lshl_add_u64 v[12:13], v[10:11], 3, s[24:25]
	v_lshl_add_u64 v[14:15], v[10:11], 2, s[26:27]
	s_mov_b32 s40, exec_lo
	global_load_b64 v[12:13], v[12:13], off
	global_load_b32 v3, v[14:15], off
	s_wait_loadcnt 0x1
	s_wait_xcnt 0x0
	v_sub_nc_u64_e64 v[14:15], v[12:13], s[4:5]
	s_delay_alu instid0(VALU_DEP_1) | instskip(NEXT) | instid1(VALU_DEP_1)
	v_mul_lo_u32 v12, 0x89, v14
	v_and_b32_e32 v12, 0x3ff, v12
	s_delay_alu instid0(VALU_DEP_1)
	v_lshl_add_u32 v23, v12, 3, 0
	ds_load_b64 v[18:19], v23
	s_wait_dscnt 0x0
	v_cmpx_ne_u64_e64 v[18:19], v[14:15]
	s_cbranch_execz .LBB86_13
; %bb.15:                               ;   in Loop: Header=BB86_14 Depth=2
	s_mov_b32 s41, 0
                                        ; implicit-def: $sgpr42
                                        ; implicit-def: $sgpr43
	s_branch .LBB86_17
.LBB86_16:                              ;   in Loop: Header=BB86_17 Depth=3
	s_or_b32 exec_lo, exec_lo, s46
	s_delay_alu instid0(SALU_CYCLE_1) | instskip(NEXT) | instid1(SALU_CYCLE_1)
	s_and_b32 s44, exec_lo, s45
	s_or_b32 s41, s44, s41
	s_and_not1_b32 s42, s42, exec_lo
	s_and_b32 s44, s43, exec_lo
	s_delay_alu instid0(SALU_CYCLE_1)
	s_or_b32 s42, s42, s44
	s_and_not1_b32 exec_lo, exec_lo, s41
	s_cbranch_execz .LBB86_23
.LBB86_17:                              ;   Parent Loop BB86_10 Depth=1
                                        ;     Parent Loop BB86_14 Depth=2
                                        ; =>    This Inner Loop Header: Depth=3
	v_mov_b64_e32 v[16:17], v[12:13]
	s_mov_b32 s44, 0
	s_mov_b32 s45, exec_lo
                                        ; implicit-def: $vgpr12_vgpr13
	v_cmpx_ne_u64_e64 s[30:31], v[18:19]
	s_xor_b32 s45, exec_lo, s45
; %bb.18:                               ;   in Loop: Header=BB86_17 Depth=3
	s_delay_alu instid0(VALU_DEP_2) | instskip(SKIP_1) | instid1(VALU_DEP_1)
	v_add_nc_u32_e32 v12, 1, v16
	s_mov_b32 s44, exec_lo
                                        ; implicit-def: $vgpr23
	v_and_b32_e32 v12, 0x3ff, v12
; %bb.19:                               ;   in Loop: Header=BB86_17 Depth=3
	s_and_not1_saveexec_b32 s45, s45
	s_cbranch_execz .LBB86_21
; %bb.20:                               ;   in Loop: Header=BB86_17 Depth=3
	v_mov_b64_e32 v[12:13], s[30:31]
	s_and_not1_b32 s44, s44, exec_lo
	ds_cmpstore_rtn_b64 v[12:13], v23, v[14:15], v[12:13]
	s_wait_dscnt 0x0
	v_cmp_ne_u64_e32 vcc_lo, s[30:31], v[12:13]
	v_mov_b64_e32 v[12:13], v[16:17]
	s_and_b32 s46, vcc_lo, exec_lo
	s_delay_alu instid0(SALU_CYCLE_1)
	s_or_b32 s44, s44, s46
.LBB86_21:                              ;   in Loop: Header=BB86_17 Depth=3
	s_or_b32 exec_lo, exec_lo, s45
	s_mov_b32 s45, -1
	s_or_b32 s43, s43, exec_lo
                                        ; implicit-def: $vgpr23
                                        ; implicit-def: $vgpr18_vgpr19
	s_and_saveexec_b32 s46, s44
	s_cbranch_execz .LBB86_16
; %bb.22:                               ;   in Loop: Header=BB86_17 Depth=3
	v_lshl_add_u32 v23, v12, 3, 0
	s_and_not1_b32 s43, s43, exec_lo
	ds_load_b64 v[18:19], v23
	s_wait_dscnt 0x0
	v_cmp_eq_u64_e32 vcc_lo, v[18:19], v[14:15]
	s_or_not1_b32 s45, vcc_lo, exec_lo
	s_branch .LBB86_16
.LBB86_23:                              ;   in Loop: Header=BB86_14 Depth=2
	s_or_b32 exec_lo, exec_lo, s41
	s_and_saveexec_b32 s41, s42
	s_delay_alu instid0(SALU_CYCLE_1)
	s_xor_b32 s41, exec_lo, s41
	s_cbranch_execz .LBB86_12
; %bb.24:                               ;   in Loop: Header=BB86_14 Depth=2
	v_mov_b32_e32 v12, v16
	s_branch .LBB86_12
.LBB86_25:
	s_or_b32 exec_lo, exec_lo, s20
.LBB86_26:
	s_delay_alu instid0(SALU_CYCLE_1)
	s_and_not1_b32 vcc_lo, exec_lo, s37
	s_cbranch_vccnz .LBB86_43
; %bb.27:
	s_wait_kmcnt 0x0
	s_lshl_b64 s[0:1], s[34:35], 3
	v_mov_b32_e32 v1, 0
	s_add_nc_u64 s[0:1], s[12:13], s[0:1]
	s_load_b128 s[4:7], s[0:1], 0x0
	s_wait_xcnt 0x0
	s_mov_b32 s1, 0
	s_mov_b32 s0, s23
	s_delay_alu instid0(SALU_CYCLE_1) | instskip(SKIP_1) | instid1(VALU_DEP_1)
	v_sub_nc_u64_e64 v[4:5], v[0:1], s[0:1]
	s_wait_kmcnt 0x0
	v_add_nc_u64_e32 v[4:5], s[4:5], v[4:5]
	s_sub_nc_u64 s[2:3], s[6:7], s[0:1]
	s_mov_b32 s4, exec_lo
	s_delay_alu instid0(VALU_DEP_1)
	v_cmpx_gt_i64_e64 s[2:3], v[4:5]
	s_cbranch_execz .LBB86_42
; %bb.28:
	s_mov_b32 s5, s1
	s_branch .LBB86_31
.LBB86_29:                              ;   in Loop: Header=BB86_31 Depth=1
	s_or_b32 exec_lo, exec_lo, s7
.LBB86_30:                              ;   in Loop: Header=BB86_31 Depth=1
	s_delay_alu instid0(SALU_CYCLE_1)
	s_or_b32 exec_lo, exec_lo, s6
	s_wait_loadcnt 0x0
	v_mul_f32_e32 v1, s33, v1
	v_lshl_add_u32 v3, v6, 2, 0
	v_add_nc_u64_e32 v[4:5], 0x200, v[4:5]
	ds_add_f32 v3, v1 offset:8192
	v_cmp_le_i64_e32 vcc_lo, s[2:3], v[4:5]
	s_or_b32 s5, vcc_lo, s5
	s_delay_alu instid0(SALU_CYCLE_1)
	s_and_not1_b32 exec_lo, exec_lo, s5
	s_cbranch_execz .LBB86_42
.LBB86_31:                              ; =>This Loop Header: Depth=1
                                        ;     Child Loop BB86_34 Depth 2
	v_lshl_add_u64 v[6:7], v[4:5], 3, s[14:15]
	v_lshl_add_u64 v[8:9], v[4:5], 2, s[16:17]
	s_mov_b32 s6, exec_lo
	global_load_b64 v[6:7], v[6:7], off
	global_load_b32 v1, v[8:9], off
	s_wait_loadcnt 0x1
	s_wait_xcnt 0x0
	v_sub_nc_u64_e64 v[8:9], v[6:7], s[0:1]
	s_delay_alu instid0(VALU_DEP_1) | instskip(NEXT) | instid1(VALU_DEP_1)
	v_mul_lo_u32 v3, 0x89, v8
	v_and_b32_e32 v6, 0x3ff, v3
	s_delay_alu instid0(VALU_DEP_1)
	v_lshl_add_u32 v3, v6, 3, 0
	ds_load_b64 v[12:13], v3
	s_wait_dscnt 0x0
	v_cmpx_ne_u64_e64 v[12:13], v[8:9]
	s_cbranch_execz .LBB86_30
; %bb.32:                               ;   in Loop: Header=BB86_31 Depth=1
	s_mov_b32 s7, 0
                                        ; implicit-def: $sgpr8
                                        ; implicit-def: $sgpr9
	s_branch .LBB86_34
.LBB86_33:                              ;   in Loop: Header=BB86_34 Depth=2
	s_or_b32 exec_lo, exec_lo, s12
	s_delay_alu instid0(SALU_CYCLE_1) | instskip(NEXT) | instid1(SALU_CYCLE_1)
	s_and_b32 s10, exec_lo, s11
	s_or_b32 s7, s10, s7
	s_and_not1_b32 s8, s8, exec_lo
	s_and_b32 s10, s9, exec_lo
	s_delay_alu instid0(SALU_CYCLE_1)
	s_or_b32 s8, s8, s10
	s_and_not1_b32 exec_lo, exec_lo, s7
	s_cbranch_execz .LBB86_40
.LBB86_34:                              ;   Parent Loop BB86_31 Depth=1
                                        ; =>  This Inner Loop Header: Depth=2
	v_mov_b64_e32 v[10:11], v[6:7]
	s_mov_b32 s10, 0
	s_mov_b32 s11, exec_lo
                                        ; implicit-def: $vgpr6_vgpr7
	v_cmpx_ne_u64_e64 s[30:31], v[12:13]
	s_xor_b32 s11, exec_lo, s11
; %bb.35:                               ;   in Loop: Header=BB86_34 Depth=2
	s_delay_alu instid0(VALU_DEP_2) | instskip(SKIP_1) | instid1(VALU_DEP_1)
	v_add_nc_u32_e32 v3, 1, v10
	s_mov_b32 s10, exec_lo
	v_and_b32_e32 v6, 0x3ff, v3
                                        ; implicit-def: $vgpr3
; %bb.36:                               ;   in Loop: Header=BB86_34 Depth=2
	s_and_not1_saveexec_b32 s11, s11
	s_cbranch_execz .LBB86_38
; %bb.37:                               ;   in Loop: Header=BB86_34 Depth=2
	v_mov_b64_e32 v[6:7], s[30:31]
	s_and_not1_b32 s10, s10, exec_lo
	ds_cmpstore_rtn_b64 v[6:7], v3, v[8:9], v[6:7]
	s_wait_dscnt 0x0
	v_cmp_ne_u64_e32 vcc_lo, s[30:31], v[6:7]
	v_mov_b64_e32 v[6:7], v[10:11]
	s_and_b32 s12, vcc_lo, exec_lo
	s_delay_alu instid0(SALU_CYCLE_1)
	s_or_b32 s10, s10, s12
.LBB86_38:                              ;   in Loop: Header=BB86_34 Depth=2
	s_or_b32 exec_lo, exec_lo, s11
	s_mov_b32 s11, -1
	s_or_b32 s9, s9, exec_lo
                                        ; implicit-def: $vgpr3
                                        ; implicit-def: $vgpr12_vgpr13
	s_and_saveexec_b32 s12, s10
	s_cbranch_execz .LBB86_33
; %bb.39:                               ;   in Loop: Header=BB86_34 Depth=2
	v_lshl_add_u32 v3, v6, 3, 0
	s_and_not1_b32 s9, s9, exec_lo
	ds_load_b64 v[12:13], v3
	s_wait_dscnt 0x0
	v_cmp_eq_u64_e32 vcc_lo, v[12:13], v[8:9]
	s_or_not1_b32 s11, vcc_lo, exec_lo
	s_branch .LBB86_33
.LBB86_40:                              ;   in Loop: Header=BB86_31 Depth=1
	s_or_b32 exec_lo, exec_lo, s7
	s_and_saveexec_b32 s7, s8
	s_delay_alu instid0(SALU_CYCLE_1)
	s_xor_b32 s7, exec_lo, s7
	s_cbranch_execz .LBB86_29
; %bb.41:                               ;   in Loop: Header=BB86_31 Depth=1
	v_mov_b32_e32 v6, v10
	s_branch .LBB86_29
.LBB86_42:
	s_or_b32 exec_lo, exec_lo, s4
.LBB86_43:
	v_mbcnt_lo_u32_b32 v4, -1, 0
	v_mov_b32_e32 v3, 0
	v_lshl_add_u32 v1, v2, 3, 0
	v_mov_b64_e32 v[6:7], 0
	v_cmp_lt_u32_e64 s0, 31, v0
	v_xor_b32_e32 v2, 31, v4
	v_cmp_lt_u32_e64 s1, 63, v0
	v_cmp_lt_u32_e64 s2, 0x5f, v0
	;; [unrolled: 1-line block ×4, first 2 shown]
	v_lshrrev_b32_e64 v4, v2, -1
	v_cmp_lt_u32_e64 s5, 0xbf, v0
	v_cmp_lt_u32_e64 s6, 0xdf, v0
	v_cmp_lt_u32_e64 s7, 0xff, v0
	v_cmp_lt_u32_e64 s8, 0x11f, v0
	v_cmp_lt_u32_e64 s9, 0x13f, v0
	v_cmp_lt_u32_e64 s10, 0x15f, v0
	v_cmp_lt_u32_e64 s11, 0x17f, v0
	v_cmp_lt_u32_e64 s12, 0x19f, v0
	v_cmp_lt_u32_e64 s13, 0x1bf, v0
	v_cmp_lt_u32_e64 s14, 0x1df, v0
	s_mov_b32 s16, 0
	s_wait_dscnt 0x0
	v_cmp_eq_u32_e32 vcc_lo, 0x1ff, v0
	s_barrier_signal -1
	s_barrier_wait -1
	s_branch .LBB86_45
.LBB86_44:                              ;   in Loop: Header=BB86_45 Depth=1
	s_or_b32 exec_lo, exec_lo, s15
	s_wait_dscnt 0x0
	s_barrier_signal -1
	s_barrier_wait -1
	ds_load_b64 v[8:9], v3 offset:12408
	v_add_co_u32 v21, s15, 0x200, v21
	s_xor_b32 s15, s15, -1
	v_add_nc_u32_e32 v22, 0x800, v22
	v_add_nc_u32_e32 v20, 0x1000, v20
	s_and_b32 s15, exec_lo, s15
	s_delay_alu instid0(SALU_CYCLE_1)
	s_or_b32 s16, s15, s16
	s_wait_dscnt 0x0
	v_add_nc_u64_e32 v[6:7], v[8:9], v[6:7]
	s_and_not1_b32 exec_lo, exec_lo, s16
	s_cbranch_execz .LBB86_79
.LBB86_45:                              ; =>This Inner Loop Header: Depth=1
	ds_load_b64 v[8:9], v20
	ds_load_b32 v5, v22
	s_wait_dscnt 0x0
	s_barrier_signal -1
	s_barrier_wait -1
	v_cmp_gt_i64_e64 s15, s[30:31], v[8:9]
	s_bcnt1_i32_b32 s17, s15
	s_delay_alu instid0(SALU_CYCLE_1) | instskip(NEXT) | instid1(VALU_DEP_1)
	v_dual_mov_b32 v2, s17 :: v_dual_bitop2_b32 v10, s15, v4 bitop3:0x40
	v_bcnt_u32_b32 v10, v10, 0
	ds_store_b64 v1, v[2:3] offset:12288
	s_wait_dscnt 0x0
	s_barrier_signal -1
	s_barrier_wait -1
	s_and_saveexec_b32 s17, s0
	s_cbranch_execnz .LBB86_62
; %bb.46:                               ;   in Loop: Header=BB86_45 Depth=1
	s_or_b32 exec_lo, exec_lo, s17
	s_and_saveexec_b32 s17, s1
	s_cbranch_execnz .LBB86_63
.LBB86_47:                              ;   in Loop: Header=BB86_45 Depth=1
	s_or_b32 exec_lo, exec_lo, s17
	s_and_saveexec_b32 s17, s2
	s_cbranch_execnz .LBB86_64
.LBB86_48:                              ;   in Loop: Header=BB86_45 Depth=1
	s_or_b32 exec_lo, exec_lo, s17
	s_and_saveexec_b32 s17, s3
	s_cbranch_execnz .LBB86_65
.LBB86_49:                              ;   in Loop: Header=BB86_45 Depth=1
	s_or_b32 exec_lo, exec_lo, s17
	s_and_saveexec_b32 s17, s4
	s_cbranch_execnz .LBB86_66
.LBB86_50:                              ;   in Loop: Header=BB86_45 Depth=1
	s_or_b32 exec_lo, exec_lo, s17
	s_and_saveexec_b32 s17, s5
	s_cbranch_execnz .LBB86_67
.LBB86_51:                              ;   in Loop: Header=BB86_45 Depth=1
	s_or_b32 exec_lo, exec_lo, s17
	s_and_saveexec_b32 s17, s6
	s_cbranch_execnz .LBB86_68
.LBB86_52:                              ;   in Loop: Header=BB86_45 Depth=1
	s_or_b32 exec_lo, exec_lo, s17
	s_and_saveexec_b32 s17, s7
	s_cbranch_execnz .LBB86_69
.LBB86_53:                              ;   in Loop: Header=BB86_45 Depth=1
	s_or_b32 exec_lo, exec_lo, s17
	s_and_saveexec_b32 s17, s8
	s_cbranch_execnz .LBB86_70
.LBB86_54:                              ;   in Loop: Header=BB86_45 Depth=1
	s_or_b32 exec_lo, exec_lo, s17
	s_and_saveexec_b32 s17, s9
	s_cbranch_execnz .LBB86_71
.LBB86_55:                              ;   in Loop: Header=BB86_45 Depth=1
	s_or_b32 exec_lo, exec_lo, s17
	s_and_saveexec_b32 s17, s10
	s_cbranch_execnz .LBB86_72
.LBB86_56:                              ;   in Loop: Header=BB86_45 Depth=1
	s_or_b32 exec_lo, exec_lo, s17
	s_and_saveexec_b32 s17, s11
	s_cbranch_execnz .LBB86_73
.LBB86_57:                              ;   in Loop: Header=BB86_45 Depth=1
	s_or_b32 exec_lo, exec_lo, s17
	s_and_saveexec_b32 s17, s12
	s_cbranch_execnz .LBB86_74
.LBB86_58:                              ;   in Loop: Header=BB86_45 Depth=1
	s_or_b32 exec_lo, exec_lo, s17
	s_and_saveexec_b32 s17, s13
	s_cbranch_execnz .LBB86_75
.LBB86_59:                              ;   in Loop: Header=BB86_45 Depth=1
	s_or_b32 exec_lo, exec_lo, s17
	s_and_saveexec_b32 s17, s14
	s_cbranch_execnz .LBB86_76
.LBB86_60:                              ;   in Loop: Header=BB86_45 Depth=1
	s_or_b32 exec_lo, exec_lo, s17
	v_ashrrev_i32_e32 v11, 31, v10
	s_and_saveexec_b32 s17, s15
	s_cbranch_execnz .LBB86_77
.LBB86_61:                              ;   in Loop: Header=BB86_45 Depth=1
	s_or_b32 exec_lo, exec_lo, s17
	s_and_saveexec_b32 s15, vcc_lo
	s_cbranch_execz .LBB86_44
	s_branch .LBB86_78
.LBB86_62:                              ;   in Loop: Header=BB86_45 Depth=1
	ds_load_b32 v2, v3 offset:12288
	s_wait_dscnt 0x0
	v_add_nc_u32_e32 v10, v2, v10
	s_or_b32 exec_lo, exec_lo, s17
	s_and_saveexec_b32 s17, s1
	s_cbranch_execz .LBB86_47
.LBB86_63:                              ;   in Loop: Header=BB86_45 Depth=1
	ds_load_b32 v2, v3 offset:12296
	s_wait_dscnt 0x0
	v_add_nc_u32_e32 v10, v10, v2
	s_or_b32 exec_lo, exec_lo, s17
	s_and_saveexec_b32 s17, s2
	s_cbranch_execz .LBB86_48
.LBB86_64:                              ;   in Loop: Header=BB86_45 Depth=1
	ds_load_b32 v2, v3 offset:12304
	s_wait_dscnt 0x0
	v_add_nc_u32_e32 v10, v10, v2
	s_or_b32 exec_lo, exec_lo, s17
	s_and_saveexec_b32 s17, s3
	s_cbranch_execz .LBB86_49
.LBB86_65:                              ;   in Loop: Header=BB86_45 Depth=1
	ds_load_b32 v2, v3 offset:12312
	s_wait_dscnt 0x0
	v_add_nc_u32_e32 v10, v10, v2
	s_or_b32 exec_lo, exec_lo, s17
	s_and_saveexec_b32 s17, s4
	s_cbranch_execz .LBB86_50
.LBB86_66:                              ;   in Loop: Header=BB86_45 Depth=1
	ds_load_b32 v2, v3 offset:12320
	s_wait_dscnt 0x0
	v_add_nc_u32_e32 v10, v10, v2
	s_or_b32 exec_lo, exec_lo, s17
	s_and_saveexec_b32 s17, s5
	s_cbranch_execz .LBB86_51
.LBB86_67:                              ;   in Loop: Header=BB86_45 Depth=1
	ds_load_b32 v2, v3 offset:12328
	s_wait_dscnt 0x0
	v_add_nc_u32_e32 v10, v10, v2
	s_or_b32 exec_lo, exec_lo, s17
	s_and_saveexec_b32 s17, s6
	s_cbranch_execz .LBB86_52
.LBB86_68:                              ;   in Loop: Header=BB86_45 Depth=1
	ds_load_b32 v2, v3 offset:12336
	s_wait_dscnt 0x0
	v_add_nc_u32_e32 v10, v10, v2
	s_or_b32 exec_lo, exec_lo, s17
	s_and_saveexec_b32 s17, s7
	s_cbranch_execz .LBB86_53
.LBB86_69:                              ;   in Loop: Header=BB86_45 Depth=1
	ds_load_b32 v2, v3 offset:12344
	s_wait_dscnt 0x0
	v_add_nc_u32_e32 v10, v10, v2
	s_or_b32 exec_lo, exec_lo, s17
	s_and_saveexec_b32 s17, s8
	s_cbranch_execz .LBB86_54
.LBB86_70:                              ;   in Loop: Header=BB86_45 Depth=1
	ds_load_b32 v2, v3 offset:12352
	s_wait_dscnt 0x0
	v_add_nc_u32_e32 v10, v10, v2
	s_or_b32 exec_lo, exec_lo, s17
	s_and_saveexec_b32 s17, s9
	s_cbranch_execz .LBB86_55
.LBB86_71:                              ;   in Loop: Header=BB86_45 Depth=1
	ds_load_b32 v2, v3 offset:12360
	s_wait_dscnt 0x0
	v_add_nc_u32_e32 v10, v10, v2
	s_or_b32 exec_lo, exec_lo, s17
	s_and_saveexec_b32 s17, s10
	s_cbranch_execz .LBB86_56
.LBB86_72:                              ;   in Loop: Header=BB86_45 Depth=1
	ds_load_b32 v2, v3 offset:12368
	s_wait_dscnt 0x0
	v_add_nc_u32_e32 v10, v10, v2
	s_or_b32 exec_lo, exec_lo, s17
	s_and_saveexec_b32 s17, s11
	s_cbranch_execz .LBB86_57
.LBB86_73:                              ;   in Loop: Header=BB86_45 Depth=1
	ds_load_b32 v2, v3 offset:12376
	s_wait_dscnt 0x0
	v_add_nc_u32_e32 v10, v10, v2
	s_or_b32 exec_lo, exec_lo, s17
	s_and_saveexec_b32 s17, s12
	s_cbranch_execz .LBB86_58
.LBB86_74:                              ;   in Loop: Header=BB86_45 Depth=1
	ds_load_b32 v2, v3 offset:12384
	s_wait_dscnt 0x0
	v_add_nc_u32_e32 v10, v10, v2
	s_or_b32 exec_lo, exec_lo, s17
	s_and_saveexec_b32 s17, s13
	s_cbranch_execz .LBB86_59
.LBB86_75:                              ;   in Loop: Header=BB86_45 Depth=1
	ds_load_b32 v2, v3 offset:12392
	s_wait_dscnt 0x0
	v_add_nc_u32_e32 v10, v10, v2
	s_or_b32 exec_lo, exec_lo, s17
	s_and_saveexec_b32 s17, s14
	s_cbranch_execz .LBB86_60
.LBB86_76:                              ;   in Loop: Header=BB86_45 Depth=1
	ds_load_b32 v2, v3 offset:12400
	s_wait_dscnt 0x0
	v_add_nc_u32_e32 v10, v10, v2
	s_or_b32 exec_lo, exec_lo, s17
	s_delay_alu instid0(VALU_DEP_1)
	v_ashrrev_i32_e32 v11, 31, v10
	s_and_saveexec_b32 s17, s15
	s_cbranch_execz .LBB86_61
.LBB86_77:                              ;   in Loop: Header=BB86_45 Depth=1
	v_add3_u32 v2, v6, -1, v10
	v_add_nc_u32_e32 v12, v6, v10
	s_delay_alu instid0(VALU_DEP_2) | instskip(NEXT) | instid1(VALU_DEP_2)
	v_lshl_add_u32 v2, v2, 3, 0
	v_lshl_add_u32 v12, v12, 2, 0
	ds_store_b64 v2, v[8:9]
	ds_store_b32 v12, v5 offset:8188
	s_or_b32 exec_lo, exec_lo, s17
	s_and_saveexec_b32 s15, vcc_lo
	s_cbranch_execz .LBB86_44
.LBB86_78:                              ;   in Loop: Header=BB86_45 Depth=1
	ds_store_b64 v3, v[10:11] offset:12408
	s_branch .LBB86_44
.LBB86_79:
	s_or_b32 exec_lo, exec_lo, s16
	s_wait_kmcnt 0x0
	s_lshl_b64 s[0:1], s[34:35], 3
	v_mov_b32_e32 v1, 0
	s_add_nc_u64 s[4:5], s[18:19], s[0:1]
	s_mov_b32 s6, exec_lo
	s_load_b128 s[0:3], s[4:5], 0x0
	s_wait_kmcnt 0x0
	s_sub_nc_u64 s[4:5], s[2:3], s[0:1]
	s_delay_alu instid0(SALU_CYCLE_1)
	v_cmpx_gt_i64_e64 s[4:5], v[0:1]
	s_cbranch_execz .LBB86_89
; %bb.80:
	s_sub_nc_u64 s[8:9], s[0:1], s[2:3]
	s_and_b64 s[6:7], s[4:5], 7
	v_cmp_lt_u64_e64 s10, s[8:9], -7
	s_and_b64 s[2:3], s[4:5], -8
	s_mov_b32 s23, 0
	s_cmp_lg_u64 s[6:7], 0
	s_sub_nc_u64 s[0:1], s[0:1], s[22:23]
	s_cselect_b32 s11, -1, 0
	s_mov_b32 s12, 0
	s_branch .LBB86_82
.LBB86_81:                              ;   in Loop: Header=BB86_82 Depth=1
	v_add_nc_u64_e32 v[0:1], 0x200, v[0:1]
	s_wait_dscnt 0x1
	s_delay_alu instid0(VALU_DEP_2)
	v_lshl_add_u64 v[2:3], v[4:5], 2, s[28:29]
	s_wait_dscnt 0x0
	global_store_b32 v[2:3], v6, off
	v_cmp_le_i64_e32 vcc_lo, s[4:5], v[0:1]
	s_or_b32 s12, vcc_lo, s12
	s_wait_xcnt 0x0
	s_and_not1_b32 exec_lo, exec_lo, s12
	s_cbranch_execz .LBB86_89
.LBB86_82:                              ; =>This Loop Header: Depth=1
                                        ;     Child Loop BB86_84 Depth 2
                                        ;     Child Loop BB86_88 Depth 2
	v_lshl_add_u32 v2, v0, 3, 0
	v_lshlrev_b32_e32 v3, 2, v0
	s_and_not1_b32 vcc_lo, exec_lo, s10
	s_mov_b64 s[8:9], 0
	s_delay_alu instid0(VALU_DEP_1)
	v_sub_nc_u32_e32 v4, v2, v3
	ds_load_b64 v[2:3], v2
	ds_load_b32 v6, v4 offset:8192
	v_mov_b64_e32 v[4:5], s[0:1]
	s_cbranch_vccnz .LBB86_86
; %bb.83:                               ;   in Loop: Header=BB86_82 Depth=1
	v_mov_b64_e32 v[4:5], s[0:1]
	s_mov_b32 s13, 0
.LBB86_84:                              ;   Parent Loop BB86_82 Depth=1
                                        ; =>  This Inner Loop Header: Depth=2
	s_delay_alu instid0(SALU_CYCLE_1)
	v_dual_mov_b32 v7, s13 :: v_dual_mov_b32 v17, s23
	s_add_nc_u64 s[8:9], s[8:9], 8
	s_add_co_i32 s13, s13, 64
	s_cmp_eq_u64 s[2:3], s[8:9]
	ds_load_2addr_b64 v[8:11], v7 offset1:1
	ds_load_2addr_b64 v[12:15], v7 offset0:2 offset1:3
	s_wait_dscnt 0x1
	v_cmp_gt_i64_e32 vcc_lo, v[2:3], v[8:9]
	v_cndmask_b32_e64 v16, 0, 1, vcc_lo
	v_cmp_gt_i64_e32 vcc_lo, v[2:3], v[10:11]
	ds_load_2addr_b64 v[8:11], v7 offset0:4 offset1:5
	v_add_nc_u64_e32 v[4:5], v[4:5], v[16:17]
	v_cndmask_b32_e64 v18, 0, 1, vcc_lo
	s_wait_dscnt 0x1
	v_cmp_gt_i64_e32 vcc_lo, v[2:3], v[12:13]
	v_cndmask_b32_e64 v16, 0, 1, vcc_lo
	v_cmp_gt_i64_e32 vcc_lo, v[2:3], v[14:15]
	ds_load_2addr_b64 v[12:15], v7 offset0:6 offset1:7
	v_mov_b32_e32 v19, s23
	s_delay_alu instid0(VALU_DEP_1) | instskip(SKIP_4) | instid1(VALU_DEP_4)
	v_add_nc_u64_e32 v[4:5], v[4:5], v[18:19]
	v_cndmask_b32_e64 v18, 0, 1, vcc_lo
	s_wait_dscnt 0x1
	v_cmp_gt_i64_e32 vcc_lo, v[2:3], v[8:9]
	v_mov_b32_e32 v9, s23
	v_add_nc_u64_e32 v[4:5], v[4:5], v[16:17]
	v_cndmask_b32_e64 v16, 0, 1, vcc_lo
	v_cmp_gt_i64_e32 vcc_lo, v[2:3], v[10:11]
	v_mov_b32_e32 v11, s23
	s_delay_alu instid0(VALU_DEP_4) | instskip(SKIP_3) | instid1(VALU_DEP_3)
	v_add_nc_u64_e32 v[4:5], v[4:5], v[18:19]
	v_cndmask_b32_e64 v8, 0, 1, vcc_lo
	s_wait_dscnt 0x0
	v_cmp_gt_i64_e32 vcc_lo, v[2:3], v[12:13]
	v_add_nc_u64_e32 v[4:5], v[4:5], v[16:17]
	v_cndmask_b32_e64 v10, 0, 1, vcc_lo
	v_cmp_gt_i64_e32 vcc_lo, v[2:3], v[14:15]
	s_delay_alu instid0(VALU_DEP_3) | instskip(SKIP_1) | instid1(VALU_DEP_2)
	v_add_nc_u64_e32 v[4:5], v[4:5], v[8:9]
	v_cndmask_b32_e64 v8, 0, 1, vcc_lo
	v_add_nc_u64_e32 v[4:5], v[4:5], v[10:11]
	s_delay_alu instid0(VALU_DEP_1)
	v_add_nc_u64_e32 v[4:5], v[4:5], v[8:9]
	s_cbranch_scc0 .LBB86_84
; %bb.85:                               ;   in Loop: Header=BB86_82 Depth=1
	s_mov_b64 s[8:9], s[2:3]
.LBB86_86:                              ;   in Loop: Header=BB86_82 Depth=1
	s_and_not1_b32 vcc_lo, exec_lo, s11
	s_cbranch_vccnz .LBB86_81
; %bb.87:                               ;   in Loop: Header=BB86_82 Depth=1
	s_lshl_b32 s8, s8, 3
	s_delay_alu instid0(SALU_CYCLE_1)
	s_add_co_i32 s13, s8, 0
	s_mov_b64 s[8:9], s[6:7]
.LBB86_88:                              ;   Parent Loop BB86_82 Depth=1
                                        ; =>  This Inner Loop Header: Depth=2
	v_dual_mov_b32 v7, s13 :: v_dual_mov_b32 v11, s23
	s_add_nc_u64 s[8:9], s[8:9], -1
	s_add_co_i32 s13, s13, 8
	s_cmp_lg_u64 s[8:9], 0
	ds_load_b64 v[8:9], v7
	s_wait_dscnt 0x0
	v_cmp_gt_i64_e32 vcc_lo, v[2:3], v[8:9]
	v_cndmask_b32_e64 v10, 0, 1, vcc_lo
	s_delay_alu instid0(VALU_DEP_1)
	v_add_nc_u64_e32 v[4:5], v[4:5], v[10:11]
	s_cbranch_scc1 .LBB86_88
	s_branch .LBB86_81
.LBB86_89:
	s_endpgm
	.section	.rodata,"a",@progbits
	.p2align	6, 0x0
	.amdhsa_kernel _ZN9rocsparseL41csrgemm_numeric_fill_block_per_row_kernelILj512ELj32ELj1024ELj137ELj32EllfEEvT5_PKS1_S3_NS_24const_host_device_scalarIT6_EEPKT4_S3_PKS5_S9_S3_SB_S6_S9_S3_SB_S9_S3_PS5_21rocsparse_index_base_SD_SD_SD_bbb
		.amdhsa_group_segment_fixed_size 0
		.amdhsa_private_segment_fixed_size 0
		.amdhsa_kernarg_size 156
		.amdhsa_user_sgpr_count 2
		.amdhsa_user_sgpr_dispatch_ptr 0
		.amdhsa_user_sgpr_queue_ptr 0
		.amdhsa_user_sgpr_kernarg_segment_ptr 1
		.amdhsa_user_sgpr_dispatch_id 0
		.amdhsa_user_sgpr_kernarg_preload_length 0
		.amdhsa_user_sgpr_kernarg_preload_offset 0
		.amdhsa_user_sgpr_private_segment_size 0
		.amdhsa_wavefront_size32 1
		.amdhsa_uses_dynamic_stack 0
		.amdhsa_enable_private_segment 0
		.amdhsa_system_sgpr_workgroup_id_x 1
		.amdhsa_system_sgpr_workgroup_id_y 0
		.amdhsa_system_sgpr_workgroup_id_z 0
		.amdhsa_system_sgpr_workgroup_info 0
		.amdhsa_system_vgpr_workitem_id 0
		.amdhsa_next_free_vgpr 24
		.amdhsa_next_free_sgpr 47
		.amdhsa_named_barrier_count 0
		.amdhsa_reserve_vcc 1
		.amdhsa_float_round_mode_32 0
		.amdhsa_float_round_mode_16_64 0
		.amdhsa_float_denorm_mode_32 3
		.amdhsa_float_denorm_mode_16_64 3
		.amdhsa_fp16_overflow 0
		.amdhsa_memory_ordered 1
		.amdhsa_forward_progress 1
		.amdhsa_inst_pref_size 26
		.amdhsa_round_robin_scheduling 0
		.amdhsa_exception_fp_ieee_invalid_op 0
		.amdhsa_exception_fp_denorm_src 0
		.amdhsa_exception_fp_ieee_div_zero 0
		.amdhsa_exception_fp_ieee_overflow 0
		.amdhsa_exception_fp_ieee_underflow 0
		.amdhsa_exception_fp_ieee_inexact 0
		.amdhsa_exception_int_div_zero 0
	.end_amdhsa_kernel
	.section	.text._ZN9rocsparseL41csrgemm_numeric_fill_block_per_row_kernelILj512ELj32ELj1024ELj137ELj32EllfEEvT5_PKS1_S3_NS_24const_host_device_scalarIT6_EEPKT4_S3_PKS5_S9_S3_SB_S6_S9_S3_SB_S9_S3_PS5_21rocsparse_index_base_SD_SD_SD_bbb,"axG",@progbits,_ZN9rocsparseL41csrgemm_numeric_fill_block_per_row_kernelILj512ELj32ELj1024ELj137ELj32EllfEEvT5_PKS1_S3_NS_24const_host_device_scalarIT6_EEPKT4_S3_PKS5_S9_S3_SB_S6_S9_S3_SB_S9_S3_PS5_21rocsparse_index_base_SD_SD_SD_bbb,comdat
.Lfunc_end86:
	.size	_ZN9rocsparseL41csrgemm_numeric_fill_block_per_row_kernelILj512ELj32ELj1024ELj137ELj32EllfEEvT5_PKS1_S3_NS_24const_host_device_scalarIT6_EEPKT4_S3_PKS5_S9_S3_SB_S6_S9_S3_SB_S9_S3_PS5_21rocsparse_index_base_SD_SD_SD_bbb, .Lfunc_end86-_ZN9rocsparseL41csrgemm_numeric_fill_block_per_row_kernelILj512ELj32ELj1024ELj137ELj32EllfEEvT5_PKS1_S3_NS_24const_host_device_scalarIT6_EEPKT4_S3_PKS5_S9_S3_SB_S6_S9_S3_SB_S9_S3_PS5_21rocsparse_index_base_SD_SD_SD_bbb
                                        ; -- End function
	.set _ZN9rocsparseL41csrgemm_numeric_fill_block_per_row_kernelILj512ELj32ELj1024ELj137ELj32EllfEEvT5_PKS1_S3_NS_24const_host_device_scalarIT6_EEPKT4_S3_PKS5_S9_S3_SB_S6_S9_S3_SB_S9_S3_PS5_21rocsparse_index_base_SD_SD_SD_bbb.num_vgpr, 24
	.set _ZN9rocsparseL41csrgemm_numeric_fill_block_per_row_kernelILj512ELj32ELj1024ELj137ELj32EllfEEvT5_PKS1_S3_NS_24const_host_device_scalarIT6_EEPKT4_S3_PKS5_S9_S3_SB_S6_S9_S3_SB_S9_S3_PS5_21rocsparse_index_base_SD_SD_SD_bbb.num_agpr, 0
	.set _ZN9rocsparseL41csrgemm_numeric_fill_block_per_row_kernelILj512ELj32ELj1024ELj137ELj32EllfEEvT5_PKS1_S3_NS_24const_host_device_scalarIT6_EEPKT4_S3_PKS5_S9_S3_SB_S6_S9_S3_SB_S9_S3_PS5_21rocsparse_index_base_SD_SD_SD_bbb.numbered_sgpr, 47
	.set _ZN9rocsparseL41csrgemm_numeric_fill_block_per_row_kernelILj512ELj32ELj1024ELj137ELj32EllfEEvT5_PKS1_S3_NS_24const_host_device_scalarIT6_EEPKT4_S3_PKS5_S9_S3_SB_S6_S9_S3_SB_S9_S3_PS5_21rocsparse_index_base_SD_SD_SD_bbb.num_named_barrier, 0
	.set _ZN9rocsparseL41csrgemm_numeric_fill_block_per_row_kernelILj512ELj32ELj1024ELj137ELj32EllfEEvT5_PKS1_S3_NS_24const_host_device_scalarIT6_EEPKT4_S3_PKS5_S9_S3_SB_S6_S9_S3_SB_S9_S3_PS5_21rocsparse_index_base_SD_SD_SD_bbb.private_seg_size, 0
	.set _ZN9rocsparseL41csrgemm_numeric_fill_block_per_row_kernelILj512ELj32ELj1024ELj137ELj32EllfEEvT5_PKS1_S3_NS_24const_host_device_scalarIT6_EEPKT4_S3_PKS5_S9_S3_SB_S6_S9_S3_SB_S9_S3_PS5_21rocsparse_index_base_SD_SD_SD_bbb.uses_vcc, 1
	.set _ZN9rocsparseL41csrgemm_numeric_fill_block_per_row_kernelILj512ELj32ELj1024ELj137ELj32EllfEEvT5_PKS1_S3_NS_24const_host_device_scalarIT6_EEPKT4_S3_PKS5_S9_S3_SB_S6_S9_S3_SB_S9_S3_PS5_21rocsparse_index_base_SD_SD_SD_bbb.uses_flat_scratch, 0
	.set _ZN9rocsparseL41csrgemm_numeric_fill_block_per_row_kernelILj512ELj32ELj1024ELj137ELj32EllfEEvT5_PKS1_S3_NS_24const_host_device_scalarIT6_EEPKT4_S3_PKS5_S9_S3_SB_S6_S9_S3_SB_S9_S3_PS5_21rocsparse_index_base_SD_SD_SD_bbb.has_dyn_sized_stack, 0
	.set _ZN9rocsparseL41csrgemm_numeric_fill_block_per_row_kernelILj512ELj32ELj1024ELj137ELj32EllfEEvT5_PKS1_S3_NS_24const_host_device_scalarIT6_EEPKT4_S3_PKS5_S9_S3_SB_S6_S9_S3_SB_S9_S3_PS5_21rocsparse_index_base_SD_SD_SD_bbb.has_recursion, 0
	.set _ZN9rocsparseL41csrgemm_numeric_fill_block_per_row_kernelILj512ELj32ELj1024ELj137ELj32EllfEEvT5_PKS1_S3_NS_24const_host_device_scalarIT6_EEPKT4_S3_PKS5_S9_S3_SB_S6_S9_S3_SB_S9_S3_PS5_21rocsparse_index_base_SD_SD_SD_bbb.has_indirect_call, 0
	.section	.AMDGPU.csdata,"",@progbits
; Kernel info:
; codeLenInByte = 3328
; TotalNumSgprs: 49
; NumVgprs: 24
; ScratchSize: 0
; MemoryBound: 0
; FloatMode: 240
; IeeeMode: 1
; LDSByteSize: 0 bytes/workgroup (compile time only)
; SGPRBlocks: 0
; VGPRBlocks: 1
; NumSGPRsForWavesPerEU: 49
; NumVGPRsForWavesPerEU: 24
; NamedBarCnt: 0
; Occupancy: 16
; WaveLimiterHint : 1
; COMPUTE_PGM_RSRC2:SCRATCH_EN: 0
; COMPUTE_PGM_RSRC2:USER_SGPR: 2
; COMPUTE_PGM_RSRC2:TRAP_HANDLER: 0
; COMPUTE_PGM_RSRC2:TGID_X_EN: 1
; COMPUTE_PGM_RSRC2:TGID_Y_EN: 0
; COMPUTE_PGM_RSRC2:TGID_Z_EN: 0
; COMPUTE_PGM_RSRC2:TIDIG_COMP_CNT: 0
	.section	.text._ZN9rocsparseL41csrgemm_numeric_fill_block_per_row_kernelILj512ELj32ELj1024ELj137ELj64EllfEEvT5_PKS1_S3_NS_24const_host_device_scalarIT6_EEPKT4_S3_PKS5_S9_S3_SB_S6_S9_S3_SB_S9_S3_PS5_21rocsparse_index_base_SD_SD_SD_bbb,"axG",@progbits,_ZN9rocsparseL41csrgemm_numeric_fill_block_per_row_kernelILj512ELj32ELj1024ELj137ELj64EllfEEvT5_PKS1_S3_NS_24const_host_device_scalarIT6_EEPKT4_S3_PKS5_S9_S3_SB_S6_S9_S3_SB_S9_S3_PS5_21rocsparse_index_base_SD_SD_SD_bbb,comdat
	.globl	_ZN9rocsparseL41csrgemm_numeric_fill_block_per_row_kernelILj512ELj32ELj1024ELj137ELj64EllfEEvT5_PKS1_S3_NS_24const_host_device_scalarIT6_EEPKT4_S3_PKS5_S9_S3_SB_S6_S9_S3_SB_S9_S3_PS5_21rocsparse_index_base_SD_SD_SD_bbb ; -- Begin function _ZN9rocsparseL41csrgemm_numeric_fill_block_per_row_kernelILj512ELj32ELj1024ELj137ELj64EllfEEvT5_PKS1_S3_NS_24const_host_device_scalarIT6_EEPKT4_S3_PKS5_S9_S3_SB_S6_S9_S3_SB_S9_S3_PS5_21rocsparse_index_base_SD_SD_SD_bbb
	.p2align	8
	.type	_ZN9rocsparseL41csrgemm_numeric_fill_block_per_row_kernelILj512ELj32ELj1024ELj137ELj64EllfEEvT5_PKS1_S3_NS_24const_host_device_scalarIT6_EEPKT4_S3_PKS5_S9_S3_SB_S6_S9_S3_SB_S9_S3_PS5_21rocsparse_index_base_SD_SD_SD_bbb,@function
_ZN9rocsparseL41csrgemm_numeric_fill_block_per_row_kernelILj512ELj32ELj1024ELj137ELj64EllfEEvT5_PKS1_S3_NS_24const_host_device_scalarIT6_EEPKT4_S3_PKS5_S9_S3_SB_S6_S9_S3_SB_S9_S3_PS5_21rocsparse_index_base_SD_SD_SD_bbb: ; @_ZN9rocsparseL41csrgemm_numeric_fill_block_per_row_kernelILj512ELj32ELj1024ELj137ELj64EllfEEvT5_PKS1_S3_NS_24const_host_device_scalarIT6_EEPKT4_S3_PKS5_S9_S3_SB_S6_S9_S3_SB_S9_S3_PS5_21rocsparse_index_base_SD_SD_SD_bbb
; %bb.0:
	s_clause 0x3
	s_load_b32 s6, s[0:1], 0x98
	s_load_b64 s[2:3], s[0:1], 0x18
	s_load_b128 s[20:23], s[0:1], 0x88
	s_load_b64 s[4:5], s[0:1], 0x50
	s_wait_kmcnt 0x0
	s_and_b32 s8, 1, s6
	s_bitcmp1_b32 s6, 16
	s_cselect_b32 s7, -1, 0
	s_cmp_eq_u32 s8, 1
	s_cselect_b32 s38, -1, 0
	s_delay_alu instid0(SALU_CYCLE_1) | instskip(SKIP_2) | instid1(SALU_CYCLE_1)
	s_and_b32 s8, s38, exec_lo
	s_cselect_b32 s36, s2, 0
	s_xor_b32 s8, s38, -1
	s_or_b32 s8, s7, s8
	s_delay_alu instid0(SALU_CYCLE_1)
	s_and_b32 vcc_lo, exec_lo, s8
	s_cbranch_vccnz .LBB87_2
; %bb.1:
	s_load_b32 s36, s[2:3], 0x0
.LBB87_2:
	s_wait_xcnt 0x0
	s_load_b64 s[2:3], s[0:1], 0x8
	s_bitcmp1_b32 s6, 8
	s_cselect_b32 s37, -1, 0
	s_delay_alu instid0(SALU_CYCLE_1) | instskip(SKIP_2) | instid1(SALU_CYCLE_1)
	s_and_b32 s6, s37, exec_lo
	s_cselect_b32 s33, s4, 0
	s_xor_b32 s6, s37, -1
	s_or_b32 s6, s7, s6
	s_delay_alu instid0(SALU_CYCLE_1)
	s_and_b32 vcc_lo, exec_lo, s6
	s_cbranch_vccnz .LBB87_4
; %bb.3:
	s_load_b32 s33, s[4:5], 0x0
.LBB87_4:
	s_clause 0x2
	s_load_b64 s[30:31], s[0:1], 0x0
	s_load_b64 s[34:35], s[0:1], 0x10
	;; [unrolled: 1-line block ×3, first 2 shown]
	s_wait_xcnt 0x0
	s_clause 0x2
	s_load_b256 s[4:11], s[0:1], 0x58
	s_load_b128 s[24:27], s[0:1], 0x40
	s_load_b256 s[12:19], s[0:1], 0x20
	v_lshl_add_u32 v18, v0, 3, 0
	v_lshlrev_b32_e32 v1, 2, v0
	v_or_b32_e32 v19, 0xfffffe00, v0
	s_wait_xcnt 0x0
	s_mov_b32 s0, 0
	v_mov_b32_e32 v4, v18
	v_add3_u32 v20, v1, 0, 0x2000
	v_dual_mov_b32 v1, 0 :: v_dual_mov_b32 v5, v19
	s_delay_alu instid0(VALU_DEP_2)
	v_mov_b32_e32 v6, v20
	s_wait_kmcnt 0x0
	v_mov_b64_e32 v[2:3], s[30:31]
.LBB87_5:                               ; =>This Inner Loop Header: Depth=1
	s_delay_alu instid0(VALU_DEP_3)
	v_add_co_u32 v5, s1, 0x200, v5
	s_xor_b32 s1, s1, -1
	ds_store_b64 v4, v[2:3]
	ds_store_b32 v6, v1
	v_add_nc_u32_e32 v6, 0x800, v6
	v_add_nc_u32_e32 v4, 0x1000, v4
	s_and_b32 s1, exec_lo, s1
	s_delay_alu instid0(SALU_CYCLE_1) | instskip(NEXT) | instid1(SALU_CYCLE_1)
	s_or_b32 s0, s1, s0
	s_and_not1_b32 exec_lo, exec_lo, s0
	s_cbranch_execnz .LBB87_5
; %bb.6:
	s_or_b32 exec_lo, exec_lo, s0
	s_wait_dscnt 0x0
	s_barrier_signal -1
	s_barrier_wait -1
	s_load_b64 s[0:1], s[2:3], 0x0
	s_wait_xcnt 0x0
	s_bfe_u32 s2, ttmp6, 0x4000c
	s_and_b32 s3, ttmp6, 15
	s_add_co_i32 s2, s2, 1
	s_getreg_b32 s39, hwreg(HW_REG_IB_STS2, 6, 4)
	s_mul_i32 s2, ttmp9, s2
	s_delay_alu instid0(SALU_CYCLE_1)
	s_add_co_i32 s3, s3, s2
	s_wait_kmcnt 0x0
	s_lshl_b64 s[0:1], s[0:1], 3
	s_cmp_eq_u32 s39, 0
	s_add_nc_u64 s[0:1], s[34:35], s[0:1]
	s_cselect_b32 s2, ttmp9, s3
	s_and_b32 vcc_lo, exec_lo, s38
	s_load_b64 s[34:35], s[0:1], s2 offset:0x0 scale_offset
	s_wait_xcnt 0x0
	s_mov_b32 s1, 0
	s_cbranch_vccz .LBB87_26
; %bb.7:
	s_wait_kmcnt 0x0
	s_lshl_b64 s[2:3], s[34:35], 3
	v_dual_mov_b32 v5, 0 :: v_dual_lshrrev_b32 v4, 5, v0
	s_add_nc_u64 s[2:3], s[12:13], s[2:3]
	s_mov_b32 s0, s20
	s_load_b128 s[40:43], s[2:3], 0x0
	s_mov_b32 s20, exec_lo
	v_sub_nc_u64_e64 v[2:3], v[4:5], s[0:1]
	s_wait_kmcnt 0x0
	s_delay_alu instid0(VALU_DEP_1)
	v_add_nc_u64_e32 v[2:3], s[40:41], v[2:3]
	s_sub_nc_u64 s[2:3], s[42:43], s[0:1]
	s_delay_alu instid0(VALU_DEP_1) | instid1(SALU_CYCLE_1)
	v_cmpx_gt_i64_e64 s[2:3], v[2:3]
	s_cbranch_execz .LBB87_25
; %bb.8:
	v_and_b32_e32 v4, 31, v0
	s_mov_b32 s13, 0
	s_mov_b32 s12, s21
	;; [unrolled: 1-line block ×3, first 2 shown]
	s_delay_alu instid0(VALU_DEP_1)
	v_sub_nc_u64_e64 v[4:5], v[4:5], s[12:13]
	s_branch .LBB87_10
.LBB87_9:                               ;   in Loop: Header=BB87_10 Depth=1
	s_or_b32 exec_lo, exec_lo, s38
	v_add_nc_u64_e32 v[2:3], 16, v[2:3]
	s_delay_alu instid0(VALU_DEP_1) | instskip(SKIP_1) | instid1(SALU_CYCLE_1)
	v_cmp_le_i64_e32 vcc_lo, s[2:3], v[2:3]
	s_or_b32 s21, vcc_lo, s21
	s_and_not1_b32 exec_lo, exec_lo, s21
	s_cbranch_execz .LBB87_25
.LBB87_10:                              ; =>This Loop Header: Depth=1
                                        ;     Child Loop BB87_14 Depth 2
                                        ;       Child Loop BB87_17 Depth 3
	v_lshl_add_u64 v[6:7], v[2:3], 3, s[14:15]
	s_mov_b32 s38, exec_lo
	global_load_b64 v[6:7], v[6:7], off
	s_wait_loadcnt 0x0
	s_wait_xcnt 0x0
	v_sub_nc_u64_e64 v[6:7], v[6:7], s[0:1]
	s_delay_alu instid0(VALU_DEP_1)
	v_lshl_add_u64 v[6:7], v[6:7], 3, s[18:19]
	global_load_b128 v[8:11], v[6:7], off
	s_wait_loadcnt 0x0
	s_wait_xcnt 0x0
	v_sub_nc_u64_e64 v[6:7], v[10:11], s[12:13]
	v_add_nc_u64_e32 v[8:9], v[8:9], v[4:5]
	s_delay_alu instid0(VALU_DEP_1)
	v_cmpx_lt_i64_e64 v[8:9], v[6:7]
	s_cbranch_execz .LBB87_9
; %bb.11:                               ;   in Loop: Header=BB87_10 Depth=1
	v_lshl_add_u64 v[10:11], v[2:3], 2, s[16:17]
	s_mov_b32 s39, 0
	global_load_b32 v1, v[10:11], off
	s_wait_loadcnt 0x0
	v_mul_f32_e32 v1, s36, v1
	s_branch .LBB87_14
.LBB87_12:                              ;   in Loop: Header=BB87_14 Depth=2
	s_or_b32 exec_lo, exec_lo, s41
.LBB87_13:                              ;   in Loop: Header=BB87_14 Depth=2
	s_delay_alu instid0(SALU_CYCLE_1)
	s_or_b32 exec_lo, exec_lo, s40
	s_wait_loadcnt 0x0
	v_mul_f32_e32 v11, v1, v21
	v_lshl_add_u32 v10, v10, 2, 0
	v_add_nc_u64_e32 v[8:9], 32, v[8:9]
	ds_add_f32 v10, v11 offset:8192
	v_cmp_ge_i64_e32 vcc_lo, v[8:9], v[6:7]
	s_or_b32 s39, vcc_lo, s39
	s_delay_alu instid0(SALU_CYCLE_1)
	s_and_not1_b32 exec_lo, exec_lo, s39
	s_cbranch_execz .LBB87_9
.LBB87_14:                              ;   Parent Loop BB87_10 Depth=1
                                        ; =>  This Loop Header: Depth=2
                                        ;       Child Loop BB87_17 Depth 3
	s_wait_xcnt 0x0
	v_lshl_add_u64 v[10:11], v[8:9], 3, s[24:25]
	v_lshl_add_u64 v[12:13], v[8:9], 2, s[26:27]
	s_mov_b32 s40, exec_lo
	global_load_b64 v[10:11], v[10:11], off
	global_load_b32 v21, v[12:13], off
	s_wait_loadcnt 0x1
	s_wait_xcnt 0x0
	v_sub_nc_u64_e64 v[12:13], v[10:11], s[12:13]
	s_delay_alu instid0(VALU_DEP_1) | instskip(NEXT) | instid1(VALU_DEP_1)
	v_mul_lo_u32 v10, 0x89, v12
	v_and_b32_e32 v10, 0x3ff, v10
	s_delay_alu instid0(VALU_DEP_1)
	v_lshl_add_u32 v22, v10, 3, 0
	ds_load_b64 v[16:17], v22
	s_wait_dscnt 0x0
	v_cmpx_ne_u64_e64 v[16:17], v[12:13]
	s_cbranch_execz .LBB87_13
; %bb.15:                               ;   in Loop: Header=BB87_14 Depth=2
	s_mov_b32 s41, 0
                                        ; implicit-def: $sgpr42
                                        ; implicit-def: $sgpr43
	s_branch .LBB87_17
.LBB87_16:                              ;   in Loop: Header=BB87_17 Depth=3
	s_or_b32 exec_lo, exec_lo, s46
	s_delay_alu instid0(SALU_CYCLE_1) | instskip(NEXT) | instid1(SALU_CYCLE_1)
	s_and_b32 s44, exec_lo, s45
	s_or_b32 s41, s44, s41
	s_and_not1_b32 s42, s42, exec_lo
	s_and_b32 s44, s43, exec_lo
	s_delay_alu instid0(SALU_CYCLE_1)
	s_or_b32 s42, s42, s44
	s_and_not1_b32 exec_lo, exec_lo, s41
	s_cbranch_execz .LBB87_23
.LBB87_17:                              ;   Parent Loop BB87_10 Depth=1
                                        ;     Parent Loop BB87_14 Depth=2
                                        ; =>    This Inner Loop Header: Depth=3
	v_mov_b64_e32 v[14:15], v[10:11]
	s_mov_b32 s44, 0
	s_mov_b32 s45, exec_lo
                                        ; implicit-def: $vgpr10_vgpr11
	v_cmpx_ne_u64_e64 s[30:31], v[16:17]
	s_xor_b32 s45, exec_lo, s45
; %bb.18:                               ;   in Loop: Header=BB87_17 Depth=3
	s_delay_alu instid0(VALU_DEP_2) | instskip(SKIP_1) | instid1(VALU_DEP_1)
	v_add_nc_u32_e32 v10, 1, v14
	s_mov_b32 s44, exec_lo
                                        ; implicit-def: $vgpr22
	v_and_b32_e32 v10, 0x3ff, v10
; %bb.19:                               ;   in Loop: Header=BB87_17 Depth=3
	s_and_not1_saveexec_b32 s45, s45
	s_cbranch_execz .LBB87_21
; %bb.20:                               ;   in Loop: Header=BB87_17 Depth=3
	v_mov_b64_e32 v[10:11], s[30:31]
	s_and_not1_b32 s44, s44, exec_lo
	ds_cmpstore_rtn_b64 v[10:11], v22, v[12:13], v[10:11]
	s_wait_dscnt 0x0
	v_cmp_ne_u64_e32 vcc_lo, s[30:31], v[10:11]
	v_mov_b64_e32 v[10:11], v[14:15]
	s_and_b32 s46, vcc_lo, exec_lo
	s_delay_alu instid0(SALU_CYCLE_1)
	s_or_b32 s44, s44, s46
.LBB87_21:                              ;   in Loop: Header=BB87_17 Depth=3
	s_or_b32 exec_lo, exec_lo, s45
	s_mov_b32 s45, -1
	s_or_b32 s43, s43, exec_lo
                                        ; implicit-def: $vgpr22
                                        ; implicit-def: $vgpr16_vgpr17
	s_and_saveexec_b32 s46, s44
	s_cbranch_execz .LBB87_16
; %bb.22:                               ;   in Loop: Header=BB87_17 Depth=3
	v_lshl_add_u32 v22, v10, 3, 0
	s_and_not1_b32 s43, s43, exec_lo
	ds_load_b64 v[16:17], v22
	s_wait_dscnt 0x0
	v_cmp_eq_u64_e32 vcc_lo, v[16:17], v[12:13]
	s_or_not1_b32 s45, vcc_lo, exec_lo
	s_branch .LBB87_16
.LBB87_23:                              ;   in Loop: Header=BB87_14 Depth=2
	s_or_b32 exec_lo, exec_lo, s41
	s_and_saveexec_b32 s41, s42
	s_delay_alu instid0(SALU_CYCLE_1)
	s_xor_b32 s41, exec_lo, s41
	s_cbranch_execz .LBB87_12
; %bb.24:                               ;   in Loop: Header=BB87_14 Depth=2
	v_mov_b32_e32 v10, v14
	s_branch .LBB87_12
.LBB87_25:
	s_or_b32 exec_lo, exec_lo, s20
.LBB87_26:
	s_delay_alu instid0(SALU_CYCLE_1)
	s_and_not1_b32 vcc_lo, exec_lo, s37
	s_cbranch_vccnz .LBB87_43
; %bb.27:
	s_wait_kmcnt 0x0
	s_lshl_b64 s[0:1], s[34:35], 3
	v_mov_b32_e32 v1, 0
	s_add_nc_u64 s[0:1], s[4:5], s[0:1]
	s_mov_b32 s4, exec_lo
	s_load_b128 s[12:15], s[0:1], 0x0
	s_wait_xcnt 0x0
	s_mov_b32 s1, 0
	s_mov_b32 s0, s23
	s_delay_alu instid0(SALU_CYCLE_1) | instskip(SKIP_1) | instid1(VALU_DEP_1)
	v_sub_nc_u64_e64 v[2:3], v[0:1], s[0:1]
	s_wait_kmcnt 0x0
	v_add_nc_u64_e32 v[2:3], s[12:13], v[2:3]
	s_sub_nc_u64 s[2:3], s[14:15], s[0:1]
	s_delay_alu instid0(VALU_DEP_1) | instid1(SALU_CYCLE_1)
	v_cmpx_gt_i64_e64 s[2:3], v[2:3]
	s_cbranch_execz .LBB87_42
; %bb.28:
	s_mov_b32 s5, s1
	s_branch .LBB87_31
.LBB87_29:                              ;   in Loop: Header=BB87_31 Depth=1
	s_or_b32 exec_lo, exec_lo, s13
.LBB87_30:                              ;   in Loop: Header=BB87_31 Depth=1
	s_delay_alu instid0(SALU_CYCLE_1)
	s_or_b32 exec_lo, exec_lo, s12
	s_wait_loadcnt 0x0
	v_mul_f32_e32 v1, s33, v1
	v_lshl_add_u32 v4, v4, 2, 0
	v_add_nc_u64_e32 v[2:3], 0x200, v[2:3]
	ds_add_f32 v4, v1 offset:8192
	v_cmp_le_i64_e32 vcc_lo, s[2:3], v[2:3]
	s_or_b32 s5, vcc_lo, s5
	s_delay_alu instid0(SALU_CYCLE_1)
	s_and_not1_b32 exec_lo, exec_lo, s5
	s_cbranch_execz .LBB87_42
.LBB87_31:                              ; =>This Loop Header: Depth=1
                                        ;     Child Loop BB87_34 Depth 2
	v_lshl_add_u64 v[4:5], v[2:3], 3, s[6:7]
	v_lshl_add_u64 v[6:7], v[2:3], 2, s[8:9]
	s_mov_b32 s12, exec_lo
	global_load_b64 v[4:5], v[4:5], off
	global_load_b32 v1, v[6:7], off
	s_wait_loadcnt 0x1
	s_wait_xcnt 0x0
	v_sub_nc_u64_e64 v[6:7], v[4:5], s[0:1]
	s_delay_alu instid0(VALU_DEP_1) | instskip(NEXT) | instid1(VALU_DEP_1)
	v_mul_lo_u32 v4, 0x89, v6
	v_and_b32_e32 v4, 0x3ff, v4
	s_delay_alu instid0(VALU_DEP_1)
	v_lshl_add_u32 v12, v4, 3, 0
	ds_load_b64 v[10:11], v12
	s_wait_dscnt 0x0
	v_cmpx_ne_u64_e64 v[10:11], v[6:7]
	s_cbranch_execz .LBB87_30
; %bb.32:                               ;   in Loop: Header=BB87_31 Depth=1
	s_mov_b32 s13, 0
                                        ; implicit-def: $sgpr14
                                        ; implicit-def: $sgpr15
	s_branch .LBB87_34
.LBB87_33:                              ;   in Loop: Header=BB87_34 Depth=2
	s_or_b32 exec_lo, exec_lo, s18
	s_delay_alu instid0(SALU_CYCLE_1) | instskip(NEXT) | instid1(SALU_CYCLE_1)
	s_and_b32 s16, exec_lo, s17
	s_or_b32 s13, s16, s13
	s_and_not1_b32 s14, s14, exec_lo
	s_and_b32 s16, s15, exec_lo
	s_delay_alu instid0(SALU_CYCLE_1)
	s_or_b32 s14, s14, s16
	s_and_not1_b32 exec_lo, exec_lo, s13
	s_cbranch_execz .LBB87_40
.LBB87_34:                              ;   Parent Loop BB87_31 Depth=1
                                        ; =>  This Inner Loop Header: Depth=2
	v_mov_b64_e32 v[8:9], v[4:5]
	s_mov_b32 s16, 0
	s_mov_b32 s17, exec_lo
                                        ; implicit-def: $vgpr4_vgpr5
	v_cmpx_ne_u64_e64 s[30:31], v[10:11]
	s_xor_b32 s17, exec_lo, s17
; %bb.35:                               ;   in Loop: Header=BB87_34 Depth=2
	s_delay_alu instid0(VALU_DEP_2) | instskip(SKIP_1) | instid1(VALU_DEP_1)
	v_add_nc_u32_e32 v4, 1, v8
	s_mov_b32 s16, exec_lo
                                        ; implicit-def: $vgpr12
	v_and_b32_e32 v4, 0x3ff, v4
; %bb.36:                               ;   in Loop: Header=BB87_34 Depth=2
	s_and_not1_saveexec_b32 s17, s17
	s_cbranch_execz .LBB87_38
; %bb.37:                               ;   in Loop: Header=BB87_34 Depth=2
	v_mov_b64_e32 v[4:5], s[30:31]
	s_and_not1_b32 s16, s16, exec_lo
	ds_cmpstore_rtn_b64 v[4:5], v12, v[6:7], v[4:5]
	s_wait_dscnt 0x0
	v_cmp_ne_u64_e32 vcc_lo, s[30:31], v[4:5]
	v_mov_b64_e32 v[4:5], v[8:9]
	s_and_b32 s18, vcc_lo, exec_lo
	s_delay_alu instid0(SALU_CYCLE_1)
	s_or_b32 s16, s16, s18
.LBB87_38:                              ;   in Loop: Header=BB87_34 Depth=2
	s_or_b32 exec_lo, exec_lo, s17
	s_mov_b32 s17, -1
	s_or_b32 s15, s15, exec_lo
                                        ; implicit-def: $vgpr12
                                        ; implicit-def: $vgpr10_vgpr11
	s_and_saveexec_b32 s18, s16
	s_cbranch_execz .LBB87_33
; %bb.39:                               ;   in Loop: Header=BB87_34 Depth=2
	v_lshl_add_u32 v12, v4, 3, 0
	s_and_not1_b32 s15, s15, exec_lo
	ds_load_b64 v[10:11], v12
	s_wait_dscnt 0x0
	v_cmp_eq_u64_e32 vcc_lo, v[10:11], v[6:7]
	s_or_not1_b32 s17, vcc_lo, exec_lo
	s_branch .LBB87_33
.LBB87_40:                              ;   in Loop: Header=BB87_31 Depth=1
	s_or_b32 exec_lo, exec_lo, s13
	s_and_saveexec_b32 s13, s14
	s_delay_alu instid0(SALU_CYCLE_1)
	s_xor_b32 s13, exec_lo, s13
	s_cbranch_execz .LBB87_29
; %bb.41:                               ;   in Loop: Header=BB87_31 Depth=1
	v_mov_b32_e32 v4, v8
	s_branch .LBB87_29
.LBB87_42:
	s_or_b32 exec_lo, exec_lo, s4
.LBB87_43:
	v_mbcnt_lo_u32_b32 v1, -1, 0
	v_dual_mov_b32 v3, 0 :: v_dual_lshrrev_b32 v2, 3, v0
	v_mov_b64_e32 v[6:7], 0
	v_cmp_lt_u32_e64 s0, 63, v0
	s_delay_alu instid0(VALU_DEP_4) | instskip(NEXT) | instid1(VALU_DEP_4)
	v_xor_b32_e32 v1, 31, v1
	v_and_b32_e32 v2, 56, v2
	v_cmp_lt_u32_e64 s1, 0x7f, v0
	v_cmp_lt_u32_e64 s2, 0xbf, v0
	;; [unrolled: 1-line block ×3, first 2 shown]
	v_lshrrev_b32_e64 v4, v1, -1
	v_add_nc_u32_e32 v1, 0, v2
	v_cmp_lt_u32_e64 s4, 0x13f, v0
	v_cmp_lt_u32_e64 s5, 0x17f, v0
	;; [unrolled: 1-line block ×3, first 2 shown]
	s_mov_b32 s8, 0
	s_wait_dscnt 0x0
	v_cmp_eq_u32_e32 vcc_lo, 0x1ff, v0
	s_barrier_signal -1
	s_barrier_wait -1
	s_branch .LBB87_45
.LBB87_44:                              ;   in Loop: Header=BB87_45 Depth=1
	s_or_b32 exec_lo, exec_lo, s7
	s_wait_dscnt 0x0
	s_barrier_signal -1
	s_barrier_wait -1
	ds_load_b64 v[8:9], v3 offset:12344
	v_add_co_u32 v19, s7, 0x200, v19
	s_xor_b32 s7, s7, -1
	v_add_nc_u32_e32 v20, 0x800, v20
	v_add_nc_u32_e32 v18, 0x1000, v18
	s_and_b32 s7, exec_lo, s7
	s_delay_alu instid0(SALU_CYCLE_1)
	s_or_b32 s8, s7, s8
	s_wait_dscnt 0x0
	v_add_nc_u64_e32 v[6:7], v[8:9], v[6:7]
	s_and_not1_b32 exec_lo, exec_lo, s8
	s_cbranch_execz .LBB87_63
.LBB87_45:                              ; =>This Inner Loop Header: Depth=1
	ds_load_b64 v[8:9], v18
	ds_load_b32 v5, v20
	s_wait_dscnt 0x0
	s_barrier_signal -1
	s_barrier_wait -1
	v_cmp_gt_i64_e64 s7, s[30:31], v[8:9]
	s_bcnt1_i32_b32 s9, s7
	s_delay_alu instid0(SALU_CYCLE_1) | instskip(NEXT) | instid1(VALU_DEP_1)
	v_dual_mov_b32 v2, s9 :: v_dual_bitop2_b32 v10, s7, v4 bitop3:0x40
	v_bcnt_u32_b32 v10, v10, 0
	ds_store_b64 v1, v[2:3] offset:12288
	s_wait_dscnt 0x0
	s_barrier_signal -1
	s_barrier_wait -1
	s_and_saveexec_b32 s9, s0
	s_cbranch_execnz .LBB87_54
; %bb.46:                               ;   in Loop: Header=BB87_45 Depth=1
	s_or_b32 exec_lo, exec_lo, s9
	s_and_saveexec_b32 s9, s1
	s_cbranch_execnz .LBB87_55
.LBB87_47:                              ;   in Loop: Header=BB87_45 Depth=1
	s_or_b32 exec_lo, exec_lo, s9
	s_and_saveexec_b32 s9, s2
	s_cbranch_execnz .LBB87_56
.LBB87_48:                              ;   in Loop: Header=BB87_45 Depth=1
	s_or_b32 exec_lo, exec_lo, s9
	s_and_saveexec_b32 s9, s3
	s_cbranch_execnz .LBB87_57
.LBB87_49:                              ;   in Loop: Header=BB87_45 Depth=1
	s_or_b32 exec_lo, exec_lo, s9
	s_and_saveexec_b32 s9, s4
	s_cbranch_execnz .LBB87_58
.LBB87_50:                              ;   in Loop: Header=BB87_45 Depth=1
	s_or_b32 exec_lo, exec_lo, s9
	s_and_saveexec_b32 s9, s5
	s_cbranch_execnz .LBB87_59
.LBB87_51:                              ;   in Loop: Header=BB87_45 Depth=1
	s_or_b32 exec_lo, exec_lo, s9
	s_and_saveexec_b32 s9, s6
	s_cbranch_execnz .LBB87_60
.LBB87_52:                              ;   in Loop: Header=BB87_45 Depth=1
	s_or_b32 exec_lo, exec_lo, s9
	v_ashrrev_i32_e32 v11, 31, v10
	s_and_saveexec_b32 s9, s7
	s_cbranch_execnz .LBB87_61
.LBB87_53:                              ;   in Loop: Header=BB87_45 Depth=1
	s_or_b32 exec_lo, exec_lo, s9
	s_and_saveexec_b32 s7, vcc_lo
	s_cbranch_execz .LBB87_44
	s_branch .LBB87_62
.LBB87_54:                              ;   in Loop: Header=BB87_45 Depth=1
	ds_load_b32 v2, v3 offset:12288
	s_wait_dscnt 0x0
	v_add_nc_u32_e32 v10, v2, v10
	s_or_b32 exec_lo, exec_lo, s9
	s_and_saveexec_b32 s9, s1
	s_cbranch_execz .LBB87_47
.LBB87_55:                              ;   in Loop: Header=BB87_45 Depth=1
	ds_load_b32 v2, v3 offset:12296
	s_wait_dscnt 0x0
	v_add_nc_u32_e32 v10, v10, v2
	s_or_b32 exec_lo, exec_lo, s9
	s_and_saveexec_b32 s9, s2
	s_cbranch_execz .LBB87_48
.LBB87_56:                              ;   in Loop: Header=BB87_45 Depth=1
	ds_load_b32 v2, v3 offset:12304
	s_wait_dscnt 0x0
	v_add_nc_u32_e32 v10, v10, v2
	s_or_b32 exec_lo, exec_lo, s9
	s_and_saveexec_b32 s9, s3
	s_cbranch_execz .LBB87_49
.LBB87_57:                              ;   in Loop: Header=BB87_45 Depth=1
	ds_load_b32 v2, v3 offset:12312
	s_wait_dscnt 0x0
	v_add_nc_u32_e32 v10, v10, v2
	s_or_b32 exec_lo, exec_lo, s9
	s_and_saveexec_b32 s9, s4
	s_cbranch_execz .LBB87_50
.LBB87_58:                              ;   in Loop: Header=BB87_45 Depth=1
	ds_load_b32 v2, v3 offset:12320
	s_wait_dscnt 0x0
	v_add_nc_u32_e32 v10, v10, v2
	s_or_b32 exec_lo, exec_lo, s9
	s_and_saveexec_b32 s9, s5
	s_cbranch_execz .LBB87_51
.LBB87_59:                              ;   in Loop: Header=BB87_45 Depth=1
	ds_load_b32 v2, v3 offset:12328
	s_wait_dscnt 0x0
	v_add_nc_u32_e32 v10, v10, v2
	s_or_b32 exec_lo, exec_lo, s9
	s_and_saveexec_b32 s9, s6
	s_cbranch_execz .LBB87_52
.LBB87_60:                              ;   in Loop: Header=BB87_45 Depth=1
	ds_load_b32 v2, v3 offset:12336
	s_wait_dscnt 0x0
	v_add_nc_u32_e32 v10, v10, v2
	s_or_b32 exec_lo, exec_lo, s9
	s_delay_alu instid0(VALU_DEP_1)
	v_ashrrev_i32_e32 v11, 31, v10
	s_and_saveexec_b32 s9, s7
	s_cbranch_execz .LBB87_53
.LBB87_61:                              ;   in Loop: Header=BB87_45 Depth=1
	v_add3_u32 v2, v6, -1, v10
	v_add_nc_u32_e32 v12, v6, v10
	s_delay_alu instid0(VALU_DEP_2) | instskip(NEXT) | instid1(VALU_DEP_2)
	v_lshl_add_u32 v2, v2, 3, 0
	v_lshl_add_u32 v12, v12, 2, 0
	ds_store_b64 v2, v[8:9]
	ds_store_b32 v12, v5 offset:8188
	s_or_b32 exec_lo, exec_lo, s9
	s_and_saveexec_b32 s7, vcc_lo
	s_cbranch_execz .LBB87_44
.LBB87_62:                              ;   in Loop: Header=BB87_45 Depth=1
	ds_store_b64 v3, v[10:11] offset:12344
	s_branch .LBB87_44
.LBB87_63:
	s_or_b32 exec_lo, exec_lo, s8
	s_wait_kmcnt 0x0
	s_lshl_b64 s[0:1], s[34:35], 3
	v_mov_b32_e32 v1, 0
	s_add_nc_u64 s[4:5], s[10:11], s[0:1]
	s_mov_b32 s6, exec_lo
	s_load_b128 s[0:3], s[4:5], 0x0
	s_wait_kmcnt 0x0
	s_sub_nc_u64 s[4:5], s[2:3], s[0:1]
	s_delay_alu instid0(SALU_CYCLE_1)
	v_cmpx_gt_i64_e64 s[4:5], v[0:1]
	s_cbranch_execz .LBB87_73
; %bb.64:
	s_sub_nc_u64 s[8:9], s[0:1], s[2:3]
	s_and_b64 s[6:7], s[4:5], 7
	v_cmp_lt_u64_e64 s10, s[8:9], -7
	s_and_b64 s[2:3], s[4:5], -8
	s_mov_b32 s23, 0
	s_cmp_lg_u64 s[6:7], 0
	s_sub_nc_u64 s[0:1], s[0:1], s[22:23]
	s_cselect_b32 s11, -1, 0
	s_mov_b32 s12, 0
	s_branch .LBB87_66
.LBB87_65:                              ;   in Loop: Header=BB87_66 Depth=1
	v_add_nc_u64_e32 v[0:1], 0x200, v[0:1]
	s_wait_dscnt 0x1
	s_delay_alu instid0(VALU_DEP_2)
	v_lshl_add_u64 v[2:3], v[4:5], 2, s[28:29]
	s_wait_dscnt 0x0
	global_store_b32 v[2:3], v6, off
	v_cmp_le_i64_e32 vcc_lo, s[4:5], v[0:1]
	s_or_b32 s12, vcc_lo, s12
	s_wait_xcnt 0x0
	s_and_not1_b32 exec_lo, exec_lo, s12
	s_cbranch_execz .LBB87_73
.LBB87_66:                              ; =>This Loop Header: Depth=1
                                        ;     Child Loop BB87_68 Depth 2
                                        ;     Child Loop BB87_72 Depth 2
	v_lshl_add_u32 v2, v0, 3, 0
	v_lshlrev_b32_e32 v3, 2, v0
	s_and_not1_b32 vcc_lo, exec_lo, s10
	s_mov_b64 s[8:9], 0
	s_delay_alu instid0(VALU_DEP_1)
	v_sub_nc_u32_e32 v4, v2, v3
	ds_load_b64 v[2:3], v2
	ds_load_b32 v6, v4 offset:8192
	v_mov_b64_e32 v[4:5], s[0:1]
	s_cbranch_vccnz .LBB87_70
; %bb.67:                               ;   in Loop: Header=BB87_66 Depth=1
	v_mov_b64_e32 v[4:5], s[0:1]
	s_mov_b32 s13, 0
.LBB87_68:                              ;   Parent Loop BB87_66 Depth=1
                                        ; =>  This Inner Loop Header: Depth=2
	s_delay_alu instid0(SALU_CYCLE_1)
	v_dual_mov_b32 v7, s13 :: v_dual_mov_b32 v17, s23
	s_add_nc_u64 s[8:9], s[8:9], 8
	s_add_co_i32 s13, s13, 64
	s_cmp_eq_u64 s[2:3], s[8:9]
	ds_load_2addr_b64 v[8:11], v7 offset1:1
	ds_load_2addr_b64 v[12:15], v7 offset0:2 offset1:3
	s_wait_dscnt 0x1
	v_cmp_gt_i64_e32 vcc_lo, v[2:3], v[8:9]
	v_cndmask_b32_e64 v16, 0, 1, vcc_lo
	v_cmp_gt_i64_e32 vcc_lo, v[2:3], v[10:11]
	ds_load_2addr_b64 v[8:11], v7 offset0:4 offset1:5
	v_add_nc_u64_e32 v[4:5], v[4:5], v[16:17]
	v_cndmask_b32_e64 v18, 0, 1, vcc_lo
	s_wait_dscnt 0x1
	v_cmp_gt_i64_e32 vcc_lo, v[2:3], v[12:13]
	v_cndmask_b32_e64 v16, 0, 1, vcc_lo
	v_cmp_gt_i64_e32 vcc_lo, v[2:3], v[14:15]
	ds_load_2addr_b64 v[12:15], v7 offset0:6 offset1:7
	v_mov_b32_e32 v19, s23
	s_delay_alu instid0(VALU_DEP_1) | instskip(SKIP_4) | instid1(VALU_DEP_4)
	v_add_nc_u64_e32 v[4:5], v[4:5], v[18:19]
	v_cndmask_b32_e64 v18, 0, 1, vcc_lo
	s_wait_dscnt 0x1
	v_cmp_gt_i64_e32 vcc_lo, v[2:3], v[8:9]
	v_mov_b32_e32 v9, s23
	v_add_nc_u64_e32 v[4:5], v[4:5], v[16:17]
	v_cndmask_b32_e64 v16, 0, 1, vcc_lo
	v_cmp_gt_i64_e32 vcc_lo, v[2:3], v[10:11]
	v_mov_b32_e32 v11, s23
	s_delay_alu instid0(VALU_DEP_4) | instskip(SKIP_3) | instid1(VALU_DEP_3)
	v_add_nc_u64_e32 v[4:5], v[4:5], v[18:19]
	v_cndmask_b32_e64 v8, 0, 1, vcc_lo
	s_wait_dscnt 0x0
	v_cmp_gt_i64_e32 vcc_lo, v[2:3], v[12:13]
	v_add_nc_u64_e32 v[4:5], v[4:5], v[16:17]
	v_cndmask_b32_e64 v10, 0, 1, vcc_lo
	v_cmp_gt_i64_e32 vcc_lo, v[2:3], v[14:15]
	s_delay_alu instid0(VALU_DEP_3) | instskip(SKIP_1) | instid1(VALU_DEP_2)
	v_add_nc_u64_e32 v[4:5], v[4:5], v[8:9]
	v_cndmask_b32_e64 v8, 0, 1, vcc_lo
	v_add_nc_u64_e32 v[4:5], v[4:5], v[10:11]
	s_delay_alu instid0(VALU_DEP_1)
	v_add_nc_u64_e32 v[4:5], v[4:5], v[8:9]
	s_cbranch_scc0 .LBB87_68
; %bb.69:                               ;   in Loop: Header=BB87_66 Depth=1
	s_mov_b64 s[8:9], s[2:3]
.LBB87_70:                              ;   in Loop: Header=BB87_66 Depth=1
	s_and_not1_b32 vcc_lo, exec_lo, s11
	s_cbranch_vccnz .LBB87_65
; %bb.71:                               ;   in Loop: Header=BB87_66 Depth=1
	s_lshl_b32 s8, s8, 3
	s_delay_alu instid0(SALU_CYCLE_1)
	s_add_co_i32 s13, s8, 0
	s_mov_b64 s[8:9], s[6:7]
.LBB87_72:                              ;   Parent Loop BB87_66 Depth=1
                                        ; =>  This Inner Loop Header: Depth=2
	v_dual_mov_b32 v7, s13 :: v_dual_mov_b32 v11, s23
	s_add_nc_u64 s[8:9], s[8:9], -1
	s_add_co_i32 s13, s13, 8
	s_cmp_lg_u64 s[8:9], 0
	ds_load_b64 v[8:9], v7
	s_wait_dscnt 0x0
	v_cmp_gt_i64_e32 vcc_lo, v[2:3], v[8:9]
	v_cndmask_b32_e64 v10, 0, 1, vcc_lo
	s_delay_alu instid0(VALU_DEP_1)
	v_add_nc_u64_e32 v[4:5], v[4:5], v[10:11]
	s_cbranch_scc1 .LBB87_72
	s_branch .LBB87_65
.LBB87_73:
	s_endpgm
	.section	.rodata,"a",@progbits
	.p2align	6, 0x0
	.amdhsa_kernel _ZN9rocsparseL41csrgemm_numeric_fill_block_per_row_kernelILj512ELj32ELj1024ELj137ELj64EllfEEvT5_PKS1_S3_NS_24const_host_device_scalarIT6_EEPKT4_S3_PKS5_S9_S3_SB_S6_S9_S3_SB_S9_S3_PS5_21rocsparse_index_base_SD_SD_SD_bbb
		.amdhsa_group_segment_fixed_size 0
		.amdhsa_private_segment_fixed_size 0
		.amdhsa_kernarg_size 156
		.amdhsa_user_sgpr_count 2
		.amdhsa_user_sgpr_dispatch_ptr 0
		.amdhsa_user_sgpr_queue_ptr 0
		.amdhsa_user_sgpr_kernarg_segment_ptr 1
		.amdhsa_user_sgpr_dispatch_id 0
		.amdhsa_user_sgpr_kernarg_preload_length 0
		.amdhsa_user_sgpr_kernarg_preload_offset 0
		.amdhsa_user_sgpr_private_segment_size 0
		.amdhsa_wavefront_size32 1
		.amdhsa_uses_dynamic_stack 0
		.amdhsa_enable_private_segment 0
		.amdhsa_system_sgpr_workgroup_id_x 1
		.amdhsa_system_sgpr_workgroup_id_y 0
		.amdhsa_system_sgpr_workgroup_id_z 0
		.amdhsa_system_sgpr_workgroup_info 0
		.amdhsa_system_vgpr_workitem_id 0
		.amdhsa_next_free_vgpr 23
		.amdhsa_next_free_sgpr 47
		.amdhsa_named_barrier_count 0
		.amdhsa_reserve_vcc 1
		.amdhsa_float_round_mode_32 0
		.amdhsa_float_round_mode_16_64 0
		.amdhsa_float_denorm_mode_32 3
		.amdhsa_float_denorm_mode_16_64 3
		.amdhsa_fp16_overflow 0
		.amdhsa_memory_ordered 1
		.amdhsa_forward_progress 1
		.amdhsa_inst_pref_size 23
		.amdhsa_round_robin_scheduling 0
		.amdhsa_exception_fp_ieee_invalid_op 0
		.amdhsa_exception_fp_denorm_src 0
		.amdhsa_exception_fp_ieee_div_zero 0
		.amdhsa_exception_fp_ieee_overflow 0
		.amdhsa_exception_fp_ieee_underflow 0
		.amdhsa_exception_fp_ieee_inexact 0
		.amdhsa_exception_int_div_zero 0
	.end_amdhsa_kernel
	.section	.text._ZN9rocsparseL41csrgemm_numeric_fill_block_per_row_kernelILj512ELj32ELj1024ELj137ELj64EllfEEvT5_PKS1_S3_NS_24const_host_device_scalarIT6_EEPKT4_S3_PKS5_S9_S3_SB_S6_S9_S3_SB_S9_S3_PS5_21rocsparse_index_base_SD_SD_SD_bbb,"axG",@progbits,_ZN9rocsparseL41csrgemm_numeric_fill_block_per_row_kernelILj512ELj32ELj1024ELj137ELj64EllfEEvT5_PKS1_S3_NS_24const_host_device_scalarIT6_EEPKT4_S3_PKS5_S9_S3_SB_S6_S9_S3_SB_S9_S3_PS5_21rocsparse_index_base_SD_SD_SD_bbb,comdat
.Lfunc_end87:
	.size	_ZN9rocsparseL41csrgemm_numeric_fill_block_per_row_kernelILj512ELj32ELj1024ELj137ELj64EllfEEvT5_PKS1_S3_NS_24const_host_device_scalarIT6_EEPKT4_S3_PKS5_S9_S3_SB_S6_S9_S3_SB_S9_S3_PS5_21rocsparse_index_base_SD_SD_SD_bbb, .Lfunc_end87-_ZN9rocsparseL41csrgemm_numeric_fill_block_per_row_kernelILj512ELj32ELj1024ELj137ELj64EllfEEvT5_PKS1_S3_NS_24const_host_device_scalarIT6_EEPKT4_S3_PKS5_S9_S3_SB_S6_S9_S3_SB_S9_S3_PS5_21rocsparse_index_base_SD_SD_SD_bbb
                                        ; -- End function
	.set _ZN9rocsparseL41csrgemm_numeric_fill_block_per_row_kernelILj512ELj32ELj1024ELj137ELj64EllfEEvT5_PKS1_S3_NS_24const_host_device_scalarIT6_EEPKT4_S3_PKS5_S9_S3_SB_S6_S9_S3_SB_S9_S3_PS5_21rocsparse_index_base_SD_SD_SD_bbb.num_vgpr, 23
	.set _ZN9rocsparseL41csrgemm_numeric_fill_block_per_row_kernelILj512ELj32ELj1024ELj137ELj64EllfEEvT5_PKS1_S3_NS_24const_host_device_scalarIT6_EEPKT4_S3_PKS5_S9_S3_SB_S6_S9_S3_SB_S9_S3_PS5_21rocsparse_index_base_SD_SD_SD_bbb.num_agpr, 0
	.set _ZN9rocsparseL41csrgemm_numeric_fill_block_per_row_kernelILj512ELj32ELj1024ELj137ELj64EllfEEvT5_PKS1_S3_NS_24const_host_device_scalarIT6_EEPKT4_S3_PKS5_S9_S3_SB_S6_S9_S3_SB_S9_S3_PS5_21rocsparse_index_base_SD_SD_SD_bbb.numbered_sgpr, 47
	.set _ZN9rocsparseL41csrgemm_numeric_fill_block_per_row_kernelILj512ELj32ELj1024ELj137ELj64EllfEEvT5_PKS1_S3_NS_24const_host_device_scalarIT6_EEPKT4_S3_PKS5_S9_S3_SB_S6_S9_S3_SB_S9_S3_PS5_21rocsparse_index_base_SD_SD_SD_bbb.num_named_barrier, 0
	.set _ZN9rocsparseL41csrgemm_numeric_fill_block_per_row_kernelILj512ELj32ELj1024ELj137ELj64EllfEEvT5_PKS1_S3_NS_24const_host_device_scalarIT6_EEPKT4_S3_PKS5_S9_S3_SB_S6_S9_S3_SB_S9_S3_PS5_21rocsparse_index_base_SD_SD_SD_bbb.private_seg_size, 0
	.set _ZN9rocsparseL41csrgemm_numeric_fill_block_per_row_kernelILj512ELj32ELj1024ELj137ELj64EllfEEvT5_PKS1_S3_NS_24const_host_device_scalarIT6_EEPKT4_S3_PKS5_S9_S3_SB_S6_S9_S3_SB_S9_S3_PS5_21rocsparse_index_base_SD_SD_SD_bbb.uses_vcc, 1
	.set _ZN9rocsparseL41csrgemm_numeric_fill_block_per_row_kernelILj512ELj32ELj1024ELj137ELj64EllfEEvT5_PKS1_S3_NS_24const_host_device_scalarIT6_EEPKT4_S3_PKS5_S9_S3_SB_S6_S9_S3_SB_S9_S3_PS5_21rocsparse_index_base_SD_SD_SD_bbb.uses_flat_scratch, 0
	.set _ZN9rocsparseL41csrgemm_numeric_fill_block_per_row_kernelILj512ELj32ELj1024ELj137ELj64EllfEEvT5_PKS1_S3_NS_24const_host_device_scalarIT6_EEPKT4_S3_PKS5_S9_S3_SB_S6_S9_S3_SB_S9_S3_PS5_21rocsparse_index_base_SD_SD_SD_bbb.has_dyn_sized_stack, 0
	.set _ZN9rocsparseL41csrgemm_numeric_fill_block_per_row_kernelILj512ELj32ELj1024ELj137ELj64EllfEEvT5_PKS1_S3_NS_24const_host_device_scalarIT6_EEPKT4_S3_PKS5_S9_S3_SB_S6_S9_S3_SB_S9_S3_PS5_21rocsparse_index_base_SD_SD_SD_bbb.has_recursion, 0
	.set _ZN9rocsparseL41csrgemm_numeric_fill_block_per_row_kernelILj512ELj32ELj1024ELj137ELj64EllfEEvT5_PKS1_S3_NS_24const_host_device_scalarIT6_EEPKT4_S3_PKS5_S9_S3_SB_S6_S9_S3_SB_S9_S3_PS5_21rocsparse_index_base_SD_SD_SD_bbb.has_indirect_call, 0
	.section	.AMDGPU.csdata,"",@progbits
; Kernel info:
; codeLenInByte = 2924
; TotalNumSgprs: 49
; NumVgprs: 23
; ScratchSize: 0
; MemoryBound: 0
; FloatMode: 240
; IeeeMode: 1
; LDSByteSize: 0 bytes/workgroup (compile time only)
; SGPRBlocks: 0
; VGPRBlocks: 1
; NumSGPRsForWavesPerEU: 49
; NumVGPRsForWavesPerEU: 23
; NamedBarCnt: 0
; Occupancy: 16
; WaveLimiterHint : 1
; COMPUTE_PGM_RSRC2:SCRATCH_EN: 0
; COMPUTE_PGM_RSRC2:USER_SGPR: 2
; COMPUTE_PGM_RSRC2:TRAP_HANDLER: 0
; COMPUTE_PGM_RSRC2:TGID_X_EN: 1
; COMPUTE_PGM_RSRC2:TGID_Y_EN: 0
; COMPUTE_PGM_RSRC2:TGID_Z_EN: 0
; COMPUTE_PGM_RSRC2:TIDIG_COMP_CNT: 0
	.section	.text._ZN9rocsparseL41csrgemm_numeric_fill_block_per_row_kernelILj1024ELj32ELj2048ELj137ELj32EllfEEvT5_PKS1_S3_NS_24const_host_device_scalarIT6_EEPKT4_S3_PKS5_S9_S3_SB_S6_S9_S3_SB_S9_S3_PS5_21rocsparse_index_base_SD_SD_SD_bbb,"axG",@progbits,_ZN9rocsparseL41csrgemm_numeric_fill_block_per_row_kernelILj1024ELj32ELj2048ELj137ELj32EllfEEvT5_PKS1_S3_NS_24const_host_device_scalarIT6_EEPKT4_S3_PKS5_S9_S3_SB_S6_S9_S3_SB_S9_S3_PS5_21rocsparse_index_base_SD_SD_SD_bbb,comdat
	.globl	_ZN9rocsparseL41csrgemm_numeric_fill_block_per_row_kernelILj1024ELj32ELj2048ELj137ELj32EllfEEvT5_PKS1_S3_NS_24const_host_device_scalarIT6_EEPKT4_S3_PKS5_S9_S3_SB_S6_S9_S3_SB_S9_S3_PS5_21rocsparse_index_base_SD_SD_SD_bbb ; -- Begin function _ZN9rocsparseL41csrgemm_numeric_fill_block_per_row_kernelILj1024ELj32ELj2048ELj137ELj32EllfEEvT5_PKS1_S3_NS_24const_host_device_scalarIT6_EEPKT4_S3_PKS5_S9_S3_SB_S6_S9_S3_SB_S9_S3_PS5_21rocsparse_index_base_SD_SD_SD_bbb
	.p2align	8
	.type	_ZN9rocsparseL41csrgemm_numeric_fill_block_per_row_kernelILj1024ELj32ELj2048ELj137ELj32EllfEEvT5_PKS1_S3_NS_24const_host_device_scalarIT6_EEPKT4_S3_PKS5_S9_S3_SB_S6_S9_S3_SB_S9_S3_PS5_21rocsparse_index_base_SD_SD_SD_bbb,@function
_ZN9rocsparseL41csrgemm_numeric_fill_block_per_row_kernelILj1024ELj32ELj2048ELj137ELj32EllfEEvT5_PKS1_S3_NS_24const_host_device_scalarIT6_EEPKT4_S3_PKS5_S9_S3_SB_S6_S9_S3_SB_S9_S3_PS5_21rocsparse_index_base_SD_SD_SD_bbb: ; @_ZN9rocsparseL41csrgemm_numeric_fill_block_per_row_kernelILj1024ELj32ELj2048ELj137ELj32EllfEEvT5_PKS1_S3_NS_24const_host_device_scalarIT6_EEPKT4_S3_PKS5_S9_S3_SB_S6_S9_S3_SB_S9_S3_PS5_21rocsparse_index_base_SD_SD_SD_bbb
; %bb.0:
	s_clause 0x3
	s_load_b32 s6, s[0:1], 0x98
	s_load_b64 s[2:3], s[0:1], 0x18
	s_load_b128 s[44:47], s[0:1], 0x88
	s_load_b64 s[4:5], s[0:1], 0x50
	s_wait_kmcnt 0x0
	s_and_b32 s8, 1, s6
	s_bitcmp1_b32 s6, 16
	s_cselect_b32 s7, -1, 0
	s_cmp_eq_u32 s8, 1
	s_cselect_b32 s21, -1, 0
	s_delay_alu instid0(SALU_CYCLE_1) | instskip(SKIP_2) | instid1(SALU_CYCLE_1)
	s_and_b32 s8, s21, exec_lo
	s_cselect_b32 s19, s2, 0
	s_xor_b32 s8, s21, -1
	s_or_b32 s8, s7, s8
	s_delay_alu instid0(SALU_CYCLE_1)
	s_and_b32 vcc_lo, exec_lo, s8
	s_cbranch_vccnz .LBB88_2
; %bb.1:
	s_load_b32 s19, s[2:3], 0x0
.LBB88_2:
	s_wait_xcnt 0x0
	s_load_b64 s[2:3], s[0:1], 0x8
	s_bitcmp1_b32 s6, 8
	s_cselect_b32 s20, -1, 0
	s_delay_alu instid0(SALU_CYCLE_1) | instskip(SKIP_2) | instid1(SALU_CYCLE_1)
	s_and_b32 s6, s20, exec_lo
	s_cselect_b32 s18, s4, 0
	s_xor_b32 s6, s20, -1
	s_or_b32 s6, s7, s6
	s_delay_alu instid0(SALU_CYCLE_1)
	s_and_b32 vcc_lo, exec_lo, s6
	s_cbranch_vccnz .LBB88_4
; %bb.3:
	s_load_b32 s18, s[4:5], 0x0
.LBB88_4:
	s_clause 0x4
	s_load_b64 s[48:49], s[0:1], 0x0
	s_load_b64 s[16:17], s[0:1], 0x10
	;; [unrolled: 1-line block ×3, first 2 shown]
	s_load_b256 s[36:43], s[0:1], 0x58
	s_load_b128 s[12:15], s[0:1], 0x40
	s_wait_xcnt 0x0
	s_load_b256 s[4:11], s[0:1], 0x20
	v_lshl_add_u32 v20, v0, 3, 0
	v_lshlrev_b32_e32 v1, 2, v0
	v_or_b32_e32 v21, 0xfffffc00, v0
	s_wait_xcnt 0x0
	s_mov_b32 s0, 0
	v_mov_b32_e32 v4, v20
	v_add3_u32 v22, v1, 0, 0x4000
	v_dual_mov_b32 v1, 0 :: v_dual_mov_b32 v5, v21
	s_delay_alu instid0(VALU_DEP_2)
	v_mov_b32_e32 v6, v22
	s_wait_kmcnt 0x0
	v_mov_b64_e32 v[2:3], s[48:49]
.LBB88_5:                               ; =>This Inner Loop Header: Depth=1
	s_delay_alu instid0(VALU_DEP_3)
	v_add_co_u32 v5, s1, 0x400, v5
	s_xor_b32 s1, s1, -1
	ds_store_b64 v4, v[2:3]
	ds_store_b32 v6, v1
	v_add_nc_u32_e32 v6, 0x1000, v6
	v_add_nc_u32_e32 v4, 0x2000, v4
	s_and_b32 s1, exec_lo, s1
	s_delay_alu instid0(SALU_CYCLE_1) | instskip(NEXT) | instid1(SALU_CYCLE_1)
	s_or_b32 s0, s1, s0
	s_and_not1_b32 exec_lo, exec_lo, s0
	s_cbranch_execnz .LBB88_5
; %bb.6:
	s_or_b32 exec_lo, exec_lo, s0
	s_wait_dscnt 0x0
	s_barrier_signal -1
	s_barrier_wait -1
	s_load_b64 s[0:1], s[2:3], 0x0
	s_wait_xcnt 0x0
	s_bfe_u32 s2, ttmp6, 0x4000c
	s_and_b32 s3, ttmp6, 15
	s_add_co_i32 s2, s2, 1
	s_getreg_b32 s22, hwreg(HW_REG_IB_STS2, 6, 4)
	s_mul_i32 s2, ttmp9, s2
	v_lshrrev_b32_e32 v2, 5, v0
	s_add_co_i32 s3, s3, s2
	s_wait_kmcnt 0x0
	s_lshl_b64 s[0:1], s[0:1], 3
	s_cmp_eq_u32 s22, 0
	s_add_nc_u64 s[0:1], s[16:17], s[0:1]
	s_cselect_b32 s2, ttmp9, s3
	s_and_b32 vcc_lo, exec_lo, s21
	s_load_b64 s[50:51], s[0:1], s2 offset:0x0 scale_offset
	s_wait_xcnt 0x0
	s_mov_b32 s1, 0
	s_cbranch_vccz .LBB88_26
; %bb.7:
	s_wait_kmcnt 0x0
	s_lshl_b64 s[2:3], s[50:51], 3
	v_mov_b32_e32 v3, 0
	s_add_nc_u64 s[2:3], s[4:5], s[2:3]
	s_mov_b32 s0, s44
	s_load_b128 s[24:27], s[2:3], 0x0
	s_mov_b32 s16, exec_lo
	v_sub_nc_u64_e64 v[4:5], v[2:3], s[0:1]
	s_wait_kmcnt 0x0
	s_delay_alu instid0(VALU_DEP_1)
	v_add_nc_u64_e32 v[4:5], s[24:25], v[4:5]
	s_sub_nc_u64 s[2:3], s[26:27], s[0:1]
	s_delay_alu instid0(VALU_DEP_1) | instid1(SALU_CYCLE_1)
	v_cmpx_gt_i64_e64 s[2:3], v[4:5]
	s_cbranch_execz .LBB88_25
; %bb.8:
	v_dual_mov_b32 v7, v3 :: v_dual_bitop2_b32 v6, 31, v0 bitop3:0x40
	s_mov_b32 s5, 0
	s_mov_b32 s4, s45
	;; [unrolled: 1-line block ×3, first 2 shown]
	s_delay_alu instid0(VALU_DEP_1)
	v_sub_nc_u64_e64 v[6:7], v[6:7], s[4:5]
	s_branch .LBB88_10
.LBB88_9:                               ;   in Loop: Header=BB88_10 Depth=1
	s_or_b32 exec_lo, exec_lo, s21
	v_add_nc_u64_e32 v[4:5], 32, v[4:5]
	s_delay_alu instid0(VALU_DEP_1) | instskip(SKIP_1) | instid1(SALU_CYCLE_1)
	v_cmp_le_i64_e32 vcc_lo, s[2:3], v[4:5]
	s_or_b32 s17, vcc_lo, s17
	s_and_not1_b32 exec_lo, exec_lo, s17
	s_cbranch_execz .LBB88_25
.LBB88_10:                              ; =>This Loop Header: Depth=1
                                        ;     Child Loop BB88_14 Depth 2
                                        ;       Child Loop BB88_17 Depth 3
	v_lshl_add_u64 v[8:9], v[4:5], 3, s[6:7]
	s_mov_b32 s21, exec_lo
	global_load_b64 v[8:9], v[8:9], off
	s_wait_loadcnt 0x0
	s_wait_xcnt 0x0
	v_sub_nc_u64_e64 v[8:9], v[8:9], s[0:1]
	s_delay_alu instid0(VALU_DEP_1)
	v_lshl_add_u64 v[8:9], v[8:9], 3, s[10:11]
	global_load_b128 v[10:13], v[8:9], off
	s_wait_loadcnt 0x0
	s_wait_xcnt 0x0
	v_sub_nc_u64_e64 v[8:9], v[12:13], s[4:5]
	v_add_nc_u64_e32 v[10:11], v[10:11], v[6:7]
	s_delay_alu instid0(VALU_DEP_1)
	v_cmpx_lt_i64_e64 v[10:11], v[8:9]
	s_cbranch_execz .LBB88_9
; %bb.11:                               ;   in Loop: Header=BB88_10 Depth=1
	v_lshl_add_u64 v[12:13], v[4:5], 2, s[8:9]
	s_mov_b32 s22, 0
	global_load_b32 v1, v[12:13], off
	s_wait_loadcnt 0x0
	v_mul_f32_e32 v1, s19, v1
	s_branch .LBB88_14
.LBB88_12:                              ;   in Loop: Header=BB88_14 Depth=2
	s_or_b32 exec_lo, exec_lo, s24
.LBB88_13:                              ;   in Loop: Header=BB88_14 Depth=2
	s_delay_alu instid0(SALU_CYCLE_1)
	s_or_b32 exec_lo, exec_lo, s23
	s_wait_loadcnt 0x0
	v_mul_f32_e32 v3, v1, v3
	v_lshl_add_u32 v12, v12, 2, 0
	v_add_nc_u64_e32 v[10:11], 32, v[10:11]
	ds_add_f32 v12, v3 offset:16384
	v_cmp_ge_i64_e32 vcc_lo, v[10:11], v[8:9]
	s_or_b32 s22, vcc_lo, s22
	s_delay_alu instid0(SALU_CYCLE_1)
	s_and_not1_b32 exec_lo, exec_lo, s22
	s_cbranch_execz .LBB88_9
.LBB88_14:                              ;   Parent Loop BB88_10 Depth=1
                                        ; =>  This Loop Header: Depth=2
                                        ;       Child Loop BB88_17 Depth 3
	s_wait_xcnt 0x0
	v_lshl_add_u64 v[12:13], v[10:11], 3, s[12:13]
	v_lshl_add_u64 v[14:15], v[10:11], 2, s[14:15]
	s_mov_b32 s23, exec_lo
	global_load_b64 v[12:13], v[12:13], off
	global_load_b32 v3, v[14:15], off
	s_wait_loadcnt 0x1
	s_wait_xcnt 0x0
	v_sub_nc_u64_e64 v[14:15], v[12:13], s[4:5]
	s_delay_alu instid0(VALU_DEP_1) | instskip(NEXT) | instid1(VALU_DEP_1)
	v_mul_lo_u32 v12, 0x89, v14
	v_and_b32_e32 v12, 0x7ff, v12
	s_delay_alu instid0(VALU_DEP_1)
	v_lshl_add_u32 v23, v12, 3, 0
	ds_load_b64 v[18:19], v23
	s_wait_dscnt 0x0
	v_cmpx_ne_u64_e64 v[18:19], v[14:15]
	s_cbranch_execz .LBB88_13
; %bb.15:                               ;   in Loop: Header=BB88_14 Depth=2
	s_mov_b32 s24, 0
                                        ; implicit-def: $sgpr25
                                        ; implicit-def: $sgpr26
	s_branch .LBB88_17
.LBB88_16:                              ;   in Loop: Header=BB88_17 Depth=3
	s_or_b32 exec_lo, exec_lo, s29
	s_delay_alu instid0(SALU_CYCLE_1) | instskip(NEXT) | instid1(SALU_CYCLE_1)
	s_and_b32 s27, exec_lo, s28
	s_or_b32 s24, s27, s24
	s_and_not1_b32 s25, s25, exec_lo
	s_and_b32 s27, s26, exec_lo
	s_delay_alu instid0(SALU_CYCLE_1)
	s_or_b32 s25, s25, s27
	s_and_not1_b32 exec_lo, exec_lo, s24
	s_cbranch_execz .LBB88_23
.LBB88_17:                              ;   Parent Loop BB88_10 Depth=1
                                        ;     Parent Loop BB88_14 Depth=2
                                        ; =>    This Inner Loop Header: Depth=3
	v_mov_b64_e32 v[16:17], v[12:13]
	s_mov_b32 s27, 0
	s_mov_b32 s28, exec_lo
                                        ; implicit-def: $vgpr12_vgpr13
	v_cmpx_ne_u64_e64 s[48:49], v[18:19]
	s_xor_b32 s28, exec_lo, s28
; %bb.18:                               ;   in Loop: Header=BB88_17 Depth=3
	s_delay_alu instid0(VALU_DEP_2) | instskip(SKIP_1) | instid1(VALU_DEP_1)
	v_add_nc_u32_e32 v12, 1, v16
	s_mov_b32 s27, exec_lo
                                        ; implicit-def: $vgpr23
	v_and_b32_e32 v12, 0x7ff, v12
; %bb.19:                               ;   in Loop: Header=BB88_17 Depth=3
	s_and_not1_saveexec_b32 s28, s28
	s_cbranch_execz .LBB88_21
; %bb.20:                               ;   in Loop: Header=BB88_17 Depth=3
	v_mov_b64_e32 v[12:13], s[48:49]
	s_and_not1_b32 s27, s27, exec_lo
	ds_cmpstore_rtn_b64 v[12:13], v23, v[14:15], v[12:13]
	s_wait_dscnt 0x0
	v_cmp_ne_u64_e32 vcc_lo, s[48:49], v[12:13]
	v_mov_b64_e32 v[12:13], v[16:17]
	s_and_b32 s29, vcc_lo, exec_lo
	s_delay_alu instid0(SALU_CYCLE_1)
	s_or_b32 s27, s27, s29
.LBB88_21:                              ;   in Loop: Header=BB88_17 Depth=3
	s_or_b32 exec_lo, exec_lo, s28
	s_mov_b32 s28, -1
	s_or_b32 s26, s26, exec_lo
                                        ; implicit-def: $vgpr23
                                        ; implicit-def: $vgpr18_vgpr19
	s_and_saveexec_b32 s29, s27
	s_cbranch_execz .LBB88_16
; %bb.22:                               ;   in Loop: Header=BB88_17 Depth=3
	v_lshl_add_u32 v23, v12, 3, 0
	s_and_not1_b32 s26, s26, exec_lo
	ds_load_b64 v[18:19], v23
	s_wait_dscnt 0x0
	v_cmp_eq_u64_e32 vcc_lo, v[18:19], v[14:15]
	s_or_not1_b32 s28, vcc_lo, exec_lo
	s_branch .LBB88_16
.LBB88_23:                              ;   in Loop: Header=BB88_14 Depth=2
	s_or_b32 exec_lo, exec_lo, s24
	s_and_saveexec_b32 s24, s25
	s_delay_alu instid0(SALU_CYCLE_1)
	s_xor_b32 s24, exec_lo, s24
	s_cbranch_execz .LBB88_12
; %bb.24:                               ;   in Loop: Header=BB88_14 Depth=2
	v_mov_b32_e32 v12, v16
	s_branch .LBB88_12
.LBB88_25:
	s_or_b32 exec_lo, exec_lo, s16
.LBB88_26:
	s_delay_alu instid0(SALU_CYCLE_1)
	s_and_not1_b32 vcc_lo, exec_lo, s20
	s_cbranch_vccnz .LBB88_43
; %bb.27:
	s_wait_kmcnt 0x0
	s_lshl_b64 s[0:1], s[50:51], 3
	v_mov_b32_e32 v1, 0
	s_add_nc_u64 s[0:1], s[36:37], s[0:1]
	s_load_b128 s[4:7], s[0:1], 0x0
	s_wait_xcnt 0x0
	s_mov_b32 s1, 0
	s_mov_b32 s0, s47
	s_delay_alu instid0(SALU_CYCLE_1) | instskip(SKIP_1) | instid1(VALU_DEP_1)
	v_sub_nc_u64_e64 v[4:5], v[0:1], s[0:1]
	s_wait_kmcnt 0x0
	v_add_nc_u64_e32 v[4:5], s[4:5], v[4:5]
	s_sub_nc_u64 s[2:3], s[6:7], s[0:1]
	s_mov_b32 s4, exec_lo
	s_delay_alu instid0(VALU_DEP_1)
	v_cmpx_gt_i64_e64 s[2:3], v[4:5]
	s_cbranch_execz .LBB88_42
; %bb.28:
	s_mov_b32 s5, s1
	s_branch .LBB88_31
.LBB88_29:                              ;   in Loop: Header=BB88_31 Depth=1
	s_or_b32 exec_lo, exec_lo, s7
.LBB88_30:                              ;   in Loop: Header=BB88_31 Depth=1
	s_delay_alu instid0(SALU_CYCLE_1)
	s_or_b32 exec_lo, exec_lo, s6
	s_wait_loadcnt 0x0
	v_mul_f32_e32 v1, s18, v1
	v_lshl_add_u32 v3, v6, 2, 0
	v_add_nc_u64_e32 v[4:5], 0x400, v[4:5]
	ds_add_f32 v3, v1 offset:16384
	v_cmp_le_i64_e32 vcc_lo, s[2:3], v[4:5]
	s_or_b32 s5, vcc_lo, s5
	s_delay_alu instid0(SALU_CYCLE_1)
	s_and_not1_b32 exec_lo, exec_lo, s5
	s_cbranch_execz .LBB88_42
.LBB88_31:                              ; =>This Loop Header: Depth=1
                                        ;     Child Loop BB88_34 Depth 2
	v_lshl_add_u64 v[6:7], v[4:5], 3, s[38:39]
	v_lshl_add_u64 v[8:9], v[4:5], 2, s[40:41]
	s_mov_b32 s6, exec_lo
	global_load_b64 v[6:7], v[6:7], off
	global_load_b32 v1, v[8:9], off
	s_wait_loadcnt 0x1
	s_wait_xcnt 0x0
	v_sub_nc_u64_e64 v[8:9], v[6:7], s[0:1]
	s_delay_alu instid0(VALU_DEP_1) | instskip(NEXT) | instid1(VALU_DEP_1)
	v_mul_lo_u32 v3, 0x89, v8
	v_and_b32_e32 v6, 0x7ff, v3
	s_delay_alu instid0(VALU_DEP_1)
	v_lshl_add_u32 v3, v6, 3, 0
	ds_load_b64 v[12:13], v3
	s_wait_dscnt 0x0
	v_cmpx_ne_u64_e64 v[12:13], v[8:9]
	s_cbranch_execz .LBB88_30
; %bb.32:                               ;   in Loop: Header=BB88_31 Depth=1
	s_mov_b32 s7, 0
                                        ; implicit-def: $sgpr8
                                        ; implicit-def: $sgpr9
	s_branch .LBB88_34
.LBB88_33:                              ;   in Loop: Header=BB88_34 Depth=2
	s_or_b32 exec_lo, exec_lo, s12
	s_delay_alu instid0(SALU_CYCLE_1) | instskip(NEXT) | instid1(SALU_CYCLE_1)
	s_and_b32 s10, exec_lo, s11
	s_or_b32 s7, s10, s7
	s_and_not1_b32 s8, s8, exec_lo
	s_and_b32 s10, s9, exec_lo
	s_delay_alu instid0(SALU_CYCLE_1)
	s_or_b32 s8, s8, s10
	s_and_not1_b32 exec_lo, exec_lo, s7
	s_cbranch_execz .LBB88_40
.LBB88_34:                              ;   Parent Loop BB88_31 Depth=1
                                        ; =>  This Inner Loop Header: Depth=2
	v_mov_b64_e32 v[10:11], v[6:7]
	s_mov_b32 s10, 0
	s_mov_b32 s11, exec_lo
                                        ; implicit-def: $vgpr6_vgpr7
	v_cmpx_ne_u64_e64 s[48:49], v[12:13]
	s_xor_b32 s11, exec_lo, s11
; %bb.35:                               ;   in Loop: Header=BB88_34 Depth=2
	s_delay_alu instid0(VALU_DEP_2) | instskip(SKIP_1) | instid1(VALU_DEP_1)
	v_add_nc_u32_e32 v3, 1, v10
	s_mov_b32 s10, exec_lo
	v_and_b32_e32 v6, 0x7ff, v3
                                        ; implicit-def: $vgpr3
; %bb.36:                               ;   in Loop: Header=BB88_34 Depth=2
	s_and_not1_saveexec_b32 s11, s11
	s_cbranch_execz .LBB88_38
; %bb.37:                               ;   in Loop: Header=BB88_34 Depth=2
	v_mov_b64_e32 v[6:7], s[48:49]
	s_and_not1_b32 s10, s10, exec_lo
	ds_cmpstore_rtn_b64 v[6:7], v3, v[8:9], v[6:7]
	s_wait_dscnt 0x0
	v_cmp_ne_u64_e32 vcc_lo, s[48:49], v[6:7]
	v_mov_b64_e32 v[6:7], v[10:11]
	s_and_b32 s12, vcc_lo, exec_lo
	s_delay_alu instid0(SALU_CYCLE_1)
	s_or_b32 s10, s10, s12
.LBB88_38:                              ;   in Loop: Header=BB88_34 Depth=2
	s_or_b32 exec_lo, exec_lo, s11
	s_mov_b32 s11, -1
	s_or_b32 s9, s9, exec_lo
                                        ; implicit-def: $vgpr3
                                        ; implicit-def: $vgpr12_vgpr13
	s_and_saveexec_b32 s12, s10
	s_cbranch_execz .LBB88_33
; %bb.39:                               ;   in Loop: Header=BB88_34 Depth=2
	v_lshl_add_u32 v3, v6, 3, 0
	s_and_not1_b32 s9, s9, exec_lo
	ds_load_b64 v[12:13], v3
	s_wait_dscnt 0x0
	v_cmp_eq_u64_e32 vcc_lo, v[12:13], v[8:9]
	s_or_not1_b32 s11, vcc_lo, exec_lo
	s_branch .LBB88_33
.LBB88_40:                              ;   in Loop: Header=BB88_31 Depth=1
	s_or_b32 exec_lo, exec_lo, s7
	s_and_saveexec_b32 s7, s8
	s_delay_alu instid0(SALU_CYCLE_1)
	s_xor_b32 s7, exec_lo, s7
	s_cbranch_execz .LBB88_29
; %bb.41:                               ;   in Loop: Header=BB88_31 Depth=1
	v_mov_b32_e32 v6, v10
	s_branch .LBB88_29
.LBB88_42:
	s_or_b32 exec_lo, exec_lo, s4
.LBB88_43:
	v_mbcnt_lo_u32_b32 v4, -1, 0
	v_mov_b32_e32 v3, 0
	v_lshl_add_u32 v1, v2, 3, 0
	v_mov_b64_e32 v[6:7], 0
	v_cmp_lt_u32_e64 s0, 31, v0
	v_xor_b32_e32 v2, 31, v4
	v_cmp_lt_u32_e64 s1, 63, v0
	v_cmp_lt_u32_e64 s2, 0x5f, v0
	v_cmp_lt_u32_e64 s3, 0x7f, v0
	v_cmp_lt_u32_e64 s4, 0x9f, v0
	v_lshrrev_b32_e64 v4, v2, -1
	v_cmp_lt_u32_e64 s5, 0xbf, v0
	v_cmp_lt_u32_e64 s6, 0xdf, v0
	;; [unrolled: 1-line block ×26, first 2 shown]
	s_mov_b32 s33, 0
	s_wait_dscnt 0x0
	v_cmp_eq_u32_e32 vcc_lo, 0x3ff, v0
	s_barrier_signal -1
	s_barrier_wait -1
	s_branch .LBB88_45
.LBB88_44:                              ;   in Loop: Header=BB88_45 Depth=1
	s_or_b32 exec_lo, exec_lo, s31
	s_wait_dscnt 0x0
	s_barrier_signal -1
	s_barrier_wait -1
	ds_load_b64 v[8:9], v3 offset:24824
	v_add_co_u32 v21, s31, 0x400, v21
	s_xor_b32 s31, s31, -1
	v_add_nc_u32_e32 v22, 0x1000, v22
	v_add_nc_u32_e32 v20, 0x2000, v20
	s_and_b32 s31, exec_lo, s31
	s_delay_alu instid0(SALU_CYCLE_1)
	s_or_b32 s33, s31, s33
	s_wait_dscnt 0x0
	v_add_nc_u64_e32 v[6:7], v[8:9], v[6:7]
	s_and_not1_b32 exec_lo, exec_lo, s33
	s_cbranch_execz .LBB88_111
.LBB88_45:                              ; =>This Inner Loop Header: Depth=1
	ds_load_b64 v[8:9], v20
	ds_load_b32 v5, v22
	s_wait_dscnt 0x0
	s_barrier_signal -1
	s_barrier_wait -1
	v_cmp_gt_i64_e64 s31, s[48:49], v[8:9]
	s_bcnt1_i32_b32 s36, s31
	s_delay_alu instid0(SALU_CYCLE_1) | instskip(NEXT) | instid1(VALU_DEP_1)
	v_dual_mov_b32 v2, s36 :: v_dual_bitop2_b32 v10, s31, v4 bitop3:0x40
	v_bcnt_u32_b32 v10, v10, 0
	ds_store_b64 v1, v[2:3] offset:24576
	s_wait_dscnt 0x0
	s_barrier_signal -1
	s_barrier_wait -1
	s_and_saveexec_b32 s36, s0
	s_cbranch_execnz .LBB88_78
; %bb.46:                               ;   in Loop: Header=BB88_45 Depth=1
	s_or_b32 exec_lo, exec_lo, s36
	s_and_saveexec_b32 s36, s1
	s_cbranch_execnz .LBB88_79
.LBB88_47:                              ;   in Loop: Header=BB88_45 Depth=1
	s_or_b32 exec_lo, exec_lo, s36
	s_and_saveexec_b32 s36, s2
	s_cbranch_execnz .LBB88_80
.LBB88_48:                              ;   in Loop: Header=BB88_45 Depth=1
	s_or_b32 exec_lo, exec_lo, s36
	s_and_saveexec_b32 s36, s3
	s_cbranch_execnz .LBB88_81
.LBB88_49:                              ;   in Loop: Header=BB88_45 Depth=1
	s_or_b32 exec_lo, exec_lo, s36
	s_and_saveexec_b32 s36, s4
	s_cbranch_execnz .LBB88_82
.LBB88_50:                              ;   in Loop: Header=BB88_45 Depth=1
	s_or_b32 exec_lo, exec_lo, s36
	s_and_saveexec_b32 s36, s5
	s_cbranch_execnz .LBB88_83
.LBB88_51:                              ;   in Loop: Header=BB88_45 Depth=1
	s_or_b32 exec_lo, exec_lo, s36
	s_and_saveexec_b32 s36, s6
	s_cbranch_execnz .LBB88_84
.LBB88_52:                              ;   in Loop: Header=BB88_45 Depth=1
	s_or_b32 exec_lo, exec_lo, s36
	s_and_saveexec_b32 s36, s7
	s_cbranch_execnz .LBB88_85
.LBB88_53:                              ;   in Loop: Header=BB88_45 Depth=1
	s_or_b32 exec_lo, exec_lo, s36
	s_and_saveexec_b32 s36, s8
	s_cbranch_execnz .LBB88_86
.LBB88_54:                              ;   in Loop: Header=BB88_45 Depth=1
	s_or_b32 exec_lo, exec_lo, s36
	s_and_saveexec_b32 s36, s9
	s_cbranch_execnz .LBB88_87
.LBB88_55:                              ;   in Loop: Header=BB88_45 Depth=1
	s_or_b32 exec_lo, exec_lo, s36
	s_and_saveexec_b32 s36, s10
	s_cbranch_execnz .LBB88_88
.LBB88_56:                              ;   in Loop: Header=BB88_45 Depth=1
	s_or_b32 exec_lo, exec_lo, s36
	s_and_saveexec_b32 s36, s11
	s_cbranch_execnz .LBB88_89
.LBB88_57:                              ;   in Loop: Header=BB88_45 Depth=1
	s_or_b32 exec_lo, exec_lo, s36
	s_and_saveexec_b32 s36, s12
	s_cbranch_execnz .LBB88_90
.LBB88_58:                              ;   in Loop: Header=BB88_45 Depth=1
	s_or_b32 exec_lo, exec_lo, s36
	s_and_saveexec_b32 s36, s13
	s_cbranch_execnz .LBB88_91
.LBB88_59:                              ;   in Loop: Header=BB88_45 Depth=1
	s_or_b32 exec_lo, exec_lo, s36
	s_and_saveexec_b32 s36, s14
	s_cbranch_execnz .LBB88_92
.LBB88_60:                              ;   in Loop: Header=BB88_45 Depth=1
	s_or_b32 exec_lo, exec_lo, s36
	s_and_saveexec_b32 s36, s15
	s_cbranch_execnz .LBB88_93
.LBB88_61:                              ;   in Loop: Header=BB88_45 Depth=1
	s_or_b32 exec_lo, exec_lo, s36
	s_and_saveexec_b32 s36, s16
	s_cbranch_execnz .LBB88_94
.LBB88_62:                              ;   in Loop: Header=BB88_45 Depth=1
	s_or_b32 exec_lo, exec_lo, s36
	s_and_saveexec_b32 s36, s17
	s_cbranch_execnz .LBB88_95
.LBB88_63:                              ;   in Loop: Header=BB88_45 Depth=1
	s_or_b32 exec_lo, exec_lo, s36
	s_and_saveexec_b32 s36, s18
	s_cbranch_execnz .LBB88_96
.LBB88_64:                              ;   in Loop: Header=BB88_45 Depth=1
	s_or_b32 exec_lo, exec_lo, s36
	s_and_saveexec_b32 s36, s19
	s_cbranch_execnz .LBB88_97
.LBB88_65:                              ;   in Loop: Header=BB88_45 Depth=1
	s_or_b32 exec_lo, exec_lo, s36
	s_and_saveexec_b32 s36, s20
	s_cbranch_execnz .LBB88_98
.LBB88_66:                              ;   in Loop: Header=BB88_45 Depth=1
	s_or_b32 exec_lo, exec_lo, s36
	s_and_saveexec_b32 s36, s21
	s_cbranch_execnz .LBB88_99
.LBB88_67:                              ;   in Loop: Header=BB88_45 Depth=1
	s_or_b32 exec_lo, exec_lo, s36
	s_and_saveexec_b32 s36, s22
	s_cbranch_execnz .LBB88_100
.LBB88_68:                              ;   in Loop: Header=BB88_45 Depth=1
	s_or_b32 exec_lo, exec_lo, s36
	s_and_saveexec_b32 s36, s23
	s_cbranch_execnz .LBB88_101
.LBB88_69:                              ;   in Loop: Header=BB88_45 Depth=1
	s_or_b32 exec_lo, exec_lo, s36
	s_and_saveexec_b32 s36, s24
	s_cbranch_execnz .LBB88_102
.LBB88_70:                              ;   in Loop: Header=BB88_45 Depth=1
	s_or_b32 exec_lo, exec_lo, s36
	s_and_saveexec_b32 s36, s25
	s_cbranch_execnz .LBB88_103
.LBB88_71:                              ;   in Loop: Header=BB88_45 Depth=1
	s_or_b32 exec_lo, exec_lo, s36
	s_and_saveexec_b32 s36, s26
	s_cbranch_execnz .LBB88_104
.LBB88_72:                              ;   in Loop: Header=BB88_45 Depth=1
	s_or_b32 exec_lo, exec_lo, s36
	s_and_saveexec_b32 s36, s27
	s_cbranch_execnz .LBB88_105
.LBB88_73:                              ;   in Loop: Header=BB88_45 Depth=1
	s_or_b32 exec_lo, exec_lo, s36
	s_and_saveexec_b32 s36, s28
	s_cbranch_execnz .LBB88_106
.LBB88_74:                              ;   in Loop: Header=BB88_45 Depth=1
	s_or_b32 exec_lo, exec_lo, s36
	s_and_saveexec_b32 s36, s29
	s_cbranch_execnz .LBB88_107
.LBB88_75:                              ;   in Loop: Header=BB88_45 Depth=1
	s_or_b32 exec_lo, exec_lo, s36
	s_and_saveexec_b32 s36, s30
	s_cbranch_execnz .LBB88_108
.LBB88_76:                              ;   in Loop: Header=BB88_45 Depth=1
	s_or_b32 exec_lo, exec_lo, s36
	v_ashrrev_i32_e32 v11, 31, v10
	s_and_saveexec_b32 s36, s31
	s_cbranch_execnz .LBB88_109
.LBB88_77:                              ;   in Loop: Header=BB88_45 Depth=1
	s_or_b32 exec_lo, exec_lo, s36
	s_and_saveexec_b32 s31, vcc_lo
	s_cbranch_execz .LBB88_44
	s_branch .LBB88_110
.LBB88_78:                              ;   in Loop: Header=BB88_45 Depth=1
	ds_load_b32 v2, v3 offset:24576
	s_wait_dscnt 0x0
	v_add_nc_u32_e32 v10, v2, v10
	s_or_b32 exec_lo, exec_lo, s36
	s_and_saveexec_b32 s36, s1
	s_cbranch_execz .LBB88_47
.LBB88_79:                              ;   in Loop: Header=BB88_45 Depth=1
	ds_load_b32 v2, v3 offset:24584
	s_wait_dscnt 0x0
	v_add_nc_u32_e32 v10, v10, v2
	s_or_b32 exec_lo, exec_lo, s36
	s_and_saveexec_b32 s36, s2
	s_cbranch_execz .LBB88_48
.LBB88_80:                              ;   in Loop: Header=BB88_45 Depth=1
	ds_load_b32 v2, v3 offset:24592
	s_wait_dscnt 0x0
	v_add_nc_u32_e32 v10, v10, v2
	s_or_b32 exec_lo, exec_lo, s36
	s_and_saveexec_b32 s36, s3
	s_cbranch_execz .LBB88_49
.LBB88_81:                              ;   in Loop: Header=BB88_45 Depth=1
	ds_load_b32 v2, v3 offset:24600
	s_wait_dscnt 0x0
	v_add_nc_u32_e32 v10, v10, v2
	s_or_b32 exec_lo, exec_lo, s36
	s_and_saveexec_b32 s36, s4
	s_cbranch_execz .LBB88_50
.LBB88_82:                              ;   in Loop: Header=BB88_45 Depth=1
	ds_load_b32 v2, v3 offset:24608
	s_wait_dscnt 0x0
	v_add_nc_u32_e32 v10, v10, v2
	s_or_b32 exec_lo, exec_lo, s36
	s_and_saveexec_b32 s36, s5
	s_cbranch_execz .LBB88_51
.LBB88_83:                              ;   in Loop: Header=BB88_45 Depth=1
	ds_load_b32 v2, v3 offset:24616
	s_wait_dscnt 0x0
	v_add_nc_u32_e32 v10, v10, v2
	s_or_b32 exec_lo, exec_lo, s36
	s_and_saveexec_b32 s36, s6
	s_cbranch_execz .LBB88_52
.LBB88_84:                              ;   in Loop: Header=BB88_45 Depth=1
	ds_load_b32 v2, v3 offset:24624
	s_wait_dscnt 0x0
	v_add_nc_u32_e32 v10, v10, v2
	s_or_b32 exec_lo, exec_lo, s36
	s_and_saveexec_b32 s36, s7
	s_cbranch_execz .LBB88_53
.LBB88_85:                              ;   in Loop: Header=BB88_45 Depth=1
	ds_load_b32 v2, v3 offset:24632
	s_wait_dscnt 0x0
	v_add_nc_u32_e32 v10, v10, v2
	s_or_b32 exec_lo, exec_lo, s36
	s_and_saveexec_b32 s36, s8
	s_cbranch_execz .LBB88_54
.LBB88_86:                              ;   in Loop: Header=BB88_45 Depth=1
	ds_load_b32 v2, v3 offset:24640
	s_wait_dscnt 0x0
	v_add_nc_u32_e32 v10, v10, v2
	s_or_b32 exec_lo, exec_lo, s36
	s_and_saveexec_b32 s36, s9
	s_cbranch_execz .LBB88_55
.LBB88_87:                              ;   in Loop: Header=BB88_45 Depth=1
	ds_load_b32 v2, v3 offset:24648
	s_wait_dscnt 0x0
	v_add_nc_u32_e32 v10, v10, v2
	s_or_b32 exec_lo, exec_lo, s36
	s_and_saveexec_b32 s36, s10
	s_cbranch_execz .LBB88_56
.LBB88_88:                              ;   in Loop: Header=BB88_45 Depth=1
	ds_load_b32 v2, v3 offset:24656
	s_wait_dscnt 0x0
	v_add_nc_u32_e32 v10, v10, v2
	s_or_b32 exec_lo, exec_lo, s36
	s_and_saveexec_b32 s36, s11
	s_cbranch_execz .LBB88_57
.LBB88_89:                              ;   in Loop: Header=BB88_45 Depth=1
	ds_load_b32 v2, v3 offset:24664
	s_wait_dscnt 0x0
	v_add_nc_u32_e32 v10, v10, v2
	s_or_b32 exec_lo, exec_lo, s36
	s_and_saveexec_b32 s36, s12
	s_cbranch_execz .LBB88_58
.LBB88_90:                              ;   in Loop: Header=BB88_45 Depth=1
	ds_load_b32 v2, v3 offset:24672
	s_wait_dscnt 0x0
	v_add_nc_u32_e32 v10, v10, v2
	s_or_b32 exec_lo, exec_lo, s36
	s_and_saveexec_b32 s36, s13
	s_cbranch_execz .LBB88_59
.LBB88_91:                              ;   in Loop: Header=BB88_45 Depth=1
	ds_load_b32 v2, v3 offset:24680
	s_wait_dscnt 0x0
	v_add_nc_u32_e32 v10, v10, v2
	s_or_b32 exec_lo, exec_lo, s36
	s_and_saveexec_b32 s36, s14
	s_cbranch_execz .LBB88_60
.LBB88_92:                              ;   in Loop: Header=BB88_45 Depth=1
	ds_load_b32 v2, v3 offset:24688
	s_wait_dscnt 0x0
	v_add_nc_u32_e32 v10, v10, v2
	s_or_b32 exec_lo, exec_lo, s36
	s_and_saveexec_b32 s36, s15
	s_cbranch_execz .LBB88_61
.LBB88_93:                              ;   in Loop: Header=BB88_45 Depth=1
	ds_load_b32 v2, v3 offset:24696
	s_wait_dscnt 0x0
	v_add_nc_u32_e32 v10, v10, v2
	s_or_b32 exec_lo, exec_lo, s36
	s_and_saveexec_b32 s36, s16
	s_cbranch_execz .LBB88_62
.LBB88_94:                              ;   in Loop: Header=BB88_45 Depth=1
	ds_load_b32 v2, v3 offset:24704
	s_wait_dscnt 0x0
	v_add_nc_u32_e32 v10, v10, v2
	s_or_b32 exec_lo, exec_lo, s36
	s_and_saveexec_b32 s36, s17
	s_cbranch_execz .LBB88_63
.LBB88_95:                              ;   in Loop: Header=BB88_45 Depth=1
	ds_load_b32 v2, v3 offset:24712
	s_wait_dscnt 0x0
	v_add_nc_u32_e32 v10, v10, v2
	s_or_b32 exec_lo, exec_lo, s36
	s_and_saveexec_b32 s36, s18
	s_cbranch_execz .LBB88_64
.LBB88_96:                              ;   in Loop: Header=BB88_45 Depth=1
	ds_load_b32 v2, v3 offset:24720
	s_wait_dscnt 0x0
	v_add_nc_u32_e32 v10, v10, v2
	s_or_b32 exec_lo, exec_lo, s36
	s_and_saveexec_b32 s36, s19
	s_cbranch_execz .LBB88_65
.LBB88_97:                              ;   in Loop: Header=BB88_45 Depth=1
	ds_load_b32 v2, v3 offset:24728
	s_wait_dscnt 0x0
	v_add_nc_u32_e32 v10, v10, v2
	s_or_b32 exec_lo, exec_lo, s36
	s_and_saveexec_b32 s36, s20
	s_cbranch_execz .LBB88_66
.LBB88_98:                              ;   in Loop: Header=BB88_45 Depth=1
	ds_load_b32 v2, v3 offset:24736
	s_wait_dscnt 0x0
	v_add_nc_u32_e32 v10, v10, v2
	s_or_b32 exec_lo, exec_lo, s36
	s_and_saveexec_b32 s36, s21
	s_cbranch_execz .LBB88_67
.LBB88_99:                              ;   in Loop: Header=BB88_45 Depth=1
	ds_load_b32 v2, v3 offset:24744
	s_wait_dscnt 0x0
	v_add_nc_u32_e32 v10, v10, v2
	s_or_b32 exec_lo, exec_lo, s36
	s_and_saveexec_b32 s36, s22
	s_cbranch_execz .LBB88_68
.LBB88_100:                             ;   in Loop: Header=BB88_45 Depth=1
	ds_load_b32 v2, v3 offset:24752
	s_wait_dscnt 0x0
	v_add_nc_u32_e32 v10, v10, v2
	s_or_b32 exec_lo, exec_lo, s36
	s_and_saveexec_b32 s36, s23
	s_cbranch_execz .LBB88_69
.LBB88_101:                             ;   in Loop: Header=BB88_45 Depth=1
	ds_load_b32 v2, v3 offset:24760
	s_wait_dscnt 0x0
	v_add_nc_u32_e32 v10, v10, v2
	s_or_b32 exec_lo, exec_lo, s36
	s_and_saveexec_b32 s36, s24
	s_cbranch_execz .LBB88_70
.LBB88_102:                             ;   in Loop: Header=BB88_45 Depth=1
	ds_load_b32 v2, v3 offset:24768
	s_wait_dscnt 0x0
	v_add_nc_u32_e32 v10, v10, v2
	s_or_b32 exec_lo, exec_lo, s36
	s_and_saveexec_b32 s36, s25
	s_cbranch_execz .LBB88_71
.LBB88_103:                             ;   in Loop: Header=BB88_45 Depth=1
	ds_load_b32 v2, v3 offset:24776
	s_wait_dscnt 0x0
	v_add_nc_u32_e32 v10, v10, v2
	s_or_b32 exec_lo, exec_lo, s36
	s_and_saveexec_b32 s36, s26
	s_cbranch_execz .LBB88_72
.LBB88_104:                             ;   in Loop: Header=BB88_45 Depth=1
	ds_load_b32 v2, v3 offset:24784
	s_wait_dscnt 0x0
	v_add_nc_u32_e32 v10, v10, v2
	s_or_b32 exec_lo, exec_lo, s36
	s_and_saveexec_b32 s36, s27
	s_cbranch_execz .LBB88_73
.LBB88_105:                             ;   in Loop: Header=BB88_45 Depth=1
	ds_load_b32 v2, v3 offset:24792
	s_wait_dscnt 0x0
	v_add_nc_u32_e32 v10, v10, v2
	s_or_b32 exec_lo, exec_lo, s36
	s_and_saveexec_b32 s36, s28
	s_cbranch_execz .LBB88_74
.LBB88_106:                             ;   in Loop: Header=BB88_45 Depth=1
	ds_load_b32 v2, v3 offset:24800
	s_wait_dscnt 0x0
	v_add_nc_u32_e32 v10, v10, v2
	s_or_b32 exec_lo, exec_lo, s36
	s_and_saveexec_b32 s36, s29
	s_cbranch_execz .LBB88_75
.LBB88_107:                             ;   in Loop: Header=BB88_45 Depth=1
	ds_load_b32 v2, v3 offset:24808
	s_wait_dscnt 0x0
	v_add_nc_u32_e32 v10, v10, v2
	s_or_b32 exec_lo, exec_lo, s36
	s_and_saveexec_b32 s36, s30
	s_cbranch_execz .LBB88_76
.LBB88_108:                             ;   in Loop: Header=BB88_45 Depth=1
	ds_load_b32 v2, v3 offset:24816
	s_wait_dscnt 0x0
	v_add_nc_u32_e32 v10, v10, v2
	s_or_b32 exec_lo, exec_lo, s36
	s_delay_alu instid0(VALU_DEP_1)
	v_ashrrev_i32_e32 v11, 31, v10
	s_and_saveexec_b32 s36, s31
	s_cbranch_execz .LBB88_77
.LBB88_109:                             ;   in Loop: Header=BB88_45 Depth=1
	v_add3_u32 v2, v6, -1, v10
	v_add_nc_u32_e32 v12, v6, v10
	s_delay_alu instid0(VALU_DEP_2) | instskip(NEXT) | instid1(VALU_DEP_2)
	v_lshl_add_u32 v2, v2, 3, 0
	v_lshl_add_u32 v12, v12, 2, 0
	ds_store_b64 v2, v[8:9]
	ds_store_b32 v12, v5 offset:16380
	s_or_b32 exec_lo, exec_lo, s36
	s_and_saveexec_b32 s31, vcc_lo
	s_cbranch_execz .LBB88_44
.LBB88_110:                             ;   in Loop: Header=BB88_45 Depth=1
	ds_store_b64 v3, v[10:11] offset:24824
	s_branch .LBB88_44
.LBB88_111:
	s_or_b32 exec_lo, exec_lo, s33
	s_wait_kmcnt 0x0
	s_lshl_b64 s[0:1], s[50:51], 3
	v_mov_b32_e32 v1, 0
	s_add_nc_u64 s[4:5], s[42:43], s[0:1]
	s_mov_b32 s6, exec_lo
	s_load_b128 s[0:3], s[4:5], 0x0
	s_wait_kmcnt 0x0
	s_sub_nc_u64 s[4:5], s[2:3], s[0:1]
	s_delay_alu instid0(SALU_CYCLE_1)
	v_cmpx_gt_i64_e64 s[4:5], v[0:1]
	s_cbranch_execz .LBB88_121
; %bb.112:
	s_sub_nc_u64 s[8:9], s[0:1], s[2:3]
	s_and_b64 s[6:7], s[4:5], 7
	v_cmp_lt_u64_e64 s10, s[8:9], -7
	s_and_b64 s[2:3], s[4:5], -8
	s_mov_b32 s47, 0
	s_cmp_lg_u64 s[6:7], 0
	s_sub_nc_u64 s[0:1], s[0:1], s[46:47]
	s_cselect_b32 s11, -1, 0
	s_mov_b32 s12, 0
	s_branch .LBB88_114
.LBB88_113:                             ;   in Loop: Header=BB88_114 Depth=1
	v_add_nc_u64_e32 v[0:1], 0x400, v[0:1]
	s_wait_dscnt 0x1
	s_delay_alu instid0(VALU_DEP_2)
	v_lshl_add_u64 v[2:3], v[4:5], 2, s[34:35]
	s_wait_dscnt 0x0
	global_store_b32 v[2:3], v6, off
	v_cmp_le_i64_e32 vcc_lo, s[4:5], v[0:1]
	s_or_b32 s12, vcc_lo, s12
	s_wait_xcnt 0x0
	s_and_not1_b32 exec_lo, exec_lo, s12
	s_cbranch_execz .LBB88_121
.LBB88_114:                             ; =>This Loop Header: Depth=1
                                        ;     Child Loop BB88_116 Depth 2
                                        ;     Child Loop BB88_120 Depth 2
	v_lshl_add_u32 v2, v0, 3, 0
	v_lshlrev_b32_e32 v3, 2, v0
	s_and_not1_b32 vcc_lo, exec_lo, s10
	s_mov_b64 s[8:9], 0
	s_delay_alu instid0(VALU_DEP_1)
	v_sub_nc_u32_e32 v4, v2, v3
	ds_load_b64 v[2:3], v2
	ds_load_b32 v6, v4 offset:16384
	v_mov_b64_e32 v[4:5], s[0:1]
	s_cbranch_vccnz .LBB88_118
; %bb.115:                              ;   in Loop: Header=BB88_114 Depth=1
	v_mov_b64_e32 v[4:5], s[0:1]
	s_mov_b32 s13, 0
.LBB88_116:                             ;   Parent Loop BB88_114 Depth=1
                                        ; =>  This Inner Loop Header: Depth=2
	s_delay_alu instid0(SALU_CYCLE_1)
	v_dual_mov_b32 v7, s13 :: v_dual_mov_b32 v17, s47
	s_add_nc_u64 s[8:9], s[8:9], 8
	s_add_co_i32 s13, s13, 64
	s_cmp_eq_u64 s[2:3], s[8:9]
	ds_load_2addr_b64 v[8:11], v7 offset1:1
	ds_load_2addr_b64 v[12:15], v7 offset0:2 offset1:3
	s_wait_dscnt 0x1
	v_cmp_gt_i64_e32 vcc_lo, v[2:3], v[8:9]
	v_cndmask_b32_e64 v16, 0, 1, vcc_lo
	v_cmp_gt_i64_e32 vcc_lo, v[2:3], v[10:11]
	ds_load_2addr_b64 v[8:11], v7 offset0:4 offset1:5
	v_add_nc_u64_e32 v[4:5], v[4:5], v[16:17]
	v_cndmask_b32_e64 v18, 0, 1, vcc_lo
	s_wait_dscnt 0x1
	v_cmp_gt_i64_e32 vcc_lo, v[2:3], v[12:13]
	v_cndmask_b32_e64 v16, 0, 1, vcc_lo
	v_cmp_gt_i64_e32 vcc_lo, v[2:3], v[14:15]
	ds_load_2addr_b64 v[12:15], v7 offset0:6 offset1:7
	v_mov_b32_e32 v19, s47
	s_delay_alu instid0(VALU_DEP_1) | instskip(SKIP_4) | instid1(VALU_DEP_4)
	v_add_nc_u64_e32 v[4:5], v[4:5], v[18:19]
	v_cndmask_b32_e64 v18, 0, 1, vcc_lo
	s_wait_dscnt 0x1
	v_cmp_gt_i64_e32 vcc_lo, v[2:3], v[8:9]
	v_mov_b32_e32 v9, s47
	v_add_nc_u64_e32 v[4:5], v[4:5], v[16:17]
	v_cndmask_b32_e64 v16, 0, 1, vcc_lo
	v_cmp_gt_i64_e32 vcc_lo, v[2:3], v[10:11]
	v_mov_b32_e32 v11, s47
	s_delay_alu instid0(VALU_DEP_4) | instskip(SKIP_3) | instid1(VALU_DEP_3)
	v_add_nc_u64_e32 v[4:5], v[4:5], v[18:19]
	v_cndmask_b32_e64 v8, 0, 1, vcc_lo
	s_wait_dscnt 0x0
	v_cmp_gt_i64_e32 vcc_lo, v[2:3], v[12:13]
	v_add_nc_u64_e32 v[4:5], v[4:5], v[16:17]
	v_cndmask_b32_e64 v10, 0, 1, vcc_lo
	v_cmp_gt_i64_e32 vcc_lo, v[2:3], v[14:15]
	s_delay_alu instid0(VALU_DEP_3) | instskip(SKIP_1) | instid1(VALU_DEP_2)
	v_add_nc_u64_e32 v[4:5], v[4:5], v[8:9]
	v_cndmask_b32_e64 v8, 0, 1, vcc_lo
	v_add_nc_u64_e32 v[4:5], v[4:5], v[10:11]
	s_delay_alu instid0(VALU_DEP_1)
	v_add_nc_u64_e32 v[4:5], v[4:5], v[8:9]
	s_cbranch_scc0 .LBB88_116
; %bb.117:                              ;   in Loop: Header=BB88_114 Depth=1
	s_mov_b64 s[8:9], s[2:3]
.LBB88_118:                             ;   in Loop: Header=BB88_114 Depth=1
	s_and_not1_b32 vcc_lo, exec_lo, s11
	s_cbranch_vccnz .LBB88_113
; %bb.119:                              ;   in Loop: Header=BB88_114 Depth=1
	s_lshl_b32 s8, s8, 3
	s_delay_alu instid0(SALU_CYCLE_1)
	s_add_co_i32 s13, s8, 0
	s_mov_b64 s[8:9], s[6:7]
.LBB88_120:                             ;   Parent Loop BB88_114 Depth=1
                                        ; =>  This Inner Loop Header: Depth=2
	v_dual_mov_b32 v7, s13 :: v_dual_mov_b32 v11, s47
	s_add_nc_u64 s[8:9], s[8:9], -1
	s_add_co_i32 s13, s13, 8
	s_cmp_lg_u64 s[8:9], 0
	ds_load_b64 v[8:9], v7
	s_wait_dscnt 0x0
	v_cmp_gt_i64_e32 vcc_lo, v[2:3], v[8:9]
	v_cndmask_b32_e64 v10, 0, 1, vcc_lo
	s_delay_alu instid0(VALU_DEP_1)
	v_add_nc_u64_e32 v[4:5], v[4:5], v[10:11]
	s_cbranch_scc1 .LBB88_120
	s_branch .LBB88_113
.LBB88_121:
	s_endpgm
	.section	.rodata,"a",@progbits
	.p2align	6, 0x0
	.amdhsa_kernel _ZN9rocsparseL41csrgemm_numeric_fill_block_per_row_kernelILj1024ELj32ELj2048ELj137ELj32EllfEEvT5_PKS1_S3_NS_24const_host_device_scalarIT6_EEPKT4_S3_PKS5_S9_S3_SB_S6_S9_S3_SB_S9_S3_PS5_21rocsparse_index_base_SD_SD_SD_bbb
		.amdhsa_group_segment_fixed_size 0
		.amdhsa_private_segment_fixed_size 0
		.amdhsa_kernarg_size 156
		.amdhsa_user_sgpr_count 2
		.amdhsa_user_sgpr_dispatch_ptr 0
		.amdhsa_user_sgpr_queue_ptr 0
		.amdhsa_user_sgpr_kernarg_segment_ptr 1
		.amdhsa_user_sgpr_dispatch_id 0
		.amdhsa_user_sgpr_kernarg_preload_length 0
		.amdhsa_user_sgpr_kernarg_preload_offset 0
		.amdhsa_user_sgpr_private_segment_size 0
		.amdhsa_wavefront_size32 1
		.amdhsa_uses_dynamic_stack 0
		.amdhsa_enable_private_segment 0
		.amdhsa_system_sgpr_workgroup_id_x 1
		.amdhsa_system_sgpr_workgroup_id_y 0
		.amdhsa_system_sgpr_workgroup_id_z 0
		.amdhsa_system_sgpr_workgroup_info 0
		.amdhsa_system_vgpr_workitem_id 0
		.amdhsa_next_free_vgpr 24
		.amdhsa_next_free_sgpr 52
		.amdhsa_named_barrier_count 0
		.amdhsa_reserve_vcc 1
		.amdhsa_float_round_mode_32 0
		.amdhsa_float_round_mode_16_64 0
		.amdhsa_float_denorm_mode_32 3
		.amdhsa_float_denorm_mode_16_64 3
		.amdhsa_fp16_overflow 0
		.amdhsa_memory_ordered 1
		.amdhsa_forward_progress 1
		.amdhsa_inst_pref_size 33
		.amdhsa_round_robin_scheduling 0
		.amdhsa_exception_fp_ieee_invalid_op 0
		.amdhsa_exception_fp_denorm_src 0
		.amdhsa_exception_fp_ieee_div_zero 0
		.amdhsa_exception_fp_ieee_overflow 0
		.amdhsa_exception_fp_ieee_underflow 0
		.amdhsa_exception_fp_ieee_inexact 0
		.amdhsa_exception_int_div_zero 0
	.end_amdhsa_kernel
	.section	.text._ZN9rocsparseL41csrgemm_numeric_fill_block_per_row_kernelILj1024ELj32ELj2048ELj137ELj32EllfEEvT5_PKS1_S3_NS_24const_host_device_scalarIT6_EEPKT4_S3_PKS5_S9_S3_SB_S6_S9_S3_SB_S9_S3_PS5_21rocsparse_index_base_SD_SD_SD_bbb,"axG",@progbits,_ZN9rocsparseL41csrgemm_numeric_fill_block_per_row_kernelILj1024ELj32ELj2048ELj137ELj32EllfEEvT5_PKS1_S3_NS_24const_host_device_scalarIT6_EEPKT4_S3_PKS5_S9_S3_SB_S6_S9_S3_SB_S9_S3_PS5_21rocsparse_index_base_SD_SD_SD_bbb,comdat
.Lfunc_end88:
	.size	_ZN9rocsparseL41csrgemm_numeric_fill_block_per_row_kernelILj1024ELj32ELj2048ELj137ELj32EllfEEvT5_PKS1_S3_NS_24const_host_device_scalarIT6_EEPKT4_S3_PKS5_S9_S3_SB_S6_S9_S3_SB_S9_S3_PS5_21rocsparse_index_base_SD_SD_SD_bbb, .Lfunc_end88-_ZN9rocsparseL41csrgemm_numeric_fill_block_per_row_kernelILj1024ELj32ELj2048ELj137ELj32EllfEEvT5_PKS1_S3_NS_24const_host_device_scalarIT6_EEPKT4_S3_PKS5_S9_S3_SB_S6_S9_S3_SB_S9_S3_PS5_21rocsparse_index_base_SD_SD_SD_bbb
                                        ; -- End function
	.set _ZN9rocsparseL41csrgemm_numeric_fill_block_per_row_kernelILj1024ELj32ELj2048ELj137ELj32EllfEEvT5_PKS1_S3_NS_24const_host_device_scalarIT6_EEPKT4_S3_PKS5_S9_S3_SB_S6_S9_S3_SB_S9_S3_PS5_21rocsparse_index_base_SD_SD_SD_bbb.num_vgpr, 24
	.set _ZN9rocsparseL41csrgemm_numeric_fill_block_per_row_kernelILj1024ELj32ELj2048ELj137ELj32EllfEEvT5_PKS1_S3_NS_24const_host_device_scalarIT6_EEPKT4_S3_PKS5_S9_S3_SB_S6_S9_S3_SB_S9_S3_PS5_21rocsparse_index_base_SD_SD_SD_bbb.num_agpr, 0
	.set _ZN9rocsparseL41csrgemm_numeric_fill_block_per_row_kernelILj1024ELj32ELj2048ELj137ELj32EllfEEvT5_PKS1_S3_NS_24const_host_device_scalarIT6_EEPKT4_S3_PKS5_S9_S3_SB_S6_S9_S3_SB_S9_S3_PS5_21rocsparse_index_base_SD_SD_SD_bbb.numbered_sgpr, 52
	.set _ZN9rocsparseL41csrgemm_numeric_fill_block_per_row_kernelILj1024ELj32ELj2048ELj137ELj32EllfEEvT5_PKS1_S3_NS_24const_host_device_scalarIT6_EEPKT4_S3_PKS5_S9_S3_SB_S6_S9_S3_SB_S9_S3_PS5_21rocsparse_index_base_SD_SD_SD_bbb.num_named_barrier, 0
	.set _ZN9rocsparseL41csrgemm_numeric_fill_block_per_row_kernelILj1024ELj32ELj2048ELj137ELj32EllfEEvT5_PKS1_S3_NS_24const_host_device_scalarIT6_EEPKT4_S3_PKS5_S9_S3_SB_S6_S9_S3_SB_S9_S3_PS5_21rocsparse_index_base_SD_SD_SD_bbb.private_seg_size, 0
	.set _ZN9rocsparseL41csrgemm_numeric_fill_block_per_row_kernelILj1024ELj32ELj2048ELj137ELj32EllfEEvT5_PKS1_S3_NS_24const_host_device_scalarIT6_EEPKT4_S3_PKS5_S9_S3_SB_S6_S9_S3_SB_S9_S3_PS5_21rocsparse_index_base_SD_SD_SD_bbb.uses_vcc, 1
	.set _ZN9rocsparseL41csrgemm_numeric_fill_block_per_row_kernelILj1024ELj32ELj2048ELj137ELj32EllfEEvT5_PKS1_S3_NS_24const_host_device_scalarIT6_EEPKT4_S3_PKS5_S9_S3_SB_S6_S9_S3_SB_S9_S3_PS5_21rocsparse_index_base_SD_SD_SD_bbb.uses_flat_scratch, 0
	.set _ZN9rocsparseL41csrgemm_numeric_fill_block_per_row_kernelILj1024ELj32ELj2048ELj137ELj32EllfEEvT5_PKS1_S3_NS_24const_host_device_scalarIT6_EEPKT4_S3_PKS5_S9_S3_SB_S6_S9_S3_SB_S9_S3_PS5_21rocsparse_index_base_SD_SD_SD_bbb.has_dyn_sized_stack, 0
	.set _ZN9rocsparseL41csrgemm_numeric_fill_block_per_row_kernelILj1024ELj32ELj2048ELj137ELj32EllfEEvT5_PKS1_S3_NS_24const_host_device_scalarIT6_EEPKT4_S3_PKS5_S9_S3_SB_S6_S9_S3_SB_S9_S3_PS5_21rocsparse_index_base_SD_SD_SD_bbb.has_recursion, 0
	.set _ZN9rocsparseL41csrgemm_numeric_fill_block_per_row_kernelILj1024ELj32ELj2048ELj137ELj32EllfEEvT5_PKS1_S3_NS_24const_host_device_scalarIT6_EEPKT4_S3_PKS5_S9_S3_SB_S6_S9_S3_SB_S9_S3_PS5_21rocsparse_index_base_SD_SD_SD_bbb.has_indirect_call, 0
	.section	.AMDGPU.csdata,"",@progbits
; Kernel info:
; codeLenInByte = 4160
; TotalNumSgprs: 54
; NumVgprs: 24
; ScratchSize: 0
; MemoryBound: 0
; FloatMode: 240
; IeeeMode: 1
; LDSByteSize: 0 bytes/workgroup (compile time only)
; SGPRBlocks: 0
; VGPRBlocks: 1
; NumSGPRsForWavesPerEU: 54
; NumVGPRsForWavesPerEU: 24
; NamedBarCnt: 0
; Occupancy: 16
; WaveLimiterHint : 1
; COMPUTE_PGM_RSRC2:SCRATCH_EN: 0
; COMPUTE_PGM_RSRC2:USER_SGPR: 2
; COMPUTE_PGM_RSRC2:TRAP_HANDLER: 0
; COMPUTE_PGM_RSRC2:TGID_X_EN: 1
; COMPUTE_PGM_RSRC2:TGID_Y_EN: 0
; COMPUTE_PGM_RSRC2:TGID_Z_EN: 0
; COMPUTE_PGM_RSRC2:TIDIG_COMP_CNT: 0
	.section	.text._ZN9rocsparseL41csrgemm_numeric_fill_block_per_row_kernelILj1024ELj32ELj2048ELj137ELj64EllfEEvT5_PKS1_S3_NS_24const_host_device_scalarIT6_EEPKT4_S3_PKS5_S9_S3_SB_S6_S9_S3_SB_S9_S3_PS5_21rocsparse_index_base_SD_SD_SD_bbb,"axG",@progbits,_ZN9rocsparseL41csrgemm_numeric_fill_block_per_row_kernelILj1024ELj32ELj2048ELj137ELj64EllfEEvT5_PKS1_S3_NS_24const_host_device_scalarIT6_EEPKT4_S3_PKS5_S9_S3_SB_S6_S9_S3_SB_S9_S3_PS5_21rocsparse_index_base_SD_SD_SD_bbb,comdat
	.globl	_ZN9rocsparseL41csrgemm_numeric_fill_block_per_row_kernelILj1024ELj32ELj2048ELj137ELj64EllfEEvT5_PKS1_S3_NS_24const_host_device_scalarIT6_EEPKT4_S3_PKS5_S9_S3_SB_S6_S9_S3_SB_S9_S3_PS5_21rocsparse_index_base_SD_SD_SD_bbb ; -- Begin function _ZN9rocsparseL41csrgemm_numeric_fill_block_per_row_kernelILj1024ELj32ELj2048ELj137ELj64EllfEEvT5_PKS1_S3_NS_24const_host_device_scalarIT6_EEPKT4_S3_PKS5_S9_S3_SB_S6_S9_S3_SB_S9_S3_PS5_21rocsparse_index_base_SD_SD_SD_bbb
	.p2align	8
	.type	_ZN9rocsparseL41csrgemm_numeric_fill_block_per_row_kernelILj1024ELj32ELj2048ELj137ELj64EllfEEvT5_PKS1_S3_NS_24const_host_device_scalarIT6_EEPKT4_S3_PKS5_S9_S3_SB_S6_S9_S3_SB_S9_S3_PS5_21rocsparse_index_base_SD_SD_SD_bbb,@function
_ZN9rocsparseL41csrgemm_numeric_fill_block_per_row_kernelILj1024ELj32ELj2048ELj137ELj64EllfEEvT5_PKS1_S3_NS_24const_host_device_scalarIT6_EEPKT4_S3_PKS5_S9_S3_SB_S6_S9_S3_SB_S9_S3_PS5_21rocsparse_index_base_SD_SD_SD_bbb: ; @_ZN9rocsparseL41csrgemm_numeric_fill_block_per_row_kernelILj1024ELj32ELj2048ELj137ELj64EllfEEvT5_PKS1_S3_NS_24const_host_device_scalarIT6_EEPKT4_S3_PKS5_S9_S3_SB_S6_S9_S3_SB_S9_S3_PS5_21rocsparse_index_base_SD_SD_SD_bbb
; %bb.0:
	s_clause 0x3
	s_load_b32 s6, s[0:1], 0x98
	s_load_b64 s[2:3], s[0:1], 0x18
	s_load_b128 s[20:23], s[0:1], 0x88
	s_load_b64 s[4:5], s[0:1], 0x50
	s_wait_kmcnt 0x0
	s_and_b32 s8, 1, s6
	s_bitcmp1_b32 s6, 16
	s_cselect_b32 s7, -1, 0
	s_cmp_eq_u32 s8, 1
	s_cselect_b32 s38, -1, 0
	s_delay_alu instid0(SALU_CYCLE_1) | instskip(SKIP_2) | instid1(SALU_CYCLE_1)
	s_and_b32 s8, s38, exec_lo
	s_cselect_b32 s36, s2, 0
	s_xor_b32 s8, s38, -1
	s_or_b32 s8, s7, s8
	s_delay_alu instid0(SALU_CYCLE_1)
	s_and_b32 vcc_lo, exec_lo, s8
	s_cbranch_vccnz .LBB89_2
; %bb.1:
	s_load_b32 s36, s[2:3], 0x0
.LBB89_2:
	s_wait_xcnt 0x0
	s_load_b64 s[2:3], s[0:1], 0x8
	s_bitcmp1_b32 s6, 8
	s_cselect_b32 s37, -1, 0
	s_delay_alu instid0(SALU_CYCLE_1) | instskip(SKIP_2) | instid1(SALU_CYCLE_1)
	s_and_b32 s6, s37, exec_lo
	s_cselect_b32 s33, s4, 0
	s_xor_b32 s6, s37, -1
	s_or_b32 s6, s7, s6
	s_delay_alu instid0(SALU_CYCLE_1)
	s_and_b32 vcc_lo, exec_lo, s6
	s_cbranch_vccnz .LBB89_4
; %bb.3:
	s_load_b32 s33, s[4:5], 0x0
.LBB89_4:
	s_clause 0x4
	s_load_b64 s[30:31], s[0:1], 0x0
	s_load_b64 s[34:35], s[0:1], 0x10
	;; [unrolled: 1-line block ×3, first 2 shown]
	s_load_b256 s[12:19], s[0:1], 0x58
	s_load_b128 s[24:27], s[0:1], 0x40
	s_wait_xcnt 0x0
	s_load_b256 s[4:11], s[0:1], 0x20
	v_lshl_add_u32 v18, v0, 3, 0
	v_lshlrev_b32_e32 v1, 2, v0
	v_or_b32_e32 v19, 0xfffffc00, v0
	s_wait_xcnt 0x0
	s_mov_b32 s0, 0
	v_mov_b32_e32 v4, v18
	v_add3_u32 v20, v1, 0, 0x4000
	v_dual_mov_b32 v1, 0 :: v_dual_mov_b32 v5, v19
	s_delay_alu instid0(VALU_DEP_2)
	v_mov_b32_e32 v6, v20
	s_wait_kmcnt 0x0
	v_mov_b64_e32 v[2:3], s[30:31]
.LBB89_5:                               ; =>This Inner Loop Header: Depth=1
	s_delay_alu instid0(VALU_DEP_3)
	v_add_co_u32 v5, s1, 0x400, v5
	s_xor_b32 s1, s1, -1
	ds_store_b64 v4, v[2:3]
	ds_store_b32 v6, v1
	v_add_nc_u32_e32 v6, 0x1000, v6
	v_add_nc_u32_e32 v4, 0x2000, v4
	s_and_b32 s1, exec_lo, s1
	s_delay_alu instid0(SALU_CYCLE_1) | instskip(NEXT) | instid1(SALU_CYCLE_1)
	s_or_b32 s0, s1, s0
	s_and_not1_b32 exec_lo, exec_lo, s0
	s_cbranch_execnz .LBB89_5
; %bb.6:
	s_or_b32 exec_lo, exec_lo, s0
	s_wait_dscnt 0x0
	s_barrier_signal -1
	s_barrier_wait -1
	s_load_b64 s[0:1], s[2:3], 0x0
	s_wait_xcnt 0x0
	s_bfe_u32 s2, ttmp6, 0x4000c
	s_and_b32 s3, ttmp6, 15
	s_add_co_i32 s2, s2, 1
	s_getreg_b32 s39, hwreg(HW_REG_IB_STS2, 6, 4)
	s_mul_i32 s2, ttmp9, s2
	s_delay_alu instid0(SALU_CYCLE_1)
	s_add_co_i32 s3, s3, s2
	s_wait_kmcnt 0x0
	s_lshl_b64 s[0:1], s[0:1], 3
	s_cmp_eq_u32 s39, 0
	s_add_nc_u64 s[0:1], s[34:35], s[0:1]
	s_cselect_b32 s2, ttmp9, s3
	s_and_b32 vcc_lo, exec_lo, s38
	s_load_b64 s[34:35], s[0:1], s2 offset:0x0 scale_offset
	s_wait_xcnt 0x0
	s_mov_b32 s1, 0
	s_cbranch_vccz .LBB89_26
; %bb.7:
	s_wait_kmcnt 0x0
	s_lshl_b64 s[2:3], s[34:35], 3
	v_dual_mov_b32 v5, 0 :: v_dual_lshrrev_b32 v4, 5, v0
	s_add_nc_u64 s[2:3], s[4:5], s[2:3]
	s_mov_b32 s0, s20
	s_load_b128 s[40:43], s[2:3], 0x0
	s_mov_b32 s20, exec_lo
	v_sub_nc_u64_e64 v[2:3], v[4:5], s[0:1]
	s_wait_kmcnt 0x0
	s_delay_alu instid0(VALU_DEP_1)
	v_add_nc_u64_e32 v[2:3], s[40:41], v[2:3]
	s_sub_nc_u64 s[2:3], s[42:43], s[0:1]
	s_delay_alu instid0(VALU_DEP_1) | instid1(SALU_CYCLE_1)
	v_cmpx_gt_i64_e64 s[2:3], v[2:3]
	s_cbranch_execz .LBB89_25
; %bb.8:
	v_and_b32_e32 v4, 31, v0
	s_mov_b32 s5, 0
	s_mov_b32 s4, s21
	;; [unrolled: 1-line block ×3, first 2 shown]
	s_delay_alu instid0(VALU_DEP_1)
	v_sub_nc_u64_e64 v[4:5], v[4:5], s[4:5]
	s_branch .LBB89_10
.LBB89_9:                               ;   in Loop: Header=BB89_10 Depth=1
	s_or_b32 exec_lo, exec_lo, s38
	v_add_nc_u64_e32 v[2:3], 32, v[2:3]
	s_delay_alu instid0(VALU_DEP_1) | instskip(SKIP_1) | instid1(SALU_CYCLE_1)
	v_cmp_le_i64_e32 vcc_lo, s[2:3], v[2:3]
	s_or_b32 s21, vcc_lo, s21
	s_and_not1_b32 exec_lo, exec_lo, s21
	s_cbranch_execz .LBB89_25
.LBB89_10:                              ; =>This Loop Header: Depth=1
                                        ;     Child Loop BB89_14 Depth 2
                                        ;       Child Loop BB89_17 Depth 3
	v_lshl_add_u64 v[6:7], v[2:3], 3, s[6:7]
	s_mov_b32 s38, exec_lo
	global_load_b64 v[6:7], v[6:7], off
	s_wait_loadcnt 0x0
	s_wait_xcnt 0x0
	v_sub_nc_u64_e64 v[6:7], v[6:7], s[0:1]
	s_delay_alu instid0(VALU_DEP_1)
	v_lshl_add_u64 v[6:7], v[6:7], 3, s[10:11]
	global_load_b128 v[8:11], v[6:7], off
	s_wait_loadcnt 0x0
	s_wait_xcnt 0x0
	v_sub_nc_u64_e64 v[6:7], v[10:11], s[4:5]
	v_add_nc_u64_e32 v[8:9], v[8:9], v[4:5]
	s_delay_alu instid0(VALU_DEP_1)
	v_cmpx_lt_i64_e64 v[8:9], v[6:7]
	s_cbranch_execz .LBB89_9
; %bb.11:                               ;   in Loop: Header=BB89_10 Depth=1
	v_lshl_add_u64 v[10:11], v[2:3], 2, s[8:9]
	s_mov_b32 s39, 0
	global_load_b32 v1, v[10:11], off
	s_wait_loadcnt 0x0
	v_mul_f32_e32 v1, s36, v1
	s_branch .LBB89_14
.LBB89_12:                              ;   in Loop: Header=BB89_14 Depth=2
	s_or_b32 exec_lo, exec_lo, s41
.LBB89_13:                              ;   in Loop: Header=BB89_14 Depth=2
	s_delay_alu instid0(SALU_CYCLE_1)
	s_or_b32 exec_lo, exec_lo, s40
	s_wait_loadcnt 0x0
	v_mul_f32_e32 v11, v1, v21
	v_lshl_add_u32 v10, v10, 2, 0
	v_add_nc_u64_e32 v[8:9], 32, v[8:9]
	ds_add_f32 v10, v11 offset:16384
	v_cmp_ge_i64_e32 vcc_lo, v[8:9], v[6:7]
	s_or_b32 s39, vcc_lo, s39
	s_delay_alu instid0(SALU_CYCLE_1)
	s_and_not1_b32 exec_lo, exec_lo, s39
	s_cbranch_execz .LBB89_9
.LBB89_14:                              ;   Parent Loop BB89_10 Depth=1
                                        ; =>  This Loop Header: Depth=2
                                        ;       Child Loop BB89_17 Depth 3
	s_wait_xcnt 0x0
	v_lshl_add_u64 v[10:11], v[8:9], 3, s[24:25]
	v_lshl_add_u64 v[12:13], v[8:9], 2, s[26:27]
	s_mov_b32 s40, exec_lo
	global_load_b64 v[10:11], v[10:11], off
	global_load_b32 v21, v[12:13], off
	s_wait_loadcnt 0x1
	s_wait_xcnt 0x0
	v_sub_nc_u64_e64 v[12:13], v[10:11], s[4:5]
	s_delay_alu instid0(VALU_DEP_1) | instskip(NEXT) | instid1(VALU_DEP_1)
	v_mul_lo_u32 v10, 0x89, v12
	v_and_b32_e32 v10, 0x7ff, v10
	s_delay_alu instid0(VALU_DEP_1)
	v_lshl_add_u32 v22, v10, 3, 0
	ds_load_b64 v[16:17], v22
	s_wait_dscnt 0x0
	v_cmpx_ne_u64_e64 v[16:17], v[12:13]
	s_cbranch_execz .LBB89_13
; %bb.15:                               ;   in Loop: Header=BB89_14 Depth=2
	s_mov_b32 s41, 0
                                        ; implicit-def: $sgpr42
                                        ; implicit-def: $sgpr43
	s_branch .LBB89_17
.LBB89_16:                              ;   in Loop: Header=BB89_17 Depth=3
	s_or_b32 exec_lo, exec_lo, s46
	s_delay_alu instid0(SALU_CYCLE_1) | instskip(NEXT) | instid1(SALU_CYCLE_1)
	s_and_b32 s44, exec_lo, s45
	s_or_b32 s41, s44, s41
	s_and_not1_b32 s42, s42, exec_lo
	s_and_b32 s44, s43, exec_lo
	s_delay_alu instid0(SALU_CYCLE_1)
	s_or_b32 s42, s42, s44
	s_and_not1_b32 exec_lo, exec_lo, s41
	s_cbranch_execz .LBB89_23
.LBB89_17:                              ;   Parent Loop BB89_10 Depth=1
                                        ;     Parent Loop BB89_14 Depth=2
                                        ; =>    This Inner Loop Header: Depth=3
	v_mov_b64_e32 v[14:15], v[10:11]
	s_mov_b32 s44, 0
	s_mov_b32 s45, exec_lo
                                        ; implicit-def: $vgpr10_vgpr11
	v_cmpx_ne_u64_e64 s[30:31], v[16:17]
	s_xor_b32 s45, exec_lo, s45
; %bb.18:                               ;   in Loop: Header=BB89_17 Depth=3
	s_delay_alu instid0(VALU_DEP_2) | instskip(SKIP_1) | instid1(VALU_DEP_1)
	v_add_nc_u32_e32 v10, 1, v14
	s_mov_b32 s44, exec_lo
                                        ; implicit-def: $vgpr22
	v_and_b32_e32 v10, 0x7ff, v10
; %bb.19:                               ;   in Loop: Header=BB89_17 Depth=3
	s_and_not1_saveexec_b32 s45, s45
	s_cbranch_execz .LBB89_21
; %bb.20:                               ;   in Loop: Header=BB89_17 Depth=3
	v_mov_b64_e32 v[10:11], s[30:31]
	s_and_not1_b32 s44, s44, exec_lo
	ds_cmpstore_rtn_b64 v[10:11], v22, v[12:13], v[10:11]
	s_wait_dscnt 0x0
	v_cmp_ne_u64_e32 vcc_lo, s[30:31], v[10:11]
	v_mov_b64_e32 v[10:11], v[14:15]
	s_and_b32 s46, vcc_lo, exec_lo
	s_delay_alu instid0(SALU_CYCLE_1)
	s_or_b32 s44, s44, s46
.LBB89_21:                              ;   in Loop: Header=BB89_17 Depth=3
	s_or_b32 exec_lo, exec_lo, s45
	s_mov_b32 s45, -1
	s_or_b32 s43, s43, exec_lo
                                        ; implicit-def: $vgpr22
                                        ; implicit-def: $vgpr16_vgpr17
	s_and_saveexec_b32 s46, s44
	s_cbranch_execz .LBB89_16
; %bb.22:                               ;   in Loop: Header=BB89_17 Depth=3
	v_lshl_add_u32 v22, v10, 3, 0
	s_and_not1_b32 s43, s43, exec_lo
	ds_load_b64 v[16:17], v22
	s_wait_dscnt 0x0
	v_cmp_eq_u64_e32 vcc_lo, v[16:17], v[12:13]
	s_or_not1_b32 s45, vcc_lo, exec_lo
	s_branch .LBB89_16
.LBB89_23:                              ;   in Loop: Header=BB89_14 Depth=2
	s_or_b32 exec_lo, exec_lo, s41
	s_and_saveexec_b32 s41, s42
	s_delay_alu instid0(SALU_CYCLE_1)
	s_xor_b32 s41, exec_lo, s41
	s_cbranch_execz .LBB89_12
; %bb.24:                               ;   in Loop: Header=BB89_14 Depth=2
	v_mov_b32_e32 v10, v14
	s_branch .LBB89_12
.LBB89_25:
	s_or_b32 exec_lo, exec_lo, s20
.LBB89_26:
	s_delay_alu instid0(SALU_CYCLE_1)
	s_and_not1_b32 vcc_lo, exec_lo, s37
	s_cbranch_vccnz .LBB89_43
; %bb.27:
	s_wait_kmcnt 0x0
	s_lshl_b64 s[0:1], s[34:35], 3
	v_mov_b32_e32 v1, 0
	s_add_nc_u64 s[0:1], s[12:13], s[0:1]
	s_load_b128 s[4:7], s[0:1], 0x0
	s_wait_xcnt 0x0
	s_mov_b32 s1, 0
	s_mov_b32 s0, s23
	s_delay_alu instid0(SALU_CYCLE_1) | instskip(SKIP_1) | instid1(VALU_DEP_1)
	v_sub_nc_u64_e64 v[2:3], v[0:1], s[0:1]
	s_wait_kmcnt 0x0
	v_add_nc_u64_e32 v[2:3], s[4:5], v[2:3]
	s_sub_nc_u64 s[2:3], s[6:7], s[0:1]
	s_mov_b32 s4, exec_lo
	s_delay_alu instid0(VALU_DEP_1)
	v_cmpx_gt_i64_e64 s[2:3], v[2:3]
	s_cbranch_execz .LBB89_42
; %bb.28:
	s_mov_b32 s5, s1
	s_branch .LBB89_31
.LBB89_29:                              ;   in Loop: Header=BB89_31 Depth=1
	s_or_b32 exec_lo, exec_lo, s7
.LBB89_30:                              ;   in Loop: Header=BB89_31 Depth=1
	s_delay_alu instid0(SALU_CYCLE_1)
	s_or_b32 exec_lo, exec_lo, s6
	s_wait_loadcnt 0x0
	v_mul_f32_e32 v1, s33, v1
	v_lshl_add_u32 v4, v4, 2, 0
	v_add_nc_u64_e32 v[2:3], 0x400, v[2:3]
	ds_add_f32 v4, v1 offset:16384
	v_cmp_le_i64_e32 vcc_lo, s[2:3], v[2:3]
	s_or_b32 s5, vcc_lo, s5
	s_delay_alu instid0(SALU_CYCLE_1)
	s_and_not1_b32 exec_lo, exec_lo, s5
	s_cbranch_execz .LBB89_42
.LBB89_31:                              ; =>This Loop Header: Depth=1
                                        ;     Child Loop BB89_34 Depth 2
	v_lshl_add_u64 v[4:5], v[2:3], 3, s[14:15]
	v_lshl_add_u64 v[6:7], v[2:3], 2, s[16:17]
	s_mov_b32 s6, exec_lo
	global_load_b64 v[4:5], v[4:5], off
	global_load_b32 v1, v[6:7], off
	s_wait_loadcnt 0x1
	s_wait_xcnt 0x0
	v_sub_nc_u64_e64 v[6:7], v[4:5], s[0:1]
	s_delay_alu instid0(VALU_DEP_1) | instskip(NEXT) | instid1(VALU_DEP_1)
	v_mul_lo_u32 v4, 0x89, v6
	v_and_b32_e32 v4, 0x7ff, v4
	s_delay_alu instid0(VALU_DEP_1)
	v_lshl_add_u32 v12, v4, 3, 0
	ds_load_b64 v[10:11], v12
	s_wait_dscnt 0x0
	v_cmpx_ne_u64_e64 v[10:11], v[6:7]
	s_cbranch_execz .LBB89_30
; %bb.32:                               ;   in Loop: Header=BB89_31 Depth=1
	s_mov_b32 s7, 0
                                        ; implicit-def: $sgpr8
                                        ; implicit-def: $sgpr9
	s_branch .LBB89_34
.LBB89_33:                              ;   in Loop: Header=BB89_34 Depth=2
	s_or_b32 exec_lo, exec_lo, s12
	s_delay_alu instid0(SALU_CYCLE_1) | instskip(NEXT) | instid1(SALU_CYCLE_1)
	s_and_b32 s10, exec_lo, s11
	s_or_b32 s7, s10, s7
	s_and_not1_b32 s8, s8, exec_lo
	s_and_b32 s10, s9, exec_lo
	s_delay_alu instid0(SALU_CYCLE_1)
	s_or_b32 s8, s8, s10
	s_and_not1_b32 exec_lo, exec_lo, s7
	s_cbranch_execz .LBB89_40
.LBB89_34:                              ;   Parent Loop BB89_31 Depth=1
                                        ; =>  This Inner Loop Header: Depth=2
	v_mov_b64_e32 v[8:9], v[4:5]
	s_mov_b32 s10, 0
	s_mov_b32 s11, exec_lo
                                        ; implicit-def: $vgpr4_vgpr5
	v_cmpx_ne_u64_e64 s[30:31], v[10:11]
	s_xor_b32 s11, exec_lo, s11
; %bb.35:                               ;   in Loop: Header=BB89_34 Depth=2
	s_delay_alu instid0(VALU_DEP_2) | instskip(SKIP_1) | instid1(VALU_DEP_1)
	v_add_nc_u32_e32 v4, 1, v8
	s_mov_b32 s10, exec_lo
                                        ; implicit-def: $vgpr12
	v_and_b32_e32 v4, 0x7ff, v4
; %bb.36:                               ;   in Loop: Header=BB89_34 Depth=2
	s_and_not1_saveexec_b32 s11, s11
	s_cbranch_execz .LBB89_38
; %bb.37:                               ;   in Loop: Header=BB89_34 Depth=2
	v_mov_b64_e32 v[4:5], s[30:31]
	s_and_not1_b32 s10, s10, exec_lo
	ds_cmpstore_rtn_b64 v[4:5], v12, v[6:7], v[4:5]
	s_wait_dscnt 0x0
	v_cmp_ne_u64_e32 vcc_lo, s[30:31], v[4:5]
	v_mov_b64_e32 v[4:5], v[8:9]
	s_and_b32 s12, vcc_lo, exec_lo
	s_delay_alu instid0(SALU_CYCLE_1)
	s_or_b32 s10, s10, s12
.LBB89_38:                              ;   in Loop: Header=BB89_34 Depth=2
	s_or_b32 exec_lo, exec_lo, s11
	s_mov_b32 s11, -1
	s_or_b32 s9, s9, exec_lo
                                        ; implicit-def: $vgpr12
                                        ; implicit-def: $vgpr10_vgpr11
	s_and_saveexec_b32 s12, s10
	s_cbranch_execz .LBB89_33
; %bb.39:                               ;   in Loop: Header=BB89_34 Depth=2
	v_lshl_add_u32 v12, v4, 3, 0
	s_and_not1_b32 s9, s9, exec_lo
	ds_load_b64 v[10:11], v12
	s_wait_dscnt 0x0
	v_cmp_eq_u64_e32 vcc_lo, v[10:11], v[6:7]
	s_or_not1_b32 s11, vcc_lo, exec_lo
	s_branch .LBB89_33
.LBB89_40:                              ;   in Loop: Header=BB89_31 Depth=1
	s_or_b32 exec_lo, exec_lo, s7
	s_and_saveexec_b32 s7, s8
	s_delay_alu instid0(SALU_CYCLE_1)
	s_xor_b32 s7, exec_lo, s7
	s_cbranch_execz .LBB89_29
; %bb.41:                               ;   in Loop: Header=BB89_31 Depth=1
	v_mov_b32_e32 v4, v8
	s_branch .LBB89_29
.LBB89_42:
	s_or_b32 exec_lo, exec_lo, s4
.LBB89_43:
	v_mbcnt_lo_u32_b32 v1, -1, 0
	v_dual_mov_b32 v3, 0 :: v_dual_lshrrev_b32 v2, 3, v0
	v_mov_b64_e32 v[6:7], 0
	v_cmp_lt_u32_e64 s0, 63, v0
	s_delay_alu instid0(VALU_DEP_4) | instskip(NEXT) | instid1(VALU_DEP_4)
	v_xor_b32_e32 v1, 31, v1
	v_and_b32_e32 v2, 0x78, v2
	v_cmp_lt_u32_e64 s1, 0x7f, v0
	v_cmp_lt_u32_e64 s2, 0xbf, v0
	;; [unrolled: 1-line block ×3, first 2 shown]
	v_lshrrev_b32_e64 v4, v1, -1
	v_add_nc_u32_e32 v1, 0, v2
	v_cmp_lt_u32_e64 s4, 0x13f, v0
	v_cmp_lt_u32_e64 s5, 0x17f, v0
	;; [unrolled: 1-line block ×11, first 2 shown]
	s_mov_b32 s16, 0
	s_wait_dscnt 0x0
	v_cmp_eq_u32_e32 vcc_lo, 0x3ff, v0
	s_barrier_signal -1
	s_barrier_wait -1
	s_branch .LBB89_45
.LBB89_44:                              ;   in Loop: Header=BB89_45 Depth=1
	s_or_b32 exec_lo, exec_lo, s15
	s_wait_dscnt 0x0
	s_barrier_signal -1
	s_barrier_wait -1
	ds_load_b64 v[8:9], v3 offset:24696
	v_add_co_u32 v19, s15, 0x400, v19
	s_xor_b32 s15, s15, -1
	v_add_nc_u32_e32 v20, 0x1000, v20
	v_add_nc_u32_e32 v18, 0x2000, v18
	s_and_b32 s15, exec_lo, s15
	s_delay_alu instid0(SALU_CYCLE_1)
	s_or_b32 s16, s15, s16
	s_wait_dscnt 0x0
	v_add_nc_u64_e32 v[6:7], v[8:9], v[6:7]
	s_and_not1_b32 exec_lo, exec_lo, s16
	s_cbranch_execz .LBB89_79
.LBB89_45:                              ; =>This Inner Loop Header: Depth=1
	ds_load_b64 v[8:9], v18
	ds_load_b32 v5, v20
	s_wait_dscnt 0x0
	s_barrier_signal -1
	s_barrier_wait -1
	v_cmp_gt_i64_e64 s15, s[30:31], v[8:9]
	s_bcnt1_i32_b32 s17, s15
	s_delay_alu instid0(SALU_CYCLE_1) | instskip(NEXT) | instid1(VALU_DEP_1)
	v_dual_mov_b32 v2, s17 :: v_dual_bitop2_b32 v10, s15, v4 bitop3:0x40
	v_bcnt_u32_b32 v10, v10, 0
	ds_store_b64 v1, v[2:3] offset:24576
	s_wait_dscnt 0x0
	s_barrier_signal -1
	s_barrier_wait -1
	s_and_saveexec_b32 s17, s0
	s_cbranch_execnz .LBB89_62
; %bb.46:                               ;   in Loop: Header=BB89_45 Depth=1
	s_or_b32 exec_lo, exec_lo, s17
	s_and_saveexec_b32 s17, s1
	s_cbranch_execnz .LBB89_63
.LBB89_47:                              ;   in Loop: Header=BB89_45 Depth=1
	s_or_b32 exec_lo, exec_lo, s17
	s_and_saveexec_b32 s17, s2
	s_cbranch_execnz .LBB89_64
.LBB89_48:                              ;   in Loop: Header=BB89_45 Depth=1
	s_or_b32 exec_lo, exec_lo, s17
	s_and_saveexec_b32 s17, s3
	s_cbranch_execnz .LBB89_65
.LBB89_49:                              ;   in Loop: Header=BB89_45 Depth=1
	s_or_b32 exec_lo, exec_lo, s17
	s_and_saveexec_b32 s17, s4
	s_cbranch_execnz .LBB89_66
.LBB89_50:                              ;   in Loop: Header=BB89_45 Depth=1
	s_or_b32 exec_lo, exec_lo, s17
	s_and_saveexec_b32 s17, s5
	s_cbranch_execnz .LBB89_67
.LBB89_51:                              ;   in Loop: Header=BB89_45 Depth=1
	s_or_b32 exec_lo, exec_lo, s17
	s_and_saveexec_b32 s17, s6
	s_cbranch_execnz .LBB89_68
.LBB89_52:                              ;   in Loop: Header=BB89_45 Depth=1
	s_or_b32 exec_lo, exec_lo, s17
	s_and_saveexec_b32 s17, s7
	s_cbranch_execnz .LBB89_69
.LBB89_53:                              ;   in Loop: Header=BB89_45 Depth=1
	s_or_b32 exec_lo, exec_lo, s17
	s_and_saveexec_b32 s17, s8
	s_cbranch_execnz .LBB89_70
.LBB89_54:                              ;   in Loop: Header=BB89_45 Depth=1
	s_or_b32 exec_lo, exec_lo, s17
	s_and_saveexec_b32 s17, s9
	s_cbranch_execnz .LBB89_71
.LBB89_55:                              ;   in Loop: Header=BB89_45 Depth=1
	s_or_b32 exec_lo, exec_lo, s17
	s_and_saveexec_b32 s17, s10
	s_cbranch_execnz .LBB89_72
.LBB89_56:                              ;   in Loop: Header=BB89_45 Depth=1
	s_or_b32 exec_lo, exec_lo, s17
	s_and_saveexec_b32 s17, s11
	s_cbranch_execnz .LBB89_73
.LBB89_57:                              ;   in Loop: Header=BB89_45 Depth=1
	s_or_b32 exec_lo, exec_lo, s17
	s_and_saveexec_b32 s17, s12
	s_cbranch_execnz .LBB89_74
.LBB89_58:                              ;   in Loop: Header=BB89_45 Depth=1
	s_or_b32 exec_lo, exec_lo, s17
	s_and_saveexec_b32 s17, s13
	s_cbranch_execnz .LBB89_75
.LBB89_59:                              ;   in Loop: Header=BB89_45 Depth=1
	s_or_b32 exec_lo, exec_lo, s17
	s_and_saveexec_b32 s17, s14
	s_cbranch_execnz .LBB89_76
.LBB89_60:                              ;   in Loop: Header=BB89_45 Depth=1
	s_or_b32 exec_lo, exec_lo, s17
	v_ashrrev_i32_e32 v11, 31, v10
	s_and_saveexec_b32 s17, s15
	s_cbranch_execnz .LBB89_77
.LBB89_61:                              ;   in Loop: Header=BB89_45 Depth=1
	s_or_b32 exec_lo, exec_lo, s17
	s_and_saveexec_b32 s15, vcc_lo
	s_cbranch_execz .LBB89_44
	s_branch .LBB89_78
.LBB89_62:                              ;   in Loop: Header=BB89_45 Depth=1
	ds_load_b32 v2, v3 offset:24576
	s_wait_dscnt 0x0
	v_add_nc_u32_e32 v10, v2, v10
	s_or_b32 exec_lo, exec_lo, s17
	s_and_saveexec_b32 s17, s1
	s_cbranch_execz .LBB89_47
.LBB89_63:                              ;   in Loop: Header=BB89_45 Depth=1
	ds_load_b32 v2, v3 offset:24584
	s_wait_dscnt 0x0
	v_add_nc_u32_e32 v10, v10, v2
	s_or_b32 exec_lo, exec_lo, s17
	s_and_saveexec_b32 s17, s2
	s_cbranch_execz .LBB89_48
.LBB89_64:                              ;   in Loop: Header=BB89_45 Depth=1
	ds_load_b32 v2, v3 offset:24592
	s_wait_dscnt 0x0
	v_add_nc_u32_e32 v10, v10, v2
	s_or_b32 exec_lo, exec_lo, s17
	s_and_saveexec_b32 s17, s3
	s_cbranch_execz .LBB89_49
.LBB89_65:                              ;   in Loop: Header=BB89_45 Depth=1
	ds_load_b32 v2, v3 offset:24600
	s_wait_dscnt 0x0
	v_add_nc_u32_e32 v10, v10, v2
	s_or_b32 exec_lo, exec_lo, s17
	s_and_saveexec_b32 s17, s4
	s_cbranch_execz .LBB89_50
.LBB89_66:                              ;   in Loop: Header=BB89_45 Depth=1
	ds_load_b32 v2, v3 offset:24608
	s_wait_dscnt 0x0
	v_add_nc_u32_e32 v10, v10, v2
	s_or_b32 exec_lo, exec_lo, s17
	s_and_saveexec_b32 s17, s5
	s_cbranch_execz .LBB89_51
.LBB89_67:                              ;   in Loop: Header=BB89_45 Depth=1
	ds_load_b32 v2, v3 offset:24616
	s_wait_dscnt 0x0
	v_add_nc_u32_e32 v10, v10, v2
	s_or_b32 exec_lo, exec_lo, s17
	s_and_saveexec_b32 s17, s6
	s_cbranch_execz .LBB89_52
.LBB89_68:                              ;   in Loop: Header=BB89_45 Depth=1
	ds_load_b32 v2, v3 offset:24624
	s_wait_dscnt 0x0
	v_add_nc_u32_e32 v10, v10, v2
	s_or_b32 exec_lo, exec_lo, s17
	s_and_saveexec_b32 s17, s7
	s_cbranch_execz .LBB89_53
.LBB89_69:                              ;   in Loop: Header=BB89_45 Depth=1
	ds_load_b32 v2, v3 offset:24632
	s_wait_dscnt 0x0
	v_add_nc_u32_e32 v10, v10, v2
	s_or_b32 exec_lo, exec_lo, s17
	s_and_saveexec_b32 s17, s8
	s_cbranch_execz .LBB89_54
.LBB89_70:                              ;   in Loop: Header=BB89_45 Depth=1
	ds_load_b32 v2, v3 offset:24640
	s_wait_dscnt 0x0
	v_add_nc_u32_e32 v10, v10, v2
	s_or_b32 exec_lo, exec_lo, s17
	s_and_saveexec_b32 s17, s9
	s_cbranch_execz .LBB89_55
.LBB89_71:                              ;   in Loop: Header=BB89_45 Depth=1
	ds_load_b32 v2, v3 offset:24648
	s_wait_dscnt 0x0
	v_add_nc_u32_e32 v10, v10, v2
	s_or_b32 exec_lo, exec_lo, s17
	s_and_saveexec_b32 s17, s10
	s_cbranch_execz .LBB89_56
.LBB89_72:                              ;   in Loop: Header=BB89_45 Depth=1
	ds_load_b32 v2, v3 offset:24656
	s_wait_dscnt 0x0
	v_add_nc_u32_e32 v10, v10, v2
	s_or_b32 exec_lo, exec_lo, s17
	s_and_saveexec_b32 s17, s11
	s_cbranch_execz .LBB89_57
.LBB89_73:                              ;   in Loop: Header=BB89_45 Depth=1
	ds_load_b32 v2, v3 offset:24664
	s_wait_dscnt 0x0
	v_add_nc_u32_e32 v10, v10, v2
	s_or_b32 exec_lo, exec_lo, s17
	s_and_saveexec_b32 s17, s12
	s_cbranch_execz .LBB89_58
.LBB89_74:                              ;   in Loop: Header=BB89_45 Depth=1
	ds_load_b32 v2, v3 offset:24672
	s_wait_dscnt 0x0
	v_add_nc_u32_e32 v10, v10, v2
	s_or_b32 exec_lo, exec_lo, s17
	s_and_saveexec_b32 s17, s13
	s_cbranch_execz .LBB89_59
.LBB89_75:                              ;   in Loop: Header=BB89_45 Depth=1
	ds_load_b32 v2, v3 offset:24680
	s_wait_dscnt 0x0
	v_add_nc_u32_e32 v10, v10, v2
	s_or_b32 exec_lo, exec_lo, s17
	s_and_saveexec_b32 s17, s14
	s_cbranch_execz .LBB89_60
.LBB89_76:                              ;   in Loop: Header=BB89_45 Depth=1
	ds_load_b32 v2, v3 offset:24688
	s_wait_dscnt 0x0
	v_add_nc_u32_e32 v10, v10, v2
	s_or_b32 exec_lo, exec_lo, s17
	s_delay_alu instid0(VALU_DEP_1)
	v_ashrrev_i32_e32 v11, 31, v10
	s_and_saveexec_b32 s17, s15
	s_cbranch_execz .LBB89_61
.LBB89_77:                              ;   in Loop: Header=BB89_45 Depth=1
	v_add3_u32 v2, v6, -1, v10
	v_add_nc_u32_e32 v12, v6, v10
	s_delay_alu instid0(VALU_DEP_2) | instskip(NEXT) | instid1(VALU_DEP_2)
	v_lshl_add_u32 v2, v2, 3, 0
	v_lshl_add_u32 v12, v12, 2, 0
	ds_store_b64 v2, v[8:9]
	ds_store_b32 v12, v5 offset:16380
	s_or_b32 exec_lo, exec_lo, s17
	s_and_saveexec_b32 s15, vcc_lo
	s_cbranch_execz .LBB89_44
.LBB89_78:                              ;   in Loop: Header=BB89_45 Depth=1
	ds_store_b64 v3, v[10:11] offset:24696
	s_branch .LBB89_44
.LBB89_79:
	s_or_b32 exec_lo, exec_lo, s16
	s_wait_kmcnt 0x0
	s_lshl_b64 s[0:1], s[34:35], 3
	v_mov_b32_e32 v1, 0
	s_add_nc_u64 s[4:5], s[18:19], s[0:1]
	s_mov_b32 s6, exec_lo
	s_load_b128 s[0:3], s[4:5], 0x0
	s_wait_kmcnt 0x0
	s_sub_nc_u64 s[4:5], s[2:3], s[0:1]
	s_delay_alu instid0(SALU_CYCLE_1)
	v_cmpx_gt_i64_e64 s[4:5], v[0:1]
	s_cbranch_execz .LBB89_89
; %bb.80:
	s_sub_nc_u64 s[8:9], s[0:1], s[2:3]
	s_and_b64 s[6:7], s[4:5], 7
	v_cmp_lt_u64_e64 s10, s[8:9], -7
	s_and_b64 s[2:3], s[4:5], -8
	s_mov_b32 s23, 0
	s_cmp_lg_u64 s[6:7], 0
	s_sub_nc_u64 s[0:1], s[0:1], s[22:23]
	s_cselect_b32 s11, -1, 0
	s_mov_b32 s12, 0
	s_branch .LBB89_82
.LBB89_81:                              ;   in Loop: Header=BB89_82 Depth=1
	v_add_nc_u64_e32 v[0:1], 0x400, v[0:1]
	s_wait_dscnt 0x1
	s_delay_alu instid0(VALU_DEP_2)
	v_lshl_add_u64 v[2:3], v[4:5], 2, s[28:29]
	s_wait_dscnt 0x0
	global_store_b32 v[2:3], v6, off
	v_cmp_le_i64_e32 vcc_lo, s[4:5], v[0:1]
	s_or_b32 s12, vcc_lo, s12
	s_wait_xcnt 0x0
	s_and_not1_b32 exec_lo, exec_lo, s12
	s_cbranch_execz .LBB89_89
.LBB89_82:                              ; =>This Loop Header: Depth=1
                                        ;     Child Loop BB89_84 Depth 2
                                        ;     Child Loop BB89_88 Depth 2
	v_lshl_add_u32 v2, v0, 3, 0
	v_lshlrev_b32_e32 v3, 2, v0
	s_and_not1_b32 vcc_lo, exec_lo, s10
	s_mov_b64 s[8:9], 0
	s_delay_alu instid0(VALU_DEP_1)
	v_sub_nc_u32_e32 v4, v2, v3
	ds_load_b64 v[2:3], v2
	ds_load_b32 v6, v4 offset:16384
	v_mov_b64_e32 v[4:5], s[0:1]
	s_cbranch_vccnz .LBB89_86
; %bb.83:                               ;   in Loop: Header=BB89_82 Depth=1
	v_mov_b64_e32 v[4:5], s[0:1]
	s_mov_b32 s13, 0
.LBB89_84:                              ;   Parent Loop BB89_82 Depth=1
                                        ; =>  This Inner Loop Header: Depth=2
	s_delay_alu instid0(SALU_CYCLE_1)
	v_dual_mov_b32 v7, s13 :: v_dual_mov_b32 v17, s23
	s_add_nc_u64 s[8:9], s[8:9], 8
	s_add_co_i32 s13, s13, 64
	s_cmp_eq_u64 s[2:3], s[8:9]
	ds_load_2addr_b64 v[8:11], v7 offset1:1
	ds_load_2addr_b64 v[12:15], v7 offset0:2 offset1:3
	s_wait_dscnt 0x1
	v_cmp_gt_i64_e32 vcc_lo, v[2:3], v[8:9]
	v_cndmask_b32_e64 v16, 0, 1, vcc_lo
	v_cmp_gt_i64_e32 vcc_lo, v[2:3], v[10:11]
	ds_load_2addr_b64 v[8:11], v7 offset0:4 offset1:5
	v_add_nc_u64_e32 v[4:5], v[4:5], v[16:17]
	v_cndmask_b32_e64 v18, 0, 1, vcc_lo
	s_wait_dscnt 0x1
	v_cmp_gt_i64_e32 vcc_lo, v[2:3], v[12:13]
	v_cndmask_b32_e64 v16, 0, 1, vcc_lo
	v_cmp_gt_i64_e32 vcc_lo, v[2:3], v[14:15]
	ds_load_2addr_b64 v[12:15], v7 offset0:6 offset1:7
	v_mov_b32_e32 v19, s23
	s_delay_alu instid0(VALU_DEP_1) | instskip(SKIP_4) | instid1(VALU_DEP_4)
	v_add_nc_u64_e32 v[4:5], v[4:5], v[18:19]
	v_cndmask_b32_e64 v18, 0, 1, vcc_lo
	s_wait_dscnt 0x1
	v_cmp_gt_i64_e32 vcc_lo, v[2:3], v[8:9]
	v_mov_b32_e32 v9, s23
	v_add_nc_u64_e32 v[4:5], v[4:5], v[16:17]
	v_cndmask_b32_e64 v16, 0, 1, vcc_lo
	v_cmp_gt_i64_e32 vcc_lo, v[2:3], v[10:11]
	v_mov_b32_e32 v11, s23
	s_delay_alu instid0(VALU_DEP_4) | instskip(SKIP_3) | instid1(VALU_DEP_3)
	v_add_nc_u64_e32 v[4:5], v[4:5], v[18:19]
	v_cndmask_b32_e64 v8, 0, 1, vcc_lo
	s_wait_dscnt 0x0
	v_cmp_gt_i64_e32 vcc_lo, v[2:3], v[12:13]
	v_add_nc_u64_e32 v[4:5], v[4:5], v[16:17]
	v_cndmask_b32_e64 v10, 0, 1, vcc_lo
	v_cmp_gt_i64_e32 vcc_lo, v[2:3], v[14:15]
	s_delay_alu instid0(VALU_DEP_3) | instskip(SKIP_1) | instid1(VALU_DEP_2)
	v_add_nc_u64_e32 v[4:5], v[4:5], v[8:9]
	v_cndmask_b32_e64 v8, 0, 1, vcc_lo
	v_add_nc_u64_e32 v[4:5], v[4:5], v[10:11]
	s_delay_alu instid0(VALU_DEP_1)
	v_add_nc_u64_e32 v[4:5], v[4:5], v[8:9]
	s_cbranch_scc0 .LBB89_84
; %bb.85:                               ;   in Loop: Header=BB89_82 Depth=1
	s_mov_b64 s[8:9], s[2:3]
.LBB89_86:                              ;   in Loop: Header=BB89_82 Depth=1
	s_and_not1_b32 vcc_lo, exec_lo, s11
	s_cbranch_vccnz .LBB89_81
; %bb.87:                               ;   in Loop: Header=BB89_82 Depth=1
	s_lshl_b32 s8, s8, 3
	s_delay_alu instid0(SALU_CYCLE_1)
	s_add_co_i32 s13, s8, 0
	s_mov_b64 s[8:9], s[6:7]
.LBB89_88:                              ;   Parent Loop BB89_82 Depth=1
                                        ; =>  This Inner Loop Header: Depth=2
	v_dual_mov_b32 v7, s13 :: v_dual_mov_b32 v11, s23
	s_add_nc_u64 s[8:9], s[8:9], -1
	s_add_co_i32 s13, s13, 8
	s_cmp_lg_u64 s[8:9], 0
	ds_load_b64 v[8:9], v7
	s_wait_dscnt 0x0
	v_cmp_gt_i64_e32 vcc_lo, v[2:3], v[8:9]
	v_cndmask_b32_e64 v10, 0, 1, vcc_lo
	s_delay_alu instid0(VALU_DEP_1)
	v_add_nc_u64_e32 v[4:5], v[4:5], v[10:11]
	s_cbranch_scc1 .LBB89_88
	s_branch .LBB89_81
.LBB89_89:
	s_endpgm
	.section	.rodata,"a",@progbits
	.p2align	6, 0x0
	.amdhsa_kernel _ZN9rocsparseL41csrgemm_numeric_fill_block_per_row_kernelILj1024ELj32ELj2048ELj137ELj64EllfEEvT5_PKS1_S3_NS_24const_host_device_scalarIT6_EEPKT4_S3_PKS5_S9_S3_SB_S6_S9_S3_SB_S9_S3_PS5_21rocsparse_index_base_SD_SD_SD_bbb
		.amdhsa_group_segment_fixed_size 0
		.amdhsa_private_segment_fixed_size 0
		.amdhsa_kernarg_size 156
		.amdhsa_user_sgpr_count 2
		.amdhsa_user_sgpr_dispatch_ptr 0
		.amdhsa_user_sgpr_queue_ptr 0
		.amdhsa_user_sgpr_kernarg_segment_ptr 1
		.amdhsa_user_sgpr_dispatch_id 0
		.amdhsa_user_sgpr_kernarg_preload_length 0
		.amdhsa_user_sgpr_kernarg_preload_offset 0
		.amdhsa_user_sgpr_private_segment_size 0
		.amdhsa_wavefront_size32 1
		.amdhsa_uses_dynamic_stack 0
		.amdhsa_enable_private_segment 0
		.amdhsa_system_sgpr_workgroup_id_x 1
		.amdhsa_system_sgpr_workgroup_id_y 0
		.amdhsa_system_sgpr_workgroup_id_z 0
		.amdhsa_system_sgpr_workgroup_info 0
		.amdhsa_system_vgpr_workitem_id 0
		.amdhsa_next_free_vgpr 23
		.amdhsa_next_free_sgpr 47
		.amdhsa_named_barrier_count 0
		.amdhsa_reserve_vcc 1
		.amdhsa_float_round_mode_32 0
		.amdhsa_float_round_mode_16_64 0
		.amdhsa_float_denorm_mode_32 3
		.amdhsa_float_denorm_mode_16_64 3
		.amdhsa_fp16_overflow 0
		.amdhsa_memory_ordered 1
		.amdhsa_forward_progress 1
		.amdhsa_inst_pref_size 27
		.amdhsa_round_robin_scheduling 0
		.amdhsa_exception_fp_ieee_invalid_op 0
		.amdhsa_exception_fp_denorm_src 0
		.amdhsa_exception_fp_ieee_div_zero 0
		.amdhsa_exception_fp_ieee_overflow 0
		.amdhsa_exception_fp_ieee_underflow 0
		.amdhsa_exception_fp_ieee_inexact 0
		.amdhsa_exception_int_div_zero 0
	.end_amdhsa_kernel
	.section	.text._ZN9rocsparseL41csrgemm_numeric_fill_block_per_row_kernelILj1024ELj32ELj2048ELj137ELj64EllfEEvT5_PKS1_S3_NS_24const_host_device_scalarIT6_EEPKT4_S3_PKS5_S9_S3_SB_S6_S9_S3_SB_S9_S3_PS5_21rocsparse_index_base_SD_SD_SD_bbb,"axG",@progbits,_ZN9rocsparseL41csrgemm_numeric_fill_block_per_row_kernelILj1024ELj32ELj2048ELj137ELj64EllfEEvT5_PKS1_S3_NS_24const_host_device_scalarIT6_EEPKT4_S3_PKS5_S9_S3_SB_S6_S9_S3_SB_S9_S3_PS5_21rocsparse_index_base_SD_SD_SD_bbb,comdat
.Lfunc_end89:
	.size	_ZN9rocsparseL41csrgemm_numeric_fill_block_per_row_kernelILj1024ELj32ELj2048ELj137ELj64EllfEEvT5_PKS1_S3_NS_24const_host_device_scalarIT6_EEPKT4_S3_PKS5_S9_S3_SB_S6_S9_S3_SB_S9_S3_PS5_21rocsparse_index_base_SD_SD_SD_bbb, .Lfunc_end89-_ZN9rocsparseL41csrgemm_numeric_fill_block_per_row_kernelILj1024ELj32ELj2048ELj137ELj64EllfEEvT5_PKS1_S3_NS_24const_host_device_scalarIT6_EEPKT4_S3_PKS5_S9_S3_SB_S6_S9_S3_SB_S9_S3_PS5_21rocsparse_index_base_SD_SD_SD_bbb
                                        ; -- End function
	.set _ZN9rocsparseL41csrgemm_numeric_fill_block_per_row_kernelILj1024ELj32ELj2048ELj137ELj64EllfEEvT5_PKS1_S3_NS_24const_host_device_scalarIT6_EEPKT4_S3_PKS5_S9_S3_SB_S6_S9_S3_SB_S9_S3_PS5_21rocsparse_index_base_SD_SD_SD_bbb.num_vgpr, 23
	.set _ZN9rocsparseL41csrgemm_numeric_fill_block_per_row_kernelILj1024ELj32ELj2048ELj137ELj64EllfEEvT5_PKS1_S3_NS_24const_host_device_scalarIT6_EEPKT4_S3_PKS5_S9_S3_SB_S6_S9_S3_SB_S9_S3_PS5_21rocsparse_index_base_SD_SD_SD_bbb.num_agpr, 0
	.set _ZN9rocsparseL41csrgemm_numeric_fill_block_per_row_kernelILj1024ELj32ELj2048ELj137ELj64EllfEEvT5_PKS1_S3_NS_24const_host_device_scalarIT6_EEPKT4_S3_PKS5_S9_S3_SB_S6_S9_S3_SB_S9_S3_PS5_21rocsparse_index_base_SD_SD_SD_bbb.numbered_sgpr, 47
	.set _ZN9rocsparseL41csrgemm_numeric_fill_block_per_row_kernelILj1024ELj32ELj2048ELj137ELj64EllfEEvT5_PKS1_S3_NS_24const_host_device_scalarIT6_EEPKT4_S3_PKS5_S9_S3_SB_S6_S9_S3_SB_S9_S3_PS5_21rocsparse_index_base_SD_SD_SD_bbb.num_named_barrier, 0
	.set _ZN9rocsparseL41csrgemm_numeric_fill_block_per_row_kernelILj1024ELj32ELj2048ELj137ELj64EllfEEvT5_PKS1_S3_NS_24const_host_device_scalarIT6_EEPKT4_S3_PKS5_S9_S3_SB_S6_S9_S3_SB_S9_S3_PS5_21rocsparse_index_base_SD_SD_SD_bbb.private_seg_size, 0
	.set _ZN9rocsparseL41csrgemm_numeric_fill_block_per_row_kernelILj1024ELj32ELj2048ELj137ELj64EllfEEvT5_PKS1_S3_NS_24const_host_device_scalarIT6_EEPKT4_S3_PKS5_S9_S3_SB_S6_S9_S3_SB_S9_S3_PS5_21rocsparse_index_base_SD_SD_SD_bbb.uses_vcc, 1
	.set _ZN9rocsparseL41csrgemm_numeric_fill_block_per_row_kernelILj1024ELj32ELj2048ELj137ELj64EllfEEvT5_PKS1_S3_NS_24const_host_device_scalarIT6_EEPKT4_S3_PKS5_S9_S3_SB_S6_S9_S3_SB_S9_S3_PS5_21rocsparse_index_base_SD_SD_SD_bbb.uses_flat_scratch, 0
	.set _ZN9rocsparseL41csrgemm_numeric_fill_block_per_row_kernelILj1024ELj32ELj2048ELj137ELj64EllfEEvT5_PKS1_S3_NS_24const_host_device_scalarIT6_EEPKT4_S3_PKS5_S9_S3_SB_S6_S9_S3_SB_S9_S3_PS5_21rocsparse_index_base_SD_SD_SD_bbb.has_dyn_sized_stack, 0
	.set _ZN9rocsparseL41csrgemm_numeric_fill_block_per_row_kernelILj1024ELj32ELj2048ELj137ELj64EllfEEvT5_PKS1_S3_NS_24const_host_device_scalarIT6_EEPKT4_S3_PKS5_S9_S3_SB_S6_S9_S3_SB_S9_S3_PS5_21rocsparse_index_base_SD_SD_SD_bbb.has_recursion, 0
	.set _ZN9rocsparseL41csrgemm_numeric_fill_block_per_row_kernelILj1024ELj32ELj2048ELj137ELj64EllfEEvT5_PKS1_S3_NS_24const_host_device_scalarIT6_EEPKT4_S3_PKS5_S9_S3_SB_S6_S9_S3_SB_S9_S3_PS5_21rocsparse_index_base_SD_SD_SD_bbb.has_indirect_call, 0
	.section	.AMDGPU.csdata,"",@progbits
; Kernel info:
; codeLenInByte = 3340
; TotalNumSgprs: 49
; NumVgprs: 23
; ScratchSize: 0
; MemoryBound: 0
; FloatMode: 240
; IeeeMode: 1
; LDSByteSize: 0 bytes/workgroup (compile time only)
; SGPRBlocks: 0
; VGPRBlocks: 1
; NumSGPRsForWavesPerEU: 49
; NumVGPRsForWavesPerEU: 23
; NamedBarCnt: 0
; Occupancy: 16
; WaveLimiterHint : 1
; COMPUTE_PGM_RSRC2:SCRATCH_EN: 0
; COMPUTE_PGM_RSRC2:USER_SGPR: 2
; COMPUTE_PGM_RSRC2:TRAP_HANDLER: 0
; COMPUTE_PGM_RSRC2:TGID_X_EN: 1
; COMPUTE_PGM_RSRC2:TGID_Y_EN: 0
; COMPUTE_PGM_RSRC2:TGID_Z_EN: 0
; COMPUTE_PGM_RSRC2:TIDIG_COMP_CNT: 0
	.section	.text._ZN9rocsparseL41csrgemm_numeric_fill_block_per_row_kernelILj1024ELj64ELj4096ELj137ELj32EllfEEvT5_PKS1_S3_NS_24const_host_device_scalarIT6_EEPKT4_S3_PKS5_S9_S3_SB_S6_S9_S3_SB_S9_S3_PS5_21rocsparse_index_base_SD_SD_SD_bbb,"axG",@progbits,_ZN9rocsparseL41csrgemm_numeric_fill_block_per_row_kernelILj1024ELj64ELj4096ELj137ELj32EllfEEvT5_PKS1_S3_NS_24const_host_device_scalarIT6_EEPKT4_S3_PKS5_S9_S3_SB_S6_S9_S3_SB_S9_S3_PS5_21rocsparse_index_base_SD_SD_SD_bbb,comdat
	.globl	_ZN9rocsparseL41csrgemm_numeric_fill_block_per_row_kernelILj1024ELj64ELj4096ELj137ELj32EllfEEvT5_PKS1_S3_NS_24const_host_device_scalarIT6_EEPKT4_S3_PKS5_S9_S3_SB_S6_S9_S3_SB_S9_S3_PS5_21rocsparse_index_base_SD_SD_SD_bbb ; -- Begin function _ZN9rocsparseL41csrgemm_numeric_fill_block_per_row_kernelILj1024ELj64ELj4096ELj137ELj32EllfEEvT5_PKS1_S3_NS_24const_host_device_scalarIT6_EEPKT4_S3_PKS5_S9_S3_SB_S6_S9_S3_SB_S9_S3_PS5_21rocsparse_index_base_SD_SD_SD_bbb
	.p2align	8
	.type	_ZN9rocsparseL41csrgemm_numeric_fill_block_per_row_kernelILj1024ELj64ELj4096ELj137ELj32EllfEEvT5_PKS1_S3_NS_24const_host_device_scalarIT6_EEPKT4_S3_PKS5_S9_S3_SB_S6_S9_S3_SB_S9_S3_PS5_21rocsparse_index_base_SD_SD_SD_bbb,@function
_ZN9rocsparseL41csrgemm_numeric_fill_block_per_row_kernelILj1024ELj64ELj4096ELj137ELj32EllfEEvT5_PKS1_S3_NS_24const_host_device_scalarIT6_EEPKT4_S3_PKS5_S9_S3_SB_S6_S9_S3_SB_S9_S3_PS5_21rocsparse_index_base_SD_SD_SD_bbb: ; @_ZN9rocsparseL41csrgemm_numeric_fill_block_per_row_kernelILj1024ELj64ELj4096ELj137ELj32EllfEEvT5_PKS1_S3_NS_24const_host_device_scalarIT6_EEPKT4_S3_PKS5_S9_S3_SB_S6_S9_S3_SB_S9_S3_PS5_21rocsparse_index_base_SD_SD_SD_bbb
; %bb.0:
	s_clause 0x3
	s_load_b32 s6, s[0:1], 0x98
	s_load_b64 s[2:3], s[0:1], 0x18
	s_load_b128 s[44:47], s[0:1], 0x88
	s_load_b64 s[4:5], s[0:1], 0x50
	s_wait_kmcnt 0x0
	s_and_b32 s8, 1, s6
	s_bitcmp1_b32 s6, 16
	s_cselect_b32 s7, -1, 0
	s_cmp_eq_u32 s8, 1
	s_cselect_b32 s21, -1, 0
	s_delay_alu instid0(SALU_CYCLE_1) | instskip(SKIP_2) | instid1(SALU_CYCLE_1)
	s_and_b32 s8, s21, exec_lo
	s_cselect_b32 s19, s2, 0
	s_xor_b32 s8, s21, -1
	s_or_b32 s8, s7, s8
	s_delay_alu instid0(SALU_CYCLE_1)
	s_and_b32 vcc_lo, exec_lo, s8
	s_cbranch_vccnz .LBB90_2
; %bb.1:
	s_load_b32 s19, s[2:3], 0x0
.LBB90_2:
	s_wait_xcnt 0x0
	s_load_b64 s[2:3], s[0:1], 0x8
	s_bitcmp1_b32 s6, 8
	s_cselect_b32 s20, -1, 0
	s_delay_alu instid0(SALU_CYCLE_1) | instskip(SKIP_2) | instid1(SALU_CYCLE_1)
	s_and_b32 s6, s20, exec_lo
	s_cselect_b32 s18, s4, 0
	s_xor_b32 s6, s20, -1
	s_or_b32 s6, s7, s6
	s_delay_alu instid0(SALU_CYCLE_1)
	s_and_b32 vcc_lo, exec_lo, s6
	s_cbranch_vccnz .LBB90_4
; %bb.3:
	s_load_b32 s18, s[4:5], 0x0
.LBB90_4:
	s_clause 0x4
	s_load_b64 s[48:49], s[0:1], 0x0
	s_load_b64 s[16:17], s[0:1], 0x10
	;; [unrolled: 1-line block ×3, first 2 shown]
	s_load_b256 s[36:43], s[0:1], 0x58
	s_load_b128 s[12:15], s[0:1], 0x40
	s_wait_xcnt 0x0
	s_load_b256 s[4:11], s[0:1], 0x20
	v_lshl_add_u32 v18, v0, 3, 0
	v_lshlrev_b32_e32 v1, 2, v0
	v_or_b32_e32 v19, 0xfffffc00, v0
	s_wait_xcnt 0x0
	s_mov_b32 s0, 0
	v_mov_b32_e32 v4, v18
	v_add3_u32 v20, v1, 0, 0x8000
	v_dual_mov_b32 v1, 0 :: v_dual_mov_b32 v5, v19
	s_delay_alu instid0(VALU_DEP_2)
	v_mov_b32_e32 v6, v20
	s_wait_kmcnt 0x0
	v_mov_b64_e32 v[2:3], s[48:49]
.LBB90_5:                               ; =>This Inner Loop Header: Depth=1
	s_delay_alu instid0(VALU_DEP_3)
	v_add_nc_u32_e32 v5, 0x400, v5
	ds_store_b64 v4, v[2:3]
	ds_store_b32 v6, v1
	v_add_nc_u32_e32 v6, 0x1000, v6
	v_add_nc_u32_e32 v4, 0x2000, v4
	v_cmp_lt_u32_e32 vcc_lo, 0xbff, v5
	s_or_b32 s0, vcc_lo, s0
	s_delay_alu instid0(SALU_CYCLE_1)
	s_and_not1_b32 exec_lo, exec_lo, s0
	s_cbranch_execnz .LBB90_5
; %bb.6:
	s_or_b32 exec_lo, exec_lo, s0
	s_wait_dscnt 0x0
	s_barrier_signal -1
	s_barrier_wait -1
	s_load_b64 s[0:1], s[2:3], 0x0
	s_wait_xcnt 0x0
	s_bfe_u32 s2, ttmp6, 0x4000c
	s_and_b32 s3, ttmp6, 15
	s_add_co_i32 s2, s2, 1
	s_getreg_b32 s22, hwreg(HW_REG_IB_STS2, 6, 4)
	s_mul_i32 s2, ttmp9, s2
	s_delay_alu instid0(SALU_CYCLE_1)
	s_add_co_i32 s3, s3, s2
	s_wait_kmcnt 0x0
	s_lshl_b64 s[0:1], s[0:1], 3
	s_cmp_eq_u32 s22, 0
	s_add_nc_u64 s[0:1], s[16:17], s[0:1]
	s_cselect_b32 s2, ttmp9, s3
	s_and_b32 vcc_lo, exec_lo, s21
	s_load_b64 s[50:51], s[0:1], s2 offset:0x0 scale_offset
	s_wait_xcnt 0x0
	s_mov_b32 s1, 0
	s_cbranch_vccz .LBB90_26
; %bb.7:
	s_wait_kmcnt 0x0
	s_lshl_b64 s[2:3], s[50:51], 3
	v_dual_mov_b32 v5, 0 :: v_dual_lshrrev_b32 v4, 6, v0
	s_add_nc_u64 s[2:3], s[4:5], s[2:3]
	s_mov_b32 s0, s44
	s_load_b128 s[24:27], s[2:3], 0x0
	s_mov_b32 s16, exec_lo
	v_sub_nc_u64_e64 v[2:3], v[4:5], s[0:1]
	s_wait_kmcnt 0x0
	s_delay_alu instid0(VALU_DEP_1)
	v_add_nc_u64_e32 v[2:3], s[24:25], v[2:3]
	s_sub_nc_u64 s[2:3], s[26:27], s[0:1]
	s_delay_alu instid0(VALU_DEP_1) | instid1(SALU_CYCLE_1)
	v_cmpx_gt_i64_e64 s[2:3], v[2:3]
	s_cbranch_execz .LBB90_25
; %bb.8:
	v_and_b32_e32 v4, 63, v0
	s_mov_b32 s5, 0
	s_mov_b32 s4, s45
	;; [unrolled: 1-line block ×3, first 2 shown]
	s_delay_alu instid0(VALU_DEP_1)
	v_sub_nc_u64_e64 v[4:5], v[4:5], s[4:5]
	s_branch .LBB90_10
.LBB90_9:                               ;   in Loop: Header=BB90_10 Depth=1
	s_or_b32 exec_lo, exec_lo, s21
	v_add_nc_u64_e32 v[2:3], 16, v[2:3]
	s_delay_alu instid0(VALU_DEP_1) | instskip(SKIP_1) | instid1(SALU_CYCLE_1)
	v_cmp_le_i64_e32 vcc_lo, s[2:3], v[2:3]
	s_or_b32 s17, vcc_lo, s17
	s_and_not1_b32 exec_lo, exec_lo, s17
	s_cbranch_execz .LBB90_25
.LBB90_10:                              ; =>This Loop Header: Depth=1
                                        ;     Child Loop BB90_14 Depth 2
                                        ;       Child Loop BB90_17 Depth 3
	v_lshl_add_u64 v[6:7], v[2:3], 3, s[6:7]
	s_mov_b32 s21, exec_lo
	global_load_b64 v[6:7], v[6:7], off
	s_wait_loadcnt 0x0
	s_wait_xcnt 0x0
	v_sub_nc_u64_e64 v[6:7], v[6:7], s[0:1]
	s_delay_alu instid0(VALU_DEP_1)
	v_lshl_add_u64 v[6:7], v[6:7], 3, s[10:11]
	global_load_b128 v[8:11], v[6:7], off
	s_wait_loadcnt 0x0
	s_wait_xcnt 0x0
	v_sub_nc_u64_e64 v[6:7], v[10:11], s[4:5]
	v_add_nc_u64_e32 v[8:9], v[8:9], v[4:5]
	s_delay_alu instid0(VALU_DEP_1)
	v_cmpx_lt_i64_e64 v[8:9], v[6:7]
	s_cbranch_execz .LBB90_9
; %bb.11:                               ;   in Loop: Header=BB90_10 Depth=1
	v_lshl_add_u64 v[10:11], v[2:3], 2, s[8:9]
	s_mov_b32 s22, 0
	global_load_b32 v1, v[10:11], off
	s_wait_loadcnt 0x0
	v_mul_f32_e32 v1, s19, v1
	s_branch .LBB90_14
.LBB90_12:                              ;   in Loop: Header=BB90_14 Depth=2
	s_or_b32 exec_lo, exec_lo, s24
.LBB90_13:                              ;   in Loop: Header=BB90_14 Depth=2
	s_delay_alu instid0(SALU_CYCLE_1)
	s_or_b32 exec_lo, exec_lo, s23
	s_wait_loadcnt 0x0
	v_mul_f32_e32 v11, v1, v21
	v_lshl_add_u32 v10, v10, 2, 0
	v_add_nc_u64_e32 v[8:9], 64, v[8:9]
	ds_add_f32 v10, v11 offset:32768
	v_cmp_ge_i64_e32 vcc_lo, v[8:9], v[6:7]
	s_or_b32 s22, vcc_lo, s22
	s_delay_alu instid0(SALU_CYCLE_1)
	s_and_not1_b32 exec_lo, exec_lo, s22
	s_cbranch_execz .LBB90_9
.LBB90_14:                              ;   Parent Loop BB90_10 Depth=1
                                        ; =>  This Loop Header: Depth=2
                                        ;       Child Loop BB90_17 Depth 3
	s_wait_xcnt 0x0
	v_lshl_add_u64 v[10:11], v[8:9], 3, s[12:13]
	v_lshl_add_u64 v[12:13], v[8:9], 2, s[14:15]
	s_mov_b32 s23, exec_lo
	global_load_b64 v[10:11], v[10:11], off
	global_load_b32 v21, v[12:13], off
	s_wait_loadcnt 0x1
	s_wait_xcnt 0x0
	v_sub_nc_u64_e64 v[12:13], v[10:11], s[4:5]
	s_delay_alu instid0(VALU_DEP_1) | instskip(NEXT) | instid1(VALU_DEP_1)
	v_mul_lo_u32 v10, 0x89, v12
	v_and_b32_e32 v10, 0xfff, v10
	s_delay_alu instid0(VALU_DEP_1)
	v_lshl_add_u32 v22, v10, 3, 0
	ds_load_b64 v[16:17], v22
	s_wait_dscnt 0x0
	v_cmpx_ne_u64_e64 v[16:17], v[12:13]
	s_cbranch_execz .LBB90_13
; %bb.15:                               ;   in Loop: Header=BB90_14 Depth=2
	s_mov_b32 s24, 0
                                        ; implicit-def: $sgpr25
                                        ; implicit-def: $sgpr26
	s_branch .LBB90_17
.LBB90_16:                              ;   in Loop: Header=BB90_17 Depth=3
	s_or_b32 exec_lo, exec_lo, s29
	s_delay_alu instid0(SALU_CYCLE_1) | instskip(NEXT) | instid1(SALU_CYCLE_1)
	s_and_b32 s27, exec_lo, s28
	s_or_b32 s24, s27, s24
	s_and_not1_b32 s25, s25, exec_lo
	s_and_b32 s27, s26, exec_lo
	s_delay_alu instid0(SALU_CYCLE_1)
	s_or_b32 s25, s25, s27
	s_and_not1_b32 exec_lo, exec_lo, s24
	s_cbranch_execz .LBB90_23
.LBB90_17:                              ;   Parent Loop BB90_10 Depth=1
                                        ;     Parent Loop BB90_14 Depth=2
                                        ; =>    This Inner Loop Header: Depth=3
	v_mov_b64_e32 v[14:15], v[10:11]
	s_mov_b32 s27, 0
	s_mov_b32 s28, exec_lo
                                        ; implicit-def: $vgpr10_vgpr11
	v_cmpx_ne_u64_e64 s[48:49], v[16:17]
	s_xor_b32 s28, exec_lo, s28
; %bb.18:                               ;   in Loop: Header=BB90_17 Depth=3
	s_delay_alu instid0(VALU_DEP_2) | instskip(SKIP_1) | instid1(VALU_DEP_1)
	v_add_nc_u32_e32 v10, 1, v14
	s_mov_b32 s27, exec_lo
                                        ; implicit-def: $vgpr22
	v_and_b32_e32 v10, 0xfff, v10
; %bb.19:                               ;   in Loop: Header=BB90_17 Depth=3
	s_and_not1_saveexec_b32 s28, s28
	s_cbranch_execz .LBB90_21
; %bb.20:                               ;   in Loop: Header=BB90_17 Depth=3
	v_mov_b64_e32 v[10:11], s[48:49]
	s_and_not1_b32 s27, s27, exec_lo
	ds_cmpstore_rtn_b64 v[10:11], v22, v[12:13], v[10:11]
	s_wait_dscnt 0x0
	v_cmp_ne_u64_e32 vcc_lo, s[48:49], v[10:11]
	v_mov_b64_e32 v[10:11], v[14:15]
	s_and_b32 s29, vcc_lo, exec_lo
	s_delay_alu instid0(SALU_CYCLE_1)
	s_or_b32 s27, s27, s29
.LBB90_21:                              ;   in Loop: Header=BB90_17 Depth=3
	s_or_b32 exec_lo, exec_lo, s28
	s_mov_b32 s28, -1
	s_or_b32 s26, s26, exec_lo
                                        ; implicit-def: $vgpr22
                                        ; implicit-def: $vgpr16_vgpr17
	s_and_saveexec_b32 s29, s27
	s_cbranch_execz .LBB90_16
; %bb.22:                               ;   in Loop: Header=BB90_17 Depth=3
	v_lshl_add_u32 v22, v10, 3, 0
	s_and_not1_b32 s26, s26, exec_lo
	ds_load_b64 v[16:17], v22
	s_wait_dscnt 0x0
	v_cmp_eq_u64_e32 vcc_lo, v[16:17], v[12:13]
	s_or_not1_b32 s28, vcc_lo, exec_lo
	s_branch .LBB90_16
.LBB90_23:                              ;   in Loop: Header=BB90_14 Depth=2
	s_or_b32 exec_lo, exec_lo, s24
	s_and_saveexec_b32 s24, s25
	s_delay_alu instid0(SALU_CYCLE_1)
	s_xor_b32 s24, exec_lo, s24
	s_cbranch_execz .LBB90_12
; %bb.24:                               ;   in Loop: Header=BB90_14 Depth=2
	v_mov_b32_e32 v10, v14
	s_branch .LBB90_12
.LBB90_25:
	s_or_b32 exec_lo, exec_lo, s16
.LBB90_26:
	s_delay_alu instid0(SALU_CYCLE_1)
	s_and_not1_b32 vcc_lo, exec_lo, s20
	s_cbranch_vccnz .LBB90_43
; %bb.27:
	s_wait_kmcnt 0x0
	s_lshl_b64 s[0:1], s[50:51], 3
	v_mov_b32_e32 v1, 0
	s_add_nc_u64 s[0:1], s[36:37], s[0:1]
	s_load_b128 s[4:7], s[0:1], 0x0
	s_wait_xcnt 0x0
	s_mov_b32 s1, 0
	s_mov_b32 s0, s47
	s_delay_alu instid0(SALU_CYCLE_1) | instskip(SKIP_1) | instid1(VALU_DEP_1)
	v_sub_nc_u64_e64 v[2:3], v[0:1], s[0:1]
	s_wait_kmcnt 0x0
	v_add_nc_u64_e32 v[2:3], s[4:5], v[2:3]
	s_sub_nc_u64 s[2:3], s[6:7], s[0:1]
	s_mov_b32 s4, exec_lo
	s_delay_alu instid0(VALU_DEP_1)
	v_cmpx_gt_i64_e64 s[2:3], v[2:3]
	s_cbranch_execz .LBB90_42
; %bb.28:
	s_mov_b32 s5, s1
	s_branch .LBB90_31
.LBB90_29:                              ;   in Loop: Header=BB90_31 Depth=1
	s_or_b32 exec_lo, exec_lo, s7
.LBB90_30:                              ;   in Loop: Header=BB90_31 Depth=1
	s_delay_alu instid0(SALU_CYCLE_1)
	s_or_b32 exec_lo, exec_lo, s6
	s_wait_loadcnt 0x0
	v_mul_f32_e32 v1, s18, v1
	v_lshl_add_u32 v4, v4, 2, 0
	v_add_nc_u64_e32 v[2:3], 0x400, v[2:3]
	ds_add_f32 v4, v1 offset:32768
	v_cmp_le_i64_e32 vcc_lo, s[2:3], v[2:3]
	s_or_b32 s5, vcc_lo, s5
	s_delay_alu instid0(SALU_CYCLE_1)
	s_and_not1_b32 exec_lo, exec_lo, s5
	s_cbranch_execz .LBB90_42
.LBB90_31:                              ; =>This Loop Header: Depth=1
                                        ;     Child Loop BB90_34 Depth 2
	v_lshl_add_u64 v[4:5], v[2:3], 3, s[38:39]
	v_lshl_add_u64 v[6:7], v[2:3], 2, s[40:41]
	s_mov_b32 s6, exec_lo
	global_load_b64 v[4:5], v[4:5], off
	global_load_b32 v1, v[6:7], off
	s_wait_loadcnt 0x1
	s_wait_xcnt 0x0
	v_sub_nc_u64_e64 v[6:7], v[4:5], s[0:1]
	s_delay_alu instid0(VALU_DEP_1) | instskip(NEXT) | instid1(VALU_DEP_1)
	v_mul_lo_u32 v4, 0x89, v6
	v_and_b32_e32 v4, 0xfff, v4
	s_delay_alu instid0(VALU_DEP_1)
	v_lshl_add_u32 v12, v4, 3, 0
	ds_load_b64 v[10:11], v12
	s_wait_dscnt 0x0
	v_cmpx_ne_u64_e64 v[10:11], v[6:7]
	s_cbranch_execz .LBB90_30
; %bb.32:                               ;   in Loop: Header=BB90_31 Depth=1
	s_mov_b32 s7, 0
                                        ; implicit-def: $sgpr8
                                        ; implicit-def: $sgpr9
	s_branch .LBB90_34
.LBB90_33:                              ;   in Loop: Header=BB90_34 Depth=2
	s_or_b32 exec_lo, exec_lo, s12
	s_delay_alu instid0(SALU_CYCLE_1) | instskip(NEXT) | instid1(SALU_CYCLE_1)
	s_and_b32 s10, exec_lo, s11
	s_or_b32 s7, s10, s7
	s_and_not1_b32 s8, s8, exec_lo
	s_and_b32 s10, s9, exec_lo
	s_delay_alu instid0(SALU_CYCLE_1)
	s_or_b32 s8, s8, s10
	s_and_not1_b32 exec_lo, exec_lo, s7
	s_cbranch_execz .LBB90_40
.LBB90_34:                              ;   Parent Loop BB90_31 Depth=1
                                        ; =>  This Inner Loop Header: Depth=2
	v_mov_b64_e32 v[8:9], v[4:5]
	s_mov_b32 s10, 0
	s_mov_b32 s11, exec_lo
                                        ; implicit-def: $vgpr4_vgpr5
	v_cmpx_ne_u64_e64 s[48:49], v[10:11]
	s_xor_b32 s11, exec_lo, s11
; %bb.35:                               ;   in Loop: Header=BB90_34 Depth=2
	s_delay_alu instid0(VALU_DEP_2) | instskip(SKIP_1) | instid1(VALU_DEP_1)
	v_add_nc_u32_e32 v4, 1, v8
	s_mov_b32 s10, exec_lo
                                        ; implicit-def: $vgpr12
	v_and_b32_e32 v4, 0xfff, v4
; %bb.36:                               ;   in Loop: Header=BB90_34 Depth=2
	s_and_not1_saveexec_b32 s11, s11
	s_cbranch_execz .LBB90_38
; %bb.37:                               ;   in Loop: Header=BB90_34 Depth=2
	v_mov_b64_e32 v[4:5], s[48:49]
	s_and_not1_b32 s10, s10, exec_lo
	ds_cmpstore_rtn_b64 v[4:5], v12, v[6:7], v[4:5]
	s_wait_dscnt 0x0
	v_cmp_ne_u64_e32 vcc_lo, s[48:49], v[4:5]
	v_mov_b64_e32 v[4:5], v[8:9]
	s_and_b32 s12, vcc_lo, exec_lo
	s_delay_alu instid0(SALU_CYCLE_1)
	s_or_b32 s10, s10, s12
.LBB90_38:                              ;   in Loop: Header=BB90_34 Depth=2
	s_or_b32 exec_lo, exec_lo, s11
	s_mov_b32 s11, -1
	s_or_b32 s9, s9, exec_lo
                                        ; implicit-def: $vgpr12
                                        ; implicit-def: $vgpr10_vgpr11
	s_and_saveexec_b32 s12, s10
	s_cbranch_execz .LBB90_33
; %bb.39:                               ;   in Loop: Header=BB90_34 Depth=2
	v_lshl_add_u32 v12, v4, 3, 0
	s_and_not1_b32 s9, s9, exec_lo
	ds_load_b64 v[10:11], v12
	s_wait_dscnt 0x0
	v_cmp_eq_u64_e32 vcc_lo, v[10:11], v[6:7]
	s_or_not1_b32 s11, vcc_lo, exec_lo
	s_branch .LBB90_33
.LBB90_40:                              ;   in Loop: Header=BB90_31 Depth=1
	s_or_b32 exec_lo, exec_lo, s7
	s_and_saveexec_b32 s7, s8
	s_delay_alu instid0(SALU_CYCLE_1)
	s_xor_b32 s7, exec_lo, s7
	s_cbranch_execz .LBB90_29
; %bb.41:                               ;   in Loop: Header=BB90_31 Depth=1
	v_mov_b32_e32 v4, v8
	s_branch .LBB90_29
.LBB90_42:
	s_or_b32 exec_lo, exec_lo, s4
.LBB90_43:
	v_mbcnt_lo_u32_b32 v1, -1, 0
	v_dual_mov_b32 v3, 0 :: v_dual_lshrrev_b32 v2, 2, v0
	v_mov_b64_e32 v[6:7], 0
	v_cmp_lt_u32_e64 s0, 31, v0
	s_delay_alu instid0(VALU_DEP_4) | instskip(NEXT) | instid1(VALU_DEP_4)
	v_xor_b32_e32 v1, 31, v1
	v_and_b32_e32 v2, 0xf8, v2
	v_cmp_lt_u32_e64 s1, 63, v0
	v_cmp_lt_u32_e64 s2, 0x5f, v0
	;; [unrolled: 1-line block ×3, first 2 shown]
	v_lshrrev_b32_e64 v4, v1, -1
	v_add_nc_u32_e32 v1, 0, v2
	v_cmp_lt_u32_e64 s4, 0x9f, v0
	v_cmp_lt_u32_e64 s5, 0xbf, v0
	;; [unrolled: 1-line block ×27, first 2 shown]
	s_mov_b32 s33, 0
	s_wait_dscnt 0x0
	v_cmp_eq_u32_e32 vcc_lo, 0x3ff, v0
	s_barrier_signal -1
	s_barrier_wait -1
	s_branch .LBB90_45
.LBB90_44:                              ;   in Loop: Header=BB90_45 Depth=1
	s_or_b32 exec_lo, exec_lo, s31
	s_wait_dscnt 0x0
	s_barrier_signal -1
	s_barrier_wait -1
	ds_load_b64 v[8:9], v3 offset:49400
	v_add_nc_u32_e32 v19, 0x400, v19
	v_add_nc_u32_e32 v20, 0x1000, v20
	;; [unrolled: 1-line block ×3, first 2 shown]
	s_delay_alu instid0(VALU_DEP_3)
	v_cmp_lt_u32_e64 s31, 0xbff, v19
	s_or_b32 s33, s31, s33
	s_wait_dscnt 0x0
	v_add_nc_u64_e32 v[6:7], v[8:9], v[6:7]
	s_and_not1_b32 exec_lo, exec_lo, s33
	s_cbranch_execz .LBB90_111
.LBB90_45:                              ; =>This Inner Loop Header: Depth=1
	ds_load_b64 v[8:9], v18
	ds_load_b32 v5, v20
	s_wait_dscnt 0x0
	s_barrier_signal -1
	s_barrier_wait -1
	v_cmp_gt_i64_e64 s31, s[48:49], v[8:9]
	s_bcnt1_i32_b32 s36, s31
	s_delay_alu instid0(SALU_CYCLE_1) | instskip(NEXT) | instid1(VALU_DEP_1)
	v_dual_mov_b32 v2, s36 :: v_dual_bitop2_b32 v10, s31, v4 bitop3:0x40
	v_bcnt_u32_b32 v10, v10, 0
	ds_store_b64 v1, v[2:3] offset:49152
	s_wait_dscnt 0x0
	s_barrier_signal -1
	s_barrier_wait -1
	s_and_saveexec_b32 s36, s0
	s_cbranch_execnz .LBB90_78
; %bb.46:                               ;   in Loop: Header=BB90_45 Depth=1
	s_or_b32 exec_lo, exec_lo, s36
	s_and_saveexec_b32 s36, s1
	s_cbranch_execnz .LBB90_79
.LBB90_47:                              ;   in Loop: Header=BB90_45 Depth=1
	s_or_b32 exec_lo, exec_lo, s36
	s_and_saveexec_b32 s36, s2
	s_cbranch_execnz .LBB90_80
.LBB90_48:                              ;   in Loop: Header=BB90_45 Depth=1
	s_or_b32 exec_lo, exec_lo, s36
	s_and_saveexec_b32 s36, s3
	s_cbranch_execnz .LBB90_81
.LBB90_49:                              ;   in Loop: Header=BB90_45 Depth=1
	s_or_b32 exec_lo, exec_lo, s36
	s_and_saveexec_b32 s36, s4
	s_cbranch_execnz .LBB90_82
.LBB90_50:                              ;   in Loop: Header=BB90_45 Depth=1
	s_or_b32 exec_lo, exec_lo, s36
	s_and_saveexec_b32 s36, s5
	s_cbranch_execnz .LBB90_83
.LBB90_51:                              ;   in Loop: Header=BB90_45 Depth=1
	s_or_b32 exec_lo, exec_lo, s36
	s_and_saveexec_b32 s36, s6
	s_cbranch_execnz .LBB90_84
.LBB90_52:                              ;   in Loop: Header=BB90_45 Depth=1
	s_or_b32 exec_lo, exec_lo, s36
	s_and_saveexec_b32 s36, s7
	s_cbranch_execnz .LBB90_85
.LBB90_53:                              ;   in Loop: Header=BB90_45 Depth=1
	s_or_b32 exec_lo, exec_lo, s36
	s_and_saveexec_b32 s36, s8
	s_cbranch_execnz .LBB90_86
.LBB90_54:                              ;   in Loop: Header=BB90_45 Depth=1
	s_or_b32 exec_lo, exec_lo, s36
	s_and_saveexec_b32 s36, s9
	s_cbranch_execnz .LBB90_87
.LBB90_55:                              ;   in Loop: Header=BB90_45 Depth=1
	s_or_b32 exec_lo, exec_lo, s36
	s_and_saveexec_b32 s36, s10
	s_cbranch_execnz .LBB90_88
.LBB90_56:                              ;   in Loop: Header=BB90_45 Depth=1
	s_or_b32 exec_lo, exec_lo, s36
	s_and_saveexec_b32 s36, s11
	s_cbranch_execnz .LBB90_89
.LBB90_57:                              ;   in Loop: Header=BB90_45 Depth=1
	s_or_b32 exec_lo, exec_lo, s36
	s_and_saveexec_b32 s36, s12
	s_cbranch_execnz .LBB90_90
.LBB90_58:                              ;   in Loop: Header=BB90_45 Depth=1
	s_or_b32 exec_lo, exec_lo, s36
	s_and_saveexec_b32 s36, s13
	s_cbranch_execnz .LBB90_91
.LBB90_59:                              ;   in Loop: Header=BB90_45 Depth=1
	s_or_b32 exec_lo, exec_lo, s36
	s_and_saveexec_b32 s36, s14
	s_cbranch_execnz .LBB90_92
.LBB90_60:                              ;   in Loop: Header=BB90_45 Depth=1
	s_or_b32 exec_lo, exec_lo, s36
	s_and_saveexec_b32 s36, s15
	s_cbranch_execnz .LBB90_93
.LBB90_61:                              ;   in Loop: Header=BB90_45 Depth=1
	s_or_b32 exec_lo, exec_lo, s36
	s_and_saveexec_b32 s36, s16
	s_cbranch_execnz .LBB90_94
.LBB90_62:                              ;   in Loop: Header=BB90_45 Depth=1
	s_or_b32 exec_lo, exec_lo, s36
	s_and_saveexec_b32 s36, s17
	s_cbranch_execnz .LBB90_95
.LBB90_63:                              ;   in Loop: Header=BB90_45 Depth=1
	s_or_b32 exec_lo, exec_lo, s36
	s_and_saveexec_b32 s36, s18
	s_cbranch_execnz .LBB90_96
.LBB90_64:                              ;   in Loop: Header=BB90_45 Depth=1
	s_or_b32 exec_lo, exec_lo, s36
	s_and_saveexec_b32 s36, s19
	s_cbranch_execnz .LBB90_97
.LBB90_65:                              ;   in Loop: Header=BB90_45 Depth=1
	s_or_b32 exec_lo, exec_lo, s36
	s_and_saveexec_b32 s36, s20
	s_cbranch_execnz .LBB90_98
.LBB90_66:                              ;   in Loop: Header=BB90_45 Depth=1
	s_or_b32 exec_lo, exec_lo, s36
	s_and_saveexec_b32 s36, s21
	s_cbranch_execnz .LBB90_99
.LBB90_67:                              ;   in Loop: Header=BB90_45 Depth=1
	s_or_b32 exec_lo, exec_lo, s36
	s_and_saveexec_b32 s36, s22
	s_cbranch_execnz .LBB90_100
.LBB90_68:                              ;   in Loop: Header=BB90_45 Depth=1
	s_or_b32 exec_lo, exec_lo, s36
	s_and_saveexec_b32 s36, s23
	s_cbranch_execnz .LBB90_101
.LBB90_69:                              ;   in Loop: Header=BB90_45 Depth=1
	s_or_b32 exec_lo, exec_lo, s36
	s_and_saveexec_b32 s36, s24
	s_cbranch_execnz .LBB90_102
.LBB90_70:                              ;   in Loop: Header=BB90_45 Depth=1
	s_or_b32 exec_lo, exec_lo, s36
	s_and_saveexec_b32 s36, s25
	s_cbranch_execnz .LBB90_103
.LBB90_71:                              ;   in Loop: Header=BB90_45 Depth=1
	s_or_b32 exec_lo, exec_lo, s36
	s_and_saveexec_b32 s36, s26
	s_cbranch_execnz .LBB90_104
.LBB90_72:                              ;   in Loop: Header=BB90_45 Depth=1
	s_or_b32 exec_lo, exec_lo, s36
	s_and_saveexec_b32 s36, s27
	s_cbranch_execnz .LBB90_105
.LBB90_73:                              ;   in Loop: Header=BB90_45 Depth=1
	s_or_b32 exec_lo, exec_lo, s36
	s_and_saveexec_b32 s36, s28
	s_cbranch_execnz .LBB90_106
.LBB90_74:                              ;   in Loop: Header=BB90_45 Depth=1
	s_or_b32 exec_lo, exec_lo, s36
	s_and_saveexec_b32 s36, s29
	s_cbranch_execnz .LBB90_107
.LBB90_75:                              ;   in Loop: Header=BB90_45 Depth=1
	s_or_b32 exec_lo, exec_lo, s36
	s_and_saveexec_b32 s36, s30
	s_cbranch_execnz .LBB90_108
.LBB90_76:                              ;   in Loop: Header=BB90_45 Depth=1
	s_or_b32 exec_lo, exec_lo, s36
	v_ashrrev_i32_e32 v11, 31, v10
	s_and_saveexec_b32 s36, s31
	s_cbranch_execnz .LBB90_109
.LBB90_77:                              ;   in Loop: Header=BB90_45 Depth=1
	s_or_b32 exec_lo, exec_lo, s36
	s_and_saveexec_b32 s31, vcc_lo
	s_cbranch_execz .LBB90_44
	s_branch .LBB90_110
.LBB90_78:                              ;   in Loop: Header=BB90_45 Depth=1
	ds_load_b32 v2, v3 offset:49152
	s_wait_dscnt 0x0
	v_add_nc_u32_e32 v10, v2, v10
	s_or_b32 exec_lo, exec_lo, s36
	s_and_saveexec_b32 s36, s1
	s_cbranch_execz .LBB90_47
.LBB90_79:                              ;   in Loop: Header=BB90_45 Depth=1
	ds_load_b32 v2, v3 offset:49160
	s_wait_dscnt 0x0
	v_add_nc_u32_e32 v10, v10, v2
	s_or_b32 exec_lo, exec_lo, s36
	s_and_saveexec_b32 s36, s2
	s_cbranch_execz .LBB90_48
.LBB90_80:                              ;   in Loop: Header=BB90_45 Depth=1
	ds_load_b32 v2, v3 offset:49168
	s_wait_dscnt 0x0
	v_add_nc_u32_e32 v10, v10, v2
	s_or_b32 exec_lo, exec_lo, s36
	s_and_saveexec_b32 s36, s3
	s_cbranch_execz .LBB90_49
.LBB90_81:                              ;   in Loop: Header=BB90_45 Depth=1
	ds_load_b32 v2, v3 offset:49176
	s_wait_dscnt 0x0
	v_add_nc_u32_e32 v10, v10, v2
	s_or_b32 exec_lo, exec_lo, s36
	s_and_saveexec_b32 s36, s4
	s_cbranch_execz .LBB90_50
.LBB90_82:                              ;   in Loop: Header=BB90_45 Depth=1
	ds_load_b32 v2, v3 offset:49184
	s_wait_dscnt 0x0
	v_add_nc_u32_e32 v10, v10, v2
	s_or_b32 exec_lo, exec_lo, s36
	s_and_saveexec_b32 s36, s5
	s_cbranch_execz .LBB90_51
.LBB90_83:                              ;   in Loop: Header=BB90_45 Depth=1
	ds_load_b32 v2, v3 offset:49192
	s_wait_dscnt 0x0
	v_add_nc_u32_e32 v10, v10, v2
	s_or_b32 exec_lo, exec_lo, s36
	s_and_saveexec_b32 s36, s6
	s_cbranch_execz .LBB90_52
.LBB90_84:                              ;   in Loop: Header=BB90_45 Depth=1
	ds_load_b32 v2, v3 offset:49200
	s_wait_dscnt 0x0
	v_add_nc_u32_e32 v10, v10, v2
	s_or_b32 exec_lo, exec_lo, s36
	s_and_saveexec_b32 s36, s7
	s_cbranch_execz .LBB90_53
.LBB90_85:                              ;   in Loop: Header=BB90_45 Depth=1
	ds_load_b32 v2, v3 offset:49208
	s_wait_dscnt 0x0
	v_add_nc_u32_e32 v10, v10, v2
	s_or_b32 exec_lo, exec_lo, s36
	s_and_saveexec_b32 s36, s8
	s_cbranch_execz .LBB90_54
.LBB90_86:                              ;   in Loop: Header=BB90_45 Depth=1
	ds_load_b32 v2, v3 offset:49216
	s_wait_dscnt 0x0
	v_add_nc_u32_e32 v10, v10, v2
	s_or_b32 exec_lo, exec_lo, s36
	s_and_saveexec_b32 s36, s9
	s_cbranch_execz .LBB90_55
.LBB90_87:                              ;   in Loop: Header=BB90_45 Depth=1
	ds_load_b32 v2, v3 offset:49224
	s_wait_dscnt 0x0
	v_add_nc_u32_e32 v10, v10, v2
	s_or_b32 exec_lo, exec_lo, s36
	s_and_saveexec_b32 s36, s10
	s_cbranch_execz .LBB90_56
.LBB90_88:                              ;   in Loop: Header=BB90_45 Depth=1
	ds_load_b32 v2, v3 offset:49232
	s_wait_dscnt 0x0
	v_add_nc_u32_e32 v10, v10, v2
	s_or_b32 exec_lo, exec_lo, s36
	s_and_saveexec_b32 s36, s11
	s_cbranch_execz .LBB90_57
.LBB90_89:                              ;   in Loop: Header=BB90_45 Depth=1
	ds_load_b32 v2, v3 offset:49240
	s_wait_dscnt 0x0
	v_add_nc_u32_e32 v10, v10, v2
	s_or_b32 exec_lo, exec_lo, s36
	s_and_saveexec_b32 s36, s12
	s_cbranch_execz .LBB90_58
.LBB90_90:                              ;   in Loop: Header=BB90_45 Depth=1
	ds_load_b32 v2, v3 offset:49248
	s_wait_dscnt 0x0
	v_add_nc_u32_e32 v10, v10, v2
	s_or_b32 exec_lo, exec_lo, s36
	s_and_saveexec_b32 s36, s13
	s_cbranch_execz .LBB90_59
.LBB90_91:                              ;   in Loop: Header=BB90_45 Depth=1
	ds_load_b32 v2, v3 offset:49256
	s_wait_dscnt 0x0
	v_add_nc_u32_e32 v10, v10, v2
	s_or_b32 exec_lo, exec_lo, s36
	s_and_saveexec_b32 s36, s14
	s_cbranch_execz .LBB90_60
.LBB90_92:                              ;   in Loop: Header=BB90_45 Depth=1
	ds_load_b32 v2, v3 offset:49264
	s_wait_dscnt 0x0
	v_add_nc_u32_e32 v10, v10, v2
	s_or_b32 exec_lo, exec_lo, s36
	s_and_saveexec_b32 s36, s15
	s_cbranch_execz .LBB90_61
.LBB90_93:                              ;   in Loop: Header=BB90_45 Depth=1
	ds_load_b32 v2, v3 offset:49272
	s_wait_dscnt 0x0
	v_add_nc_u32_e32 v10, v10, v2
	s_or_b32 exec_lo, exec_lo, s36
	s_and_saveexec_b32 s36, s16
	s_cbranch_execz .LBB90_62
.LBB90_94:                              ;   in Loop: Header=BB90_45 Depth=1
	ds_load_b32 v2, v3 offset:49280
	s_wait_dscnt 0x0
	v_add_nc_u32_e32 v10, v10, v2
	s_or_b32 exec_lo, exec_lo, s36
	s_and_saveexec_b32 s36, s17
	s_cbranch_execz .LBB90_63
.LBB90_95:                              ;   in Loop: Header=BB90_45 Depth=1
	ds_load_b32 v2, v3 offset:49288
	s_wait_dscnt 0x0
	v_add_nc_u32_e32 v10, v10, v2
	s_or_b32 exec_lo, exec_lo, s36
	s_and_saveexec_b32 s36, s18
	s_cbranch_execz .LBB90_64
.LBB90_96:                              ;   in Loop: Header=BB90_45 Depth=1
	ds_load_b32 v2, v3 offset:49296
	s_wait_dscnt 0x0
	v_add_nc_u32_e32 v10, v10, v2
	s_or_b32 exec_lo, exec_lo, s36
	s_and_saveexec_b32 s36, s19
	s_cbranch_execz .LBB90_65
.LBB90_97:                              ;   in Loop: Header=BB90_45 Depth=1
	ds_load_b32 v2, v3 offset:49304
	s_wait_dscnt 0x0
	v_add_nc_u32_e32 v10, v10, v2
	s_or_b32 exec_lo, exec_lo, s36
	s_and_saveexec_b32 s36, s20
	s_cbranch_execz .LBB90_66
.LBB90_98:                              ;   in Loop: Header=BB90_45 Depth=1
	ds_load_b32 v2, v3 offset:49312
	s_wait_dscnt 0x0
	v_add_nc_u32_e32 v10, v10, v2
	s_or_b32 exec_lo, exec_lo, s36
	s_and_saveexec_b32 s36, s21
	s_cbranch_execz .LBB90_67
.LBB90_99:                              ;   in Loop: Header=BB90_45 Depth=1
	ds_load_b32 v2, v3 offset:49320
	s_wait_dscnt 0x0
	v_add_nc_u32_e32 v10, v10, v2
	s_or_b32 exec_lo, exec_lo, s36
	s_and_saveexec_b32 s36, s22
	s_cbranch_execz .LBB90_68
.LBB90_100:                             ;   in Loop: Header=BB90_45 Depth=1
	ds_load_b32 v2, v3 offset:49328
	s_wait_dscnt 0x0
	v_add_nc_u32_e32 v10, v10, v2
	s_or_b32 exec_lo, exec_lo, s36
	s_and_saveexec_b32 s36, s23
	s_cbranch_execz .LBB90_69
.LBB90_101:                             ;   in Loop: Header=BB90_45 Depth=1
	ds_load_b32 v2, v3 offset:49336
	s_wait_dscnt 0x0
	v_add_nc_u32_e32 v10, v10, v2
	s_or_b32 exec_lo, exec_lo, s36
	s_and_saveexec_b32 s36, s24
	s_cbranch_execz .LBB90_70
.LBB90_102:                             ;   in Loop: Header=BB90_45 Depth=1
	ds_load_b32 v2, v3 offset:49344
	s_wait_dscnt 0x0
	v_add_nc_u32_e32 v10, v10, v2
	s_or_b32 exec_lo, exec_lo, s36
	s_and_saveexec_b32 s36, s25
	s_cbranch_execz .LBB90_71
.LBB90_103:                             ;   in Loop: Header=BB90_45 Depth=1
	ds_load_b32 v2, v3 offset:49352
	s_wait_dscnt 0x0
	v_add_nc_u32_e32 v10, v10, v2
	s_or_b32 exec_lo, exec_lo, s36
	s_and_saveexec_b32 s36, s26
	s_cbranch_execz .LBB90_72
.LBB90_104:                             ;   in Loop: Header=BB90_45 Depth=1
	ds_load_b32 v2, v3 offset:49360
	s_wait_dscnt 0x0
	v_add_nc_u32_e32 v10, v10, v2
	s_or_b32 exec_lo, exec_lo, s36
	s_and_saveexec_b32 s36, s27
	s_cbranch_execz .LBB90_73
.LBB90_105:                             ;   in Loop: Header=BB90_45 Depth=1
	ds_load_b32 v2, v3 offset:49368
	s_wait_dscnt 0x0
	v_add_nc_u32_e32 v10, v10, v2
	s_or_b32 exec_lo, exec_lo, s36
	s_and_saveexec_b32 s36, s28
	s_cbranch_execz .LBB90_74
.LBB90_106:                             ;   in Loop: Header=BB90_45 Depth=1
	ds_load_b32 v2, v3 offset:49376
	s_wait_dscnt 0x0
	v_add_nc_u32_e32 v10, v10, v2
	s_or_b32 exec_lo, exec_lo, s36
	s_and_saveexec_b32 s36, s29
	s_cbranch_execz .LBB90_75
.LBB90_107:                             ;   in Loop: Header=BB90_45 Depth=1
	ds_load_b32 v2, v3 offset:49384
	s_wait_dscnt 0x0
	v_add_nc_u32_e32 v10, v10, v2
	s_or_b32 exec_lo, exec_lo, s36
	s_and_saveexec_b32 s36, s30
	s_cbranch_execz .LBB90_76
.LBB90_108:                             ;   in Loop: Header=BB90_45 Depth=1
	ds_load_b32 v2, v3 offset:49392
	s_wait_dscnt 0x0
	v_add_nc_u32_e32 v10, v10, v2
	s_or_b32 exec_lo, exec_lo, s36
	s_delay_alu instid0(VALU_DEP_1)
	v_ashrrev_i32_e32 v11, 31, v10
	s_and_saveexec_b32 s36, s31
	s_cbranch_execz .LBB90_77
.LBB90_109:                             ;   in Loop: Header=BB90_45 Depth=1
	v_add3_u32 v2, v6, -1, v10
	v_add_nc_u32_e32 v12, v6, v10
	s_delay_alu instid0(VALU_DEP_2) | instskip(NEXT) | instid1(VALU_DEP_2)
	v_lshl_add_u32 v2, v2, 3, 0
	v_lshl_add_u32 v12, v12, 2, 0
	ds_store_b64 v2, v[8:9]
	ds_store_b32 v12, v5 offset:32764
	s_or_b32 exec_lo, exec_lo, s36
	s_and_saveexec_b32 s31, vcc_lo
	s_cbranch_execz .LBB90_44
.LBB90_110:                             ;   in Loop: Header=BB90_45 Depth=1
	ds_store_b64 v3, v[10:11] offset:49400
	s_branch .LBB90_44
.LBB90_111:
	s_or_b32 exec_lo, exec_lo, s33
	s_wait_kmcnt 0x0
	s_lshl_b64 s[0:1], s[50:51], 3
	v_mov_b32_e32 v1, 0
	s_add_nc_u64 s[4:5], s[42:43], s[0:1]
	s_mov_b32 s6, exec_lo
	s_load_b128 s[0:3], s[4:5], 0x0
	s_wait_kmcnt 0x0
	s_sub_nc_u64 s[4:5], s[2:3], s[0:1]
	s_delay_alu instid0(SALU_CYCLE_1)
	v_cmpx_gt_i64_e64 s[4:5], v[0:1]
	s_cbranch_execz .LBB90_121
; %bb.112:
	s_sub_nc_u64 s[8:9], s[0:1], s[2:3]
	s_and_b64 s[6:7], s[4:5], 7
	v_cmp_lt_u64_e64 s10, s[8:9], -7
	s_and_b64 s[2:3], s[4:5], -8
	s_mov_b32 s47, 0
	s_cmp_lg_u64 s[6:7], 0
	s_sub_nc_u64 s[0:1], s[0:1], s[46:47]
	s_cselect_b32 s11, -1, 0
	s_mov_b32 s12, 0
	s_branch .LBB90_114
.LBB90_113:                             ;   in Loop: Header=BB90_114 Depth=1
	v_add_nc_u64_e32 v[0:1], 0x400, v[0:1]
	s_wait_dscnt 0x1
	s_delay_alu instid0(VALU_DEP_2)
	v_lshl_add_u64 v[2:3], v[4:5], 2, s[34:35]
	s_wait_dscnt 0x0
	global_store_b32 v[2:3], v6, off
	v_cmp_le_i64_e32 vcc_lo, s[4:5], v[0:1]
	s_or_b32 s12, vcc_lo, s12
	s_wait_xcnt 0x0
	s_and_not1_b32 exec_lo, exec_lo, s12
	s_cbranch_execz .LBB90_121
.LBB90_114:                             ; =>This Loop Header: Depth=1
                                        ;     Child Loop BB90_116 Depth 2
                                        ;     Child Loop BB90_120 Depth 2
	v_lshl_add_u32 v2, v0, 3, 0
	v_lshlrev_b32_e32 v3, 2, v0
	s_and_not1_b32 vcc_lo, exec_lo, s10
	s_mov_b64 s[8:9], 0
	s_delay_alu instid0(VALU_DEP_1)
	v_sub_nc_u32_e32 v4, v2, v3
	ds_load_b64 v[2:3], v2
	ds_load_b32 v6, v4 offset:32768
	v_mov_b64_e32 v[4:5], s[0:1]
	s_cbranch_vccnz .LBB90_118
; %bb.115:                              ;   in Loop: Header=BB90_114 Depth=1
	v_mov_b64_e32 v[4:5], s[0:1]
	s_mov_b32 s13, 0
.LBB90_116:                             ;   Parent Loop BB90_114 Depth=1
                                        ; =>  This Inner Loop Header: Depth=2
	s_delay_alu instid0(SALU_CYCLE_1)
	v_dual_mov_b32 v7, s13 :: v_dual_mov_b32 v17, s47
	s_add_nc_u64 s[8:9], s[8:9], 8
	s_add_co_i32 s13, s13, 64
	s_cmp_eq_u64 s[2:3], s[8:9]
	ds_load_2addr_b64 v[8:11], v7 offset1:1
	ds_load_2addr_b64 v[12:15], v7 offset0:2 offset1:3
	s_wait_dscnt 0x1
	v_cmp_gt_i64_e32 vcc_lo, v[2:3], v[8:9]
	v_cndmask_b32_e64 v16, 0, 1, vcc_lo
	v_cmp_gt_i64_e32 vcc_lo, v[2:3], v[10:11]
	ds_load_2addr_b64 v[8:11], v7 offset0:4 offset1:5
	v_add_nc_u64_e32 v[4:5], v[4:5], v[16:17]
	v_cndmask_b32_e64 v18, 0, 1, vcc_lo
	s_wait_dscnt 0x1
	v_cmp_gt_i64_e32 vcc_lo, v[2:3], v[12:13]
	v_cndmask_b32_e64 v16, 0, 1, vcc_lo
	v_cmp_gt_i64_e32 vcc_lo, v[2:3], v[14:15]
	ds_load_2addr_b64 v[12:15], v7 offset0:6 offset1:7
	v_mov_b32_e32 v19, s47
	s_delay_alu instid0(VALU_DEP_1) | instskip(SKIP_4) | instid1(VALU_DEP_4)
	v_add_nc_u64_e32 v[4:5], v[4:5], v[18:19]
	v_cndmask_b32_e64 v18, 0, 1, vcc_lo
	s_wait_dscnt 0x1
	v_cmp_gt_i64_e32 vcc_lo, v[2:3], v[8:9]
	v_mov_b32_e32 v9, s47
	v_add_nc_u64_e32 v[4:5], v[4:5], v[16:17]
	v_cndmask_b32_e64 v16, 0, 1, vcc_lo
	v_cmp_gt_i64_e32 vcc_lo, v[2:3], v[10:11]
	v_mov_b32_e32 v11, s47
	s_delay_alu instid0(VALU_DEP_4) | instskip(SKIP_3) | instid1(VALU_DEP_3)
	v_add_nc_u64_e32 v[4:5], v[4:5], v[18:19]
	v_cndmask_b32_e64 v8, 0, 1, vcc_lo
	s_wait_dscnt 0x0
	v_cmp_gt_i64_e32 vcc_lo, v[2:3], v[12:13]
	v_add_nc_u64_e32 v[4:5], v[4:5], v[16:17]
	v_cndmask_b32_e64 v10, 0, 1, vcc_lo
	v_cmp_gt_i64_e32 vcc_lo, v[2:3], v[14:15]
	s_delay_alu instid0(VALU_DEP_3) | instskip(SKIP_1) | instid1(VALU_DEP_2)
	v_add_nc_u64_e32 v[4:5], v[4:5], v[8:9]
	v_cndmask_b32_e64 v8, 0, 1, vcc_lo
	v_add_nc_u64_e32 v[4:5], v[4:5], v[10:11]
	s_delay_alu instid0(VALU_DEP_1)
	v_add_nc_u64_e32 v[4:5], v[4:5], v[8:9]
	s_cbranch_scc0 .LBB90_116
; %bb.117:                              ;   in Loop: Header=BB90_114 Depth=1
	s_mov_b64 s[8:9], s[2:3]
.LBB90_118:                             ;   in Loop: Header=BB90_114 Depth=1
	s_and_not1_b32 vcc_lo, exec_lo, s11
	s_cbranch_vccnz .LBB90_113
; %bb.119:                              ;   in Loop: Header=BB90_114 Depth=1
	s_lshl_b32 s8, s8, 3
	s_delay_alu instid0(SALU_CYCLE_1)
	s_add_co_i32 s13, s8, 0
	s_mov_b64 s[8:9], s[6:7]
.LBB90_120:                             ;   Parent Loop BB90_114 Depth=1
                                        ; =>  This Inner Loop Header: Depth=2
	v_dual_mov_b32 v7, s13 :: v_dual_mov_b32 v11, s47
	s_add_nc_u64 s[8:9], s[8:9], -1
	s_add_co_i32 s13, s13, 8
	s_cmp_lg_u64 s[8:9], 0
	ds_load_b64 v[8:9], v7
	s_wait_dscnt 0x0
	v_cmp_gt_i64_e32 vcc_lo, v[2:3], v[8:9]
	v_cndmask_b32_e64 v10, 0, 1, vcc_lo
	s_delay_alu instid0(VALU_DEP_1)
	v_add_nc_u64_e32 v[4:5], v[4:5], v[10:11]
	s_cbranch_scc1 .LBB90_120
	s_branch .LBB90_113
.LBB90_121:
	s_endpgm
	.section	.rodata,"a",@progbits
	.p2align	6, 0x0
	.amdhsa_kernel _ZN9rocsparseL41csrgemm_numeric_fill_block_per_row_kernelILj1024ELj64ELj4096ELj137ELj32EllfEEvT5_PKS1_S3_NS_24const_host_device_scalarIT6_EEPKT4_S3_PKS5_S9_S3_SB_S6_S9_S3_SB_S9_S3_PS5_21rocsparse_index_base_SD_SD_SD_bbb
		.amdhsa_group_segment_fixed_size 0
		.amdhsa_private_segment_fixed_size 0
		.amdhsa_kernarg_size 156
		.amdhsa_user_sgpr_count 2
		.amdhsa_user_sgpr_dispatch_ptr 0
		.amdhsa_user_sgpr_queue_ptr 0
		.amdhsa_user_sgpr_kernarg_segment_ptr 1
		.amdhsa_user_sgpr_dispatch_id 0
		.amdhsa_user_sgpr_kernarg_preload_length 0
		.amdhsa_user_sgpr_kernarg_preload_offset 0
		.amdhsa_user_sgpr_private_segment_size 0
		.amdhsa_wavefront_size32 1
		.amdhsa_uses_dynamic_stack 0
		.amdhsa_enable_private_segment 0
		.amdhsa_system_sgpr_workgroup_id_x 1
		.amdhsa_system_sgpr_workgroup_id_y 0
		.amdhsa_system_sgpr_workgroup_id_z 0
		.amdhsa_system_sgpr_workgroup_info 0
		.amdhsa_system_vgpr_workitem_id 0
		.amdhsa_next_free_vgpr 23
		.amdhsa_next_free_sgpr 52
		.amdhsa_named_barrier_count 0
		.amdhsa_reserve_vcc 1
		.amdhsa_float_round_mode_32 0
		.amdhsa_float_round_mode_16_64 0
		.amdhsa_float_denorm_mode_32 3
		.amdhsa_float_denorm_mode_16_64 3
		.amdhsa_fp16_overflow 0
		.amdhsa_memory_ordered 1
		.amdhsa_forward_progress 1
		.amdhsa_inst_pref_size 33
		.amdhsa_round_robin_scheduling 0
		.amdhsa_exception_fp_ieee_invalid_op 0
		.amdhsa_exception_fp_denorm_src 0
		.amdhsa_exception_fp_ieee_div_zero 0
		.amdhsa_exception_fp_ieee_overflow 0
		.amdhsa_exception_fp_ieee_underflow 0
		.amdhsa_exception_fp_ieee_inexact 0
		.amdhsa_exception_int_div_zero 0
	.end_amdhsa_kernel
	.section	.text._ZN9rocsparseL41csrgemm_numeric_fill_block_per_row_kernelILj1024ELj64ELj4096ELj137ELj32EllfEEvT5_PKS1_S3_NS_24const_host_device_scalarIT6_EEPKT4_S3_PKS5_S9_S3_SB_S6_S9_S3_SB_S9_S3_PS5_21rocsparse_index_base_SD_SD_SD_bbb,"axG",@progbits,_ZN9rocsparseL41csrgemm_numeric_fill_block_per_row_kernelILj1024ELj64ELj4096ELj137ELj32EllfEEvT5_PKS1_S3_NS_24const_host_device_scalarIT6_EEPKT4_S3_PKS5_S9_S3_SB_S6_S9_S3_SB_S9_S3_PS5_21rocsparse_index_base_SD_SD_SD_bbb,comdat
.Lfunc_end90:
	.size	_ZN9rocsparseL41csrgemm_numeric_fill_block_per_row_kernelILj1024ELj64ELj4096ELj137ELj32EllfEEvT5_PKS1_S3_NS_24const_host_device_scalarIT6_EEPKT4_S3_PKS5_S9_S3_SB_S6_S9_S3_SB_S9_S3_PS5_21rocsparse_index_base_SD_SD_SD_bbb, .Lfunc_end90-_ZN9rocsparseL41csrgemm_numeric_fill_block_per_row_kernelILj1024ELj64ELj4096ELj137ELj32EllfEEvT5_PKS1_S3_NS_24const_host_device_scalarIT6_EEPKT4_S3_PKS5_S9_S3_SB_S6_S9_S3_SB_S9_S3_PS5_21rocsparse_index_base_SD_SD_SD_bbb
                                        ; -- End function
	.set _ZN9rocsparseL41csrgemm_numeric_fill_block_per_row_kernelILj1024ELj64ELj4096ELj137ELj32EllfEEvT5_PKS1_S3_NS_24const_host_device_scalarIT6_EEPKT4_S3_PKS5_S9_S3_SB_S6_S9_S3_SB_S9_S3_PS5_21rocsparse_index_base_SD_SD_SD_bbb.num_vgpr, 23
	.set _ZN9rocsparseL41csrgemm_numeric_fill_block_per_row_kernelILj1024ELj64ELj4096ELj137ELj32EllfEEvT5_PKS1_S3_NS_24const_host_device_scalarIT6_EEPKT4_S3_PKS5_S9_S3_SB_S6_S9_S3_SB_S9_S3_PS5_21rocsparse_index_base_SD_SD_SD_bbb.num_agpr, 0
	.set _ZN9rocsparseL41csrgemm_numeric_fill_block_per_row_kernelILj1024ELj64ELj4096ELj137ELj32EllfEEvT5_PKS1_S3_NS_24const_host_device_scalarIT6_EEPKT4_S3_PKS5_S9_S3_SB_S6_S9_S3_SB_S9_S3_PS5_21rocsparse_index_base_SD_SD_SD_bbb.numbered_sgpr, 52
	.set _ZN9rocsparseL41csrgemm_numeric_fill_block_per_row_kernelILj1024ELj64ELj4096ELj137ELj32EllfEEvT5_PKS1_S3_NS_24const_host_device_scalarIT6_EEPKT4_S3_PKS5_S9_S3_SB_S6_S9_S3_SB_S9_S3_PS5_21rocsparse_index_base_SD_SD_SD_bbb.num_named_barrier, 0
	.set _ZN9rocsparseL41csrgemm_numeric_fill_block_per_row_kernelILj1024ELj64ELj4096ELj137ELj32EllfEEvT5_PKS1_S3_NS_24const_host_device_scalarIT6_EEPKT4_S3_PKS5_S9_S3_SB_S6_S9_S3_SB_S9_S3_PS5_21rocsparse_index_base_SD_SD_SD_bbb.private_seg_size, 0
	.set _ZN9rocsparseL41csrgemm_numeric_fill_block_per_row_kernelILj1024ELj64ELj4096ELj137ELj32EllfEEvT5_PKS1_S3_NS_24const_host_device_scalarIT6_EEPKT4_S3_PKS5_S9_S3_SB_S6_S9_S3_SB_S9_S3_PS5_21rocsparse_index_base_SD_SD_SD_bbb.uses_vcc, 1
	.set _ZN9rocsparseL41csrgemm_numeric_fill_block_per_row_kernelILj1024ELj64ELj4096ELj137ELj32EllfEEvT5_PKS1_S3_NS_24const_host_device_scalarIT6_EEPKT4_S3_PKS5_S9_S3_SB_S6_S9_S3_SB_S9_S3_PS5_21rocsparse_index_base_SD_SD_SD_bbb.uses_flat_scratch, 0
	.set _ZN9rocsparseL41csrgemm_numeric_fill_block_per_row_kernelILj1024ELj64ELj4096ELj137ELj32EllfEEvT5_PKS1_S3_NS_24const_host_device_scalarIT6_EEPKT4_S3_PKS5_S9_S3_SB_S6_S9_S3_SB_S9_S3_PS5_21rocsparse_index_base_SD_SD_SD_bbb.has_dyn_sized_stack, 0
	.set _ZN9rocsparseL41csrgemm_numeric_fill_block_per_row_kernelILj1024ELj64ELj4096ELj137ELj32EllfEEvT5_PKS1_S3_NS_24const_host_device_scalarIT6_EEPKT4_S3_PKS5_S9_S3_SB_S6_S9_S3_SB_S9_S3_PS5_21rocsparse_index_base_SD_SD_SD_bbb.has_recursion, 0
	.set _ZN9rocsparseL41csrgemm_numeric_fill_block_per_row_kernelILj1024ELj64ELj4096ELj137ELj32EllfEEvT5_PKS1_S3_NS_24const_host_device_scalarIT6_EEPKT4_S3_PKS5_S9_S3_SB_S6_S9_S3_SB_S9_S3_PS5_21rocsparse_index_base_SD_SD_SD_bbb.has_indirect_call, 0
	.section	.AMDGPU.csdata,"",@progbits
; Kernel info:
; codeLenInByte = 4164
; TotalNumSgprs: 54
; NumVgprs: 23
; ScratchSize: 0
; MemoryBound: 0
; FloatMode: 240
; IeeeMode: 1
; LDSByteSize: 0 bytes/workgroup (compile time only)
; SGPRBlocks: 0
; VGPRBlocks: 1
; NumSGPRsForWavesPerEU: 54
; NumVGPRsForWavesPerEU: 23
; NamedBarCnt: 0
; Occupancy: 16
; WaveLimiterHint : 1
; COMPUTE_PGM_RSRC2:SCRATCH_EN: 0
; COMPUTE_PGM_RSRC2:USER_SGPR: 2
; COMPUTE_PGM_RSRC2:TRAP_HANDLER: 0
; COMPUTE_PGM_RSRC2:TGID_X_EN: 1
; COMPUTE_PGM_RSRC2:TGID_Y_EN: 0
; COMPUTE_PGM_RSRC2:TGID_Z_EN: 0
; COMPUTE_PGM_RSRC2:TIDIG_COMP_CNT: 0
	.section	.text._ZN9rocsparseL41csrgemm_numeric_fill_block_per_row_kernelILj1024ELj64ELj4096ELj137ELj64EllfEEvT5_PKS1_S3_NS_24const_host_device_scalarIT6_EEPKT4_S3_PKS5_S9_S3_SB_S6_S9_S3_SB_S9_S3_PS5_21rocsparse_index_base_SD_SD_SD_bbb,"axG",@progbits,_ZN9rocsparseL41csrgemm_numeric_fill_block_per_row_kernelILj1024ELj64ELj4096ELj137ELj64EllfEEvT5_PKS1_S3_NS_24const_host_device_scalarIT6_EEPKT4_S3_PKS5_S9_S3_SB_S6_S9_S3_SB_S9_S3_PS5_21rocsparse_index_base_SD_SD_SD_bbb,comdat
	.globl	_ZN9rocsparseL41csrgemm_numeric_fill_block_per_row_kernelILj1024ELj64ELj4096ELj137ELj64EllfEEvT5_PKS1_S3_NS_24const_host_device_scalarIT6_EEPKT4_S3_PKS5_S9_S3_SB_S6_S9_S3_SB_S9_S3_PS5_21rocsparse_index_base_SD_SD_SD_bbb ; -- Begin function _ZN9rocsparseL41csrgemm_numeric_fill_block_per_row_kernelILj1024ELj64ELj4096ELj137ELj64EllfEEvT5_PKS1_S3_NS_24const_host_device_scalarIT6_EEPKT4_S3_PKS5_S9_S3_SB_S6_S9_S3_SB_S9_S3_PS5_21rocsparse_index_base_SD_SD_SD_bbb
	.p2align	8
	.type	_ZN9rocsparseL41csrgemm_numeric_fill_block_per_row_kernelILj1024ELj64ELj4096ELj137ELj64EllfEEvT5_PKS1_S3_NS_24const_host_device_scalarIT6_EEPKT4_S3_PKS5_S9_S3_SB_S6_S9_S3_SB_S9_S3_PS5_21rocsparse_index_base_SD_SD_SD_bbb,@function
_ZN9rocsparseL41csrgemm_numeric_fill_block_per_row_kernelILj1024ELj64ELj4096ELj137ELj64EllfEEvT5_PKS1_S3_NS_24const_host_device_scalarIT6_EEPKT4_S3_PKS5_S9_S3_SB_S6_S9_S3_SB_S9_S3_PS5_21rocsparse_index_base_SD_SD_SD_bbb: ; @_ZN9rocsparseL41csrgemm_numeric_fill_block_per_row_kernelILj1024ELj64ELj4096ELj137ELj64EllfEEvT5_PKS1_S3_NS_24const_host_device_scalarIT6_EEPKT4_S3_PKS5_S9_S3_SB_S6_S9_S3_SB_S9_S3_PS5_21rocsparse_index_base_SD_SD_SD_bbb
; %bb.0:
	s_clause 0x3
	s_load_b32 s6, s[0:1], 0x98
	s_load_b64 s[2:3], s[0:1], 0x18
	s_load_b128 s[20:23], s[0:1], 0x88
	s_load_b64 s[4:5], s[0:1], 0x50
	s_wait_kmcnt 0x0
	s_and_b32 s8, 1, s6
	s_bitcmp1_b32 s6, 16
	s_cselect_b32 s7, -1, 0
	s_cmp_eq_u32 s8, 1
	s_cselect_b32 s38, -1, 0
	s_delay_alu instid0(SALU_CYCLE_1) | instskip(SKIP_2) | instid1(SALU_CYCLE_1)
	s_and_b32 s8, s38, exec_lo
	s_cselect_b32 s36, s2, 0
	s_xor_b32 s8, s38, -1
	s_or_b32 s8, s7, s8
	s_delay_alu instid0(SALU_CYCLE_1)
	s_and_b32 vcc_lo, exec_lo, s8
	s_cbranch_vccnz .LBB91_2
; %bb.1:
	s_load_b32 s36, s[2:3], 0x0
.LBB91_2:
	s_wait_xcnt 0x0
	s_load_b64 s[2:3], s[0:1], 0x8
	s_bitcmp1_b32 s6, 8
	s_cselect_b32 s37, -1, 0
	s_delay_alu instid0(SALU_CYCLE_1) | instskip(SKIP_2) | instid1(SALU_CYCLE_1)
	s_and_b32 s6, s37, exec_lo
	s_cselect_b32 s33, s4, 0
	s_xor_b32 s6, s37, -1
	s_or_b32 s6, s7, s6
	s_delay_alu instid0(SALU_CYCLE_1)
	s_and_b32 vcc_lo, exec_lo, s6
	s_cbranch_vccnz .LBB91_4
; %bb.3:
	s_load_b32 s33, s[4:5], 0x0
.LBB91_4:
	s_clause 0x4
	s_load_b64 s[30:31], s[0:1], 0x0
	s_load_b64 s[34:35], s[0:1], 0x10
	;; [unrolled: 1-line block ×3, first 2 shown]
	s_load_b256 s[12:19], s[0:1], 0x58
	s_load_b128 s[24:27], s[0:1], 0x40
	s_wait_xcnt 0x0
	s_load_b256 s[4:11], s[0:1], 0x20
	v_lshl_add_u32 v20, v0, 3, 0
	v_lshlrev_b32_e32 v1, 2, v0
	v_or_b32_e32 v21, 0xfffffc00, v0
	s_wait_xcnt 0x0
	s_mov_b32 s0, 0
	v_mov_b32_e32 v4, v20
	v_add3_u32 v22, v1, 0, 0x8000
	v_dual_mov_b32 v1, 0 :: v_dual_mov_b32 v5, v21
	s_delay_alu instid0(VALU_DEP_2)
	v_mov_b32_e32 v6, v22
	s_wait_kmcnt 0x0
	v_mov_b64_e32 v[2:3], s[30:31]
.LBB91_5:                               ; =>This Inner Loop Header: Depth=1
	s_delay_alu instid0(VALU_DEP_3)
	v_add_nc_u32_e32 v5, 0x400, v5
	ds_store_b64 v4, v[2:3]
	ds_store_b32 v6, v1
	v_add_nc_u32_e32 v6, 0x1000, v6
	v_add_nc_u32_e32 v4, 0x2000, v4
	v_cmp_lt_u32_e32 vcc_lo, 0xbff, v5
	s_or_b32 s0, vcc_lo, s0
	s_delay_alu instid0(SALU_CYCLE_1)
	s_and_not1_b32 exec_lo, exec_lo, s0
	s_cbranch_execnz .LBB91_5
; %bb.6:
	s_or_b32 exec_lo, exec_lo, s0
	s_wait_dscnt 0x0
	s_barrier_signal -1
	s_barrier_wait -1
	s_load_b64 s[0:1], s[2:3], 0x0
	s_wait_xcnt 0x0
	s_bfe_u32 s2, ttmp6, 0x4000c
	s_and_b32 s3, ttmp6, 15
	s_add_co_i32 s2, s2, 1
	s_getreg_b32 s39, hwreg(HW_REG_IB_STS2, 6, 4)
	s_mul_i32 s2, ttmp9, s2
	v_lshrrev_b32_e32 v2, 6, v0
	s_add_co_i32 s3, s3, s2
	s_wait_kmcnt 0x0
	s_lshl_b64 s[0:1], s[0:1], 3
	s_cmp_eq_u32 s39, 0
	s_add_nc_u64 s[0:1], s[34:35], s[0:1]
	s_cselect_b32 s2, ttmp9, s3
	s_and_b32 vcc_lo, exec_lo, s38
	s_load_b64 s[34:35], s[0:1], s2 offset:0x0 scale_offset
	s_wait_xcnt 0x0
	s_mov_b32 s1, 0
	s_cbranch_vccz .LBB91_26
; %bb.7:
	s_wait_kmcnt 0x0
	s_lshl_b64 s[2:3], s[34:35], 3
	v_mov_b32_e32 v3, 0
	s_add_nc_u64 s[2:3], s[4:5], s[2:3]
	s_mov_b32 s0, s20
	s_load_b128 s[40:43], s[2:3], 0x0
	s_mov_b32 s20, exec_lo
	v_sub_nc_u64_e64 v[4:5], v[2:3], s[0:1]
	s_wait_kmcnt 0x0
	s_delay_alu instid0(VALU_DEP_1)
	v_add_nc_u64_e32 v[4:5], s[40:41], v[4:5]
	s_sub_nc_u64 s[2:3], s[42:43], s[0:1]
	s_delay_alu instid0(VALU_DEP_1) | instid1(SALU_CYCLE_1)
	v_cmpx_gt_i64_e64 s[2:3], v[4:5]
	s_cbranch_execz .LBB91_25
; %bb.8:
	v_dual_mov_b32 v7, v3 :: v_dual_bitop2_b32 v6, 63, v0 bitop3:0x40
	s_mov_b32 s5, 0
	s_mov_b32 s4, s21
	;; [unrolled: 1-line block ×3, first 2 shown]
	s_delay_alu instid0(VALU_DEP_1)
	v_sub_nc_u64_e64 v[6:7], v[6:7], s[4:5]
	s_branch .LBB91_10
.LBB91_9:                               ;   in Loop: Header=BB91_10 Depth=1
	s_or_b32 exec_lo, exec_lo, s38
	v_add_nc_u64_e32 v[4:5], 16, v[4:5]
	s_delay_alu instid0(VALU_DEP_1) | instskip(SKIP_1) | instid1(SALU_CYCLE_1)
	v_cmp_le_i64_e32 vcc_lo, s[2:3], v[4:5]
	s_or_b32 s21, vcc_lo, s21
	s_and_not1_b32 exec_lo, exec_lo, s21
	s_cbranch_execz .LBB91_25
.LBB91_10:                              ; =>This Loop Header: Depth=1
                                        ;     Child Loop BB91_14 Depth 2
                                        ;       Child Loop BB91_17 Depth 3
	v_lshl_add_u64 v[8:9], v[4:5], 3, s[6:7]
	s_mov_b32 s38, exec_lo
	global_load_b64 v[8:9], v[8:9], off
	s_wait_loadcnt 0x0
	s_wait_xcnt 0x0
	v_sub_nc_u64_e64 v[8:9], v[8:9], s[0:1]
	s_delay_alu instid0(VALU_DEP_1)
	v_lshl_add_u64 v[8:9], v[8:9], 3, s[10:11]
	global_load_b128 v[10:13], v[8:9], off
	s_wait_loadcnt 0x0
	s_wait_xcnt 0x0
	v_sub_nc_u64_e64 v[8:9], v[12:13], s[4:5]
	v_add_nc_u64_e32 v[10:11], v[10:11], v[6:7]
	s_delay_alu instid0(VALU_DEP_1)
	v_cmpx_lt_i64_e64 v[10:11], v[8:9]
	s_cbranch_execz .LBB91_9
; %bb.11:                               ;   in Loop: Header=BB91_10 Depth=1
	v_lshl_add_u64 v[12:13], v[4:5], 2, s[8:9]
	s_mov_b32 s39, 0
	global_load_b32 v1, v[12:13], off
	s_wait_loadcnt 0x0
	v_mul_f32_e32 v1, s36, v1
	s_branch .LBB91_14
.LBB91_12:                              ;   in Loop: Header=BB91_14 Depth=2
	s_or_b32 exec_lo, exec_lo, s41
.LBB91_13:                              ;   in Loop: Header=BB91_14 Depth=2
	s_delay_alu instid0(SALU_CYCLE_1)
	s_or_b32 exec_lo, exec_lo, s40
	s_wait_loadcnt 0x0
	v_mul_f32_e32 v3, v1, v3
	v_lshl_add_u32 v12, v12, 2, 0
	v_add_nc_u64_e32 v[10:11], 64, v[10:11]
	ds_add_f32 v12, v3 offset:32768
	v_cmp_ge_i64_e32 vcc_lo, v[10:11], v[8:9]
	s_or_b32 s39, vcc_lo, s39
	s_delay_alu instid0(SALU_CYCLE_1)
	s_and_not1_b32 exec_lo, exec_lo, s39
	s_cbranch_execz .LBB91_9
.LBB91_14:                              ;   Parent Loop BB91_10 Depth=1
                                        ; =>  This Loop Header: Depth=2
                                        ;       Child Loop BB91_17 Depth 3
	s_wait_xcnt 0x0
	v_lshl_add_u64 v[12:13], v[10:11], 3, s[24:25]
	v_lshl_add_u64 v[14:15], v[10:11], 2, s[26:27]
	s_mov_b32 s40, exec_lo
	global_load_b64 v[12:13], v[12:13], off
	global_load_b32 v3, v[14:15], off
	s_wait_loadcnt 0x1
	s_wait_xcnt 0x0
	v_sub_nc_u64_e64 v[14:15], v[12:13], s[4:5]
	s_delay_alu instid0(VALU_DEP_1) | instskip(NEXT) | instid1(VALU_DEP_1)
	v_mul_lo_u32 v12, 0x89, v14
	v_and_b32_e32 v12, 0xfff, v12
	s_delay_alu instid0(VALU_DEP_1)
	v_lshl_add_u32 v23, v12, 3, 0
	ds_load_b64 v[18:19], v23
	s_wait_dscnt 0x0
	v_cmpx_ne_u64_e64 v[18:19], v[14:15]
	s_cbranch_execz .LBB91_13
; %bb.15:                               ;   in Loop: Header=BB91_14 Depth=2
	s_mov_b32 s41, 0
                                        ; implicit-def: $sgpr42
                                        ; implicit-def: $sgpr43
	s_branch .LBB91_17
.LBB91_16:                              ;   in Loop: Header=BB91_17 Depth=3
	s_or_b32 exec_lo, exec_lo, s46
	s_delay_alu instid0(SALU_CYCLE_1) | instskip(NEXT) | instid1(SALU_CYCLE_1)
	s_and_b32 s44, exec_lo, s45
	s_or_b32 s41, s44, s41
	s_and_not1_b32 s42, s42, exec_lo
	s_and_b32 s44, s43, exec_lo
	s_delay_alu instid0(SALU_CYCLE_1)
	s_or_b32 s42, s42, s44
	s_and_not1_b32 exec_lo, exec_lo, s41
	s_cbranch_execz .LBB91_23
.LBB91_17:                              ;   Parent Loop BB91_10 Depth=1
                                        ;     Parent Loop BB91_14 Depth=2
                                        ; =>    This Inner Loop Header: Depth=3
	v_mov_b64_e32 v[16:17], v[12:13]
	s_mov_b32 s44, 0
	s_mov_b32 s45, exec_lo
                                        ; implicit-def: $vgpr12_vgpr13
	v_cmpx_ne_u64_e64 s[30:31], v[18:19]
	s_xor_b32 s45, exec_lo, s45
; %bb.18:                               ;   in Loop: Header=BB91_17 Depth=3
	s_delay_alu instid0(VALU_DEP_2) | instskip(SKIP_1) | instid1(VALU_DEP_1)
	v_add_nc_u32_e32 v12, 1, v16
	s_mov_b32 s44, exec_lo
                                        ; implicit-def: $vgpr23
	v_and_b32_e32 v12, 0xfff, v12
; %bb.19:                               ;   in Loop: Header=BB91_17 Depth=3
	s_and_not1_saveexec_b32 s45, s45
	s_cbranch_execz .LBB91_21
; %bb.20:                               ;   in Loop: Header=BB91_17 Depth=3
	v_mov_b64_e32 v[12:13], s[30:31]
	s_and_not1_b32 s44, s44, exec_lo
	ds_cmpstore_rtn_b64 v[12:13], v23, v[14:15], v[12:13]
	s_wait_dscnt 0x0
	v_cmp_ne_u64_e32 vcc_lo, s[30:31], v[12:13]
	v_mov_b64_e32 v[12:13], v[16:17]
	s_and_b32 s46, vcc_lo, exec_lo
	s_delay_alu instid0(SALU_CYCLE_1)
	s_or_b32 s44, s44, s46
.LBB91_21:                              ;   in Loop: Header=BB91_17 Depth=3
	s_or_b32 exec_lo, exec_lo, s45
	s_mov_b32 s45, -1
	s_or_b32 s43, s43, exec_lo
                                        ; implicit-def: $vgpr23
                                        ; implicit-def: $vgpr18_vgpr19
	s_and_saveexec_b32 s46, s44
	s_cbranch_execz .LBB91_16
; %bb.22:                               ;   in Loop: Header=BB91_17 Depth=3
	v_lshl_add_u32 v23, v12, 3, 0
	s_and_not1_b32 s43, s43, exec_lo
	ds_load_b64 v[18:19], v23
	s_wait_dscnt 0x0
	v_cmp_eq_u64_e32 vcc_lo, v[18:19], v[14:15]
	s_or_not1_b32 s45, vcc_lo, exec_lo
	s_branch .LBB91_16
.LBB91_23:                              ;   in Loop: Header=BB91_14 Depth=2
	s_or_b32 exec_lo, exec_lo, s41
	s_and_saveexec_b32 s41, s42
	s_delay_alu instid0(SALU_CYCLE_1)
	s_xor_b32 s41, exec_lo, s41
	s_cbranch_execz .LBB91_12
; %bb.24:                               ;   in Loop: Header=BB91_14 Depth=2
	v_mov_b32_e32 v12, v16
	s_branch .LBB91_12
.LBB91_25:
	s_or_b32 exec_lo, exec_lo, s20
.LBB91_26:
	s_delay_alu instid0(SALU_CYCLE_1)
	s_and_not1_b32 vcc_lo, exec_lo, s37
	s_cbranch_vccnz .LBB91_43
; %bb.27:
	s_wait_kmcnt 0x0
	s_lshl_b64 s[0:1], s[34:35], 3
	v_mov_b32_e32 v1, 0
	s_add_nc_u64 s[0:1], s[12:13], s[0:1]
	s_load_b128 s[4:7], s[0:1], 0x0
	s_wait_xcnt 0x0
	s_mov_b32 s1, 0
	s_mov_b32 s0, s23
	s_delay_alu instid0(SALU_CYCLE_1) | instskip(SKIP_1) | instid1(VALU_DEP_1)
	v_sub_nc_u64_e64 v[4:5], v[0:1], s[0:1]
	s_wait_kmcnt 0x0
	v_add_nc_u64_e32 v[4:5], s[4:5], v[4:5]
	s_sub_nc_u64 s[2:3], s[6:7], s[0:1]
	s_mov_b32 s4, exec_lo
	s_delay_alu instid0(VALU_DEP_1)
	v_cmpx_gt_i64_e64 s[2:3], v[4:5]
	s_cbranch_execz .LBB91_42
; %bb.28:
	s_mov_b32 s5, s1
	s_branch .LBB91_31
.LBB91_29:                              ;   in Loop: Header=BB91_31 Depth=1
	s_or_b32 exec_lo, exec_lo, s7
.LBB91_30:                              ;   in Loop: Header=BB91_31 Depth=1
	s_delay_alu instid0(SALU_CYCLE_1)
	s_or_b32 exec_lo, exec_lo, s6
	s_wait_loadcnt 0x0
	v_mul_f32_e32 v1, s33, v1
	v_lshl_add_u32 v3, v6, 2, 0
	v_add_nc_u64_e32 v[4:5], 0x400, v[4:5]
	ds_add_f32 v3, v1 offset:32768
	v_cmp_le_i64_e32 vcc_lo, s[2:3], v[4:5]
	s_or_b32 s5, vcc_lo, s5
	s_delay_alu instid0(SALU_CYCLE_1)
	s_and_not1_b32 exec_lo, exec_lo, s5
	s_cbranch_execz .LBB91_42
.LBB91_31:                              ; =>This Loop Header: Depth=1
                                        ;     Child Loop BB91_34 Depth 2
	v_lshl_add_u64 v[6:7], v[4:5], 3, s[14:15]
	v_lshl_add_u64 v[8:9], v[4:5], 2, s[16:17]
	s_mov_b32 s6, exec_lo
	global_load_b64 v[6:7], v[6:7], off
	global_load_b32 v1, v[8:9], off
	s_wait_loadcnt 0x1
	s_wait_xcnt 0x0
	v_sub_nc_u64_e64 v[8:9], v[6:7], s[0:1]
	s_delay_alu instid0(VALU_DEP_1) | instskip(NEXT) | instid1(VALU_DEP_1)
	v_mul_lo_u32 v3, 0x89, v8
	v_and_b32_e32 v6, 0xfff, v3
	s_delay_alu instid0(VALU_DEP_1)
	v_lshl_add_u32 v3, v6, 3, 0
	ds_load_b64 v[12:13], v3
	s_wait_dscnt 0x0
	v_cmpx_ne_u64_e64 v[12:13], v[8:9]
	s_cbranch_execz .LBB91_30
; %bb.32:                               ;   in Loop: Header=BB91_31 Depth=1
	s_mov_b32 s7, 0
                                        ; implicit-def: $sgpr8
                                        ; implicit-def: $sgpr9
	s_branch .LBB91_34
.LBB91_33:                              ;   in Loop: Header=BB91_34 Depth=2
	s_or_b32 exec_lo, exec_lo, s12
	s_delay_alu instid0(SALU_CYCLE_1) | instskip(NEXT) | instid1(SALU_CYCLE_1)
	s_and_b32 s10, exec_lo, s11
	s_or_b32 s7, s10, s7
	s_and_not1_b32 s8, s8, exec_lo
	s_and_b32 s10, s9, exec_lo
	s_delay_alu instid0(SALU_CYCLE_1)
	s_or_b32 s8, s8, s10
	s_and_not1_b32 exec_lo, exec_lo, s7
	s_cbranch_execz .LBB91_40
.LBB91_34:                              ;   Parent Loop BB91_31 Depth=1
                                        ; =>  This Inner Loop Header: Depth=2
	v_mov_b64_e32 v[10:11], v[6:7]
	s_mov_b32 s10, 0
	s_mov_b32 s11, exec_lo
                                        ; implicit-def: $vgpr6_vgpr7
	v_cmpx_ne_u64_e64 s[30:31], v[12:13]
	s_xor_b32 s11, exec_lo, s11
; %bb.35:                               ;   in Loop: Header=BB91_34 Depth=2
	s_delay_alu instid0(VALU_DEP_2) | instskip(SKIP_1) | instid1(VALU_DEP_1)
	v_add_nc_u32_e32 v3, 1, v10
	s_mov_b32 s10, exec_lo
	v_and_b32_e32 v6, 0xfff, v3
                                        ; implicit-def: $vgpr3
; %bb.36:                               ;   in Loop: Header=BB91_34 Depth=2
	s_and_not1_saveexec_b32 s11, s11
	s_cbranch_execz .LBB91_38
; %bb.37:                               ;   in Loop: Header=BB91_34 Depth=2
	v_mov_b64_e32 v[6:7], s[30:31]
	s_and_not1_b32 s10, s10, exec_lo
	ds_cmpstore_rtn_b64 v[6:7], v3, v[8:9], v[6:7]
	s_wait_dscnt 0x0
	v_cmp_ne_u64_e32 vcc_lo, s[30:31], v[6:7]
	v_mov_b64_e32 v[6:7], v[10:11]
	s_and_b32 s12, vcc_lo, exec_lo
	s_delay_alu instid0(SALU_CYCLE_1)
	s_or_b32 s10, s10, s12
.LBB91_38:                              ;   in Loop: Header=BB91_34 Depth=2
	s_or_b32 exec_lo, exec_lo, s11
	s_mov_b32 s11, -1
	s_or_b32 s9, s9, exec_lo
                                        ; implicit-def: $vgpr3
                                        ; implicit-def: $vgpr12_vgpr13
	s_and_saveexec_b32 s12, s10
	s_cbranch_execz .LBB91_33
; %bb.39:                               ;   in Loop: Header=BB91_34 Depth=2
	v_lshl_add_u32 v3, v6, 3, 0
	s_and_not1_b32 s9, s9, exec_lo
	ds_load_b64 v[12:13], v3
	s_wait_dscnt 0x0
	v_cmp_eq_u64_e32 vcc_lo, v[12:13], v[8:9]
	s_or_not1_b32 s11, vcc_lo, exec_lo
	s_branch .LBB91_33
.LBB91_40:                              ;   in Loop: Header=BB91_31 Depth=1
	s_or_b32 exec_lo, exec_lo, s7
	s_and_saveexec_b32 s7, s8
	s_delay_alu instid0(SALU_CYCLE_1)
	s_xor_b32 s7, exec_lo, s7
	s_cbranch_execz .LBB91_29
; %bb.41:                               ;   in Loop: Header=BB91_31 Depth=1
	v_mov_b32_e32 v6, v10
	s_branch .LBB91_29
.LBB91_42:
	s_or_b32 exec_lo, exec_lo, s4
.LBB91_43:
	v_mbcnt_lo_u32_b32 v4, -1, 0
	v_mov_b32_e32 v3, 0
	v_lshl_add_u32 v1, v2, 3, 0
	v_mov_b64_e32 v[6:7], 0
	v_cmp_lt_u32_e64 s0, 63, v0
	v_xor_b32_e32 v2, 31, v4
	v_cmp_lt_u32_e64 s1, 0x7f, v0
	v_cmp_lt_u32_e64 s2, 0xbf, v0
	;; [unrolled: 1-line block ×4, first 2 shown]
	v_lshrrev_b32_e64 v4, v2, -1
	v_cmp_lt_u32_e64 s5, 0x17f, v0
	v_cmp_lt_u32_e64 s6, 0x1bf, v0
	;; [unrolled: 1-line block ×10, first 2 shown]
	s_mov_b32 s16, 0
	s_wait_dscnt 0x0
	v_cmp_eq_u32_e32 vcc_lo, 0x3ff, v0
	s_barrier_signal -1
	s_barrier_wait -1
	s_branch .LBB91_45
.LBB91_44:                              ;   in Loop: Header=BB91_45 Depth=1
	s_or_b32 exec_lo, exec_lo, s15
	s_wait_dscnt 0x0
	s_barrier_signal -1
	s_barrier_wait -1
	ds_load_b64 v[8:9], v3 offset:49272
	v_add_nc_u32_e32 v21, 0x400, v21
	v_add_nc_u32_e32 v22, 0x1000, v22
	;; [unrolled: 1-line block ×3, first 2 shown]
	s_delay_alu instid0(VALU_DEP_3)
	v_cmp_lt_u32_e64 s15, 0xbff, v21
	s_or_b32 s16, s15, s16
	s_wait_dscnt 0x0
	v_add_nc_u64_e32 v[6:7], v[8:9], v[6:7]
	s_and_not1_b32 exec_lo, exec_lo, s16
	s_cbranch_execz .LBB91_79
.LBB91_45:                              ; =>This Inner Loop Header: Depth=1
	ds_load_b64 v[8:9], v20
	ds_load_b32 v5, v22
	s_wait_dscnt 0x0
	s_barrier_signal -1
	s_barrier_wait -1
	v_cmp_gt_i64_e64 s15, s[30:31], v[8:9]
	s_bcnt1_i32_b32 s17, s15
	s_delay_alu instid0(SALU_CYCLE_1) | instskip(NEXT) | instid1(VALU_DEP_1)
	v_dual_mov_b32 v2, s17 :: v_dual_bitop2_b32 v10, s15, v4 bitop3:0x40
	v_bcnt_u32_b32 v10, v10, 0
	ds_store_b64 v1, v[2:3] offset:49152
	s_wait_dscnt 0x0
	s_barrier_signal -1
	s_barrier_wait -1
	s_and_saveexec_b32 s17, s0
	s_cbranch_execnz .LBB91_62
; %bb.46:                               ;   in Loop: Header=BB91_45 Depth=1
	s_or_b32 exec_lo, exec_lo, s17
	s_and_saveexec_b32 s17, s1
	s_cbranch_execnz .LBB91_63
.LBB91_47:                              ;   in Loop: Header=BB91_45 Depth=1
	s_or_b32 exec_lo, exec_lo, s17
	s_and_saveexec_b32 s17, s2
	s_cbranch_execnz .LBB91_64
.LBB91_48:                              ;   in Loop: Header=BB91_45 Depth=1
	s_or_b32 exec_lo, exec_lo, s17
	s_and_saveexec_b32 s17, s3
	s_cbranch_execnz .LBB91_65
.LBB91_49:                              ;   in Loop: Header=BB91_45 Depth=1
	s_or_b32 exec_lo, exec_lo, s17
	s_and_saveexec_b32 s17, s4
	s_cbranch_execnz .LBB91_66
.LBB91_50:                              ;   in Loop: Header=BB91_45 Depth=1
	s_or_b32 exec_lo, exec_lo, s17
	s_and_saveexec_b32 s17, s5
	s_cbranch_execnz .LBB91_67
.LBB91_51:                              ;   in Loop: Header=BB91_45 Depth=1
	s_or_b32 exec_lo, exec_lo, s17
	s_and_saveexec_b32 s17, s6
	s_cbranch_execnz .LBB91_68
.LBB91_52:                              ;   in Loop: Header=BB91_45 Depth=1
	s_or_b32 exec_lo, exec_lo, s17
	s_and_saveexec_b32 s17, s7
	s_cbranch_execnz .LBB91_69
.LBB91_53:                              ;   in Loop: Header=BB91_45 Depth=1
	s_or_b32 exec_lo, exec_lo, s17
	s_and_saveexec_b32 s17, s8
	s_cbranch_execnz .LBB91_70
.LBB91_54:                              ;   in Loop: Header=BB91_45 Depth=1
	s_or_b32 exec_lo, exec_lo, s17
	s_and_saveexec_b32 s17, s9
	s_cbranch_execnz .LBB91_71
.LBB91_55:                              ;   in Loop: Header=BB91_45 Depth=1
	s_or_b32 exec_lo, exec_lo, s17
	s_and_saveexec_b32 s17, s10
	s_cbranch_execnz .LBB91_72
.LBB91_56:                              ;   in Loop: Header=BB91_45 Depth=1
	s_or_b32 exec_lo, exec_lo, s17
	s_and_saveexec_b32 s17, s11
	s_cbranch_execnz .LBB91_73
.LBB91_57:                              ;   in Loop: Header=BB91_45 Depth=1
	s_or_b32 exec_lo, exec_lo, s17
	s_and_saveexec_b32 s17, s12
	s_cbranch_execnz .LBB91_74
.LBB91_58:                              ;   in Loop: Header=BB91_45 Depth=1
	s_or_b32 exec_lo, exec_lo, s17
	s_and_saveexec_b32 s17, s13
	s_cbranch_execnz .LBB91_75
.LBB91_59:                              ;   in Loop: Header=BB91_45 Depth=1
	s_or_b32 exec_lo, exec_lo, s17
	s_and_saveexec_b32 s17, s14
	s_cbranch_execnz .LBB91_76
.LBB91_60:                              ;   in Loop: Header=BB91_45 Depth=1
	s_or_b32 exec_lo, exec_lo, s17
	v_ashrrev_i32_e32 v11, 31, v10
	s_and_saveexec_b32 s17, s15
	s_cbranch_execnz .LBB91_77
.LBB91_61:                              ;   in Loop: Header=BB91_45 Depth=1
	s_or_b32 exec_lo, exec_lo, s17
	s_and_saveexec_b32 s15, vcc_lo
	s_cbranch_execz .LBB91_44
	s_branch .LBB91_78
.LBB91_62:                              ;   in Loop: Header=BB91_45 Depth=1
	ds_load_b32 v2, v3 offset:49152
	s_wait_dscnt 0x0
	v_add_nc_u32_e32 v10, v2, v10
	s_or_b32 exec_lo, exec_lo, s17
	s_and_saveexec_b32 s17, s1
	s_cbranch_execz .LBB91_47
.LBB91_63:                              ;   in Loop: Header=BB91_45 Depth=1
	ds_load_b32 v2, v3 offset:49160
	s_wait_dscnt 0x0
	v_add_nc_u32_e32 v10, v10, v2
	s_or_b32 exec_lo, exec_lo, s17
	s_and_saveexec_b32 s17, s2
	s_cbranch_execz .LBB91_48
.LBB91_64:                              ;   in Loop: Header=BB91_45 Depth=1
	ds_load_b32 v2, v3 offset:49168
	s_wait_dscnt 0x0
	v_add_nc_u32_e32 v10, v10, v2
	s_or_b32 exec_lo, exec_lo, s17
	s_and_saveexec_b32 s17, s3
	s_cbranch_execz .LBB91_49
.LBB91_65:                              ;   in Loop: Header=BB91_45 Depth=1
	ds_load_b32 v2, v3 offset:49176
	s_wait_dscnt 0x0
	v_add_nc_u32_e32 v10, v10, v2
	s_or_b32 exec_lo, exec_lo, s17
	s_and_saveexec_b32 s17, s4
	s_cbranch_execz .LBB91_50
.LBB91_66:                              ;   in Loop: Header=BB91_45 Depth=1
	ds_load_b32 v2, v3 offset:49184
	s_wait_dscnt 0x0
	v_add_nc_u32_e32 v10, v10, v2
	s_or_b32 exec_lo, exec_lo, s17
	s_and_saveexec_b32 s17, s5
	s_cbranch_execz .LBB91_51
.LBB91_67:                              ;   in Loop: Header=BB91_45 Depth=1
	ds_load_b32 v2, v3 offset:49192
	s_wait_dscnt 0x0
	v_add_nc_u32_e32 v10, v10, v2
	s_or_b32 exec_lo, exec_lo, s17
	s_and_saveexec_b32 s17, s6
	s_cbranch_execz .LBB91_52
.LBB91_68:                              ;   in Loop: Header=BB91_45 Depth=1
	ds_load_b32 v2, v3 offset:49200
	s_wait_dscnt 0x0
	v_add_nc_u32_e32 v10, v10, v2
	s_or_b32 exec_lo, exec_lo, s17
	s_and_saveexec_b32 s17, s7
	s_cbranch_execz .LBB91_53
.LBB91_69:                              ;   in Loop: Header=BB91_45 Depth=1
	ds_load_b32 v2, v3 offset:49208
	s_wait_dscnt 0x0
	v_add_nc_u32_e32 v10, v10, v2
	s_or_b32 exec_lo, exec_lo, s17
	s_and_saveexec_b32 s17, s8
	s_cbranch_execz .LBB91_54
.LBB91_70:                              ;   in Loop: Header=BB91_45 Depth=1
	ds_load_b32 v2, v3 offset:49216
	s_wait_dscnt 0x0
	v_add_nc_u32_e32 v10, v10, v2
	s_or_b32 exec_lo, exec_lo, s17
	s_and_saveexec_b32 s17, s9
	s_cbranch_execz .LBB91_55
.LBB91_71:                              ;   in Loop: Header=BB91_45 Depth=1
	ds_load_b32 v2, v3 offset:49224
	s_wait_dscnt 0x0
	v_add_nc_u32_e32 v10, v10, v2
	s_or_b32 exec_lo, exec_lo, s17
	s_and_saveexec_b32 s17, s10
	s_cbranch_execz .LBB91_56
.LBB91_72:                              ;   in Loop: Header=BB91_45 Depth=1
	ds_load_b32 v2, v3 offset:49232
	s_wait_dscnt 0x0
	v_add_nc_u32_e32 v10, v10, v2
	s_or_b32 exec_lo, exec_lo, s17
	s_and_saveexec_b32 s17, s11
	s_cbranch_execz .LBB91_57
.LBB91_73:                              ;   in Loop: Header=BB91_45 Depth=1
	ds_load_b32 v2, v3 offset:49240
	s_wait_dscnt 0x0
	v_add_nc_u32_e32 v10, v10, v2
	s_or_b32 exec_lo, exec_lo, s17
	s_and_saveexec_b32 s17, s12
	s_cbranch_execz .LBB91_58
.LBB91_74:                              ;   in Loop: Header=BB91_45 Depth=1
	ds_load_b32 v2, v3 offset:49248
	s_wait_dscnt 0x0
	v_add_nc_u32_e32 v10, v10, v2
	s_or_b32 exec_lo, exec_lo, s17
	s_and_saveexec_b32 s17, s13
	s_cbranch_execz .LBB91_59
.LBB91_75:                              ;   in Loop: Header=BB91_45 Depth=1
	ds_load_b32 v2, v3 offset:49256
	s_wait_dscnt 0x0
	v_add_nc_u32_e32 v10, v10, v2
	s_or_b32 exec_lo, exec_lo, s17
	s_and_saveexec_b32 s17, s14
	s_cbranch_execz .LBB91_60
.LBB91_76:                              ;   in Loop: Header=BB91_45 Depth=1
	ds_load_b32 v2, v3 offset:49264
	s_wait_dscnt 0x0
	v_add_nc_u32_e32 v10, v10, v2
	s_or_b32 exec_lo, exec_lo, s17
	s_delay_alu instid0(VALU_DEP_1)
	v_ashrrev_i32_e32 v11, 31, v10
	s_and_saveexec_b32 s17, s15
	s_cbranch_execz .LBB91_61
.LBB91_77:                              ;   in Loop: Header=BB91_45 Depth=1
	v_add3_u32 v2, v6, -1, v10
	v_add_nc_u32_e32 v12, v6, v10
	s_delay_alu instid0(VALU_DEP_2) | instskip(NEXT) | instid1(VALU_DEP_2)
	v_lshl_add_u32 v2, v2, 3, 0
	v_lshl_add_u32 v12, v12, 2, 0
	ds_store_b64 v2, v[8:9]
	ds_store_b32 v12, v5 offset:32764
	s_or_b32 exec_lo, exec_lo, s17
	s_and_saveexec_b32 s15, vcc_lo
	s_cbranch_execz .LBB91_44
.LBB91_78:                              ;   in Loop: Header=BB91_45 Depth=1
	ds_store_b64 v3, v[10:11] offset:49272
	s_branch .LBB91_44
.LBB91_79:
	s_or_b32 exec_lo, exec_lo, s16
	s_wait_kmcnt 0x0
	s_lshl_b64 s[0:1], s[34:35], 3
	v_mov_b32_e32 v1, 0
	s_add_nc_u64 s[4:5], s[18:19], s[0:1]
	s_mov_b32 s6, exec_lo
	s_load_b128 s[0:3], s[4:5], 0x0
	s_wait_kmcnt 0x0
	s_sub_nc_u64 s[4:5], s[2:3], s[0:1]
	s_delay_alu instid0(SALU_CYCLE_1)
	v_cmpx_gt_i64_e64 s[4:5], v[0:1]
	s_cbranch_execz .LBB91_89
; %bb.80:
	s_sub_nc_u64 s[8:9], s[0:1], s[2:3]
	s_and_b64 s[6:7], s[4:5], 7
	v_cmp_lt_u64_e64 s10, s[8:9], -7
	s_and_b64 s[2:3], s[4:5], -8
	s_mov_b32 s23, 0
	s_cmp_lg_u64 s[6:7], 0
	s_sub_nc_u64 s[0:1], s[0:1], s[22:23]
	s_cselect_b32 s11, -1, 0
	s_mov_b32 s12, 0
	s_branch .LBB91_82
.LBB91_81:                              ;   in Loop: Header=BB91_82 Depth=1
	v_add_nc_u64_e32 v[0:1], 0x400, v[0:1]
	s_wait_dscnt 0x1
	s_delay_alu instid0(VALU_DEP_2)
	v_lshl_add_u64 v[2:3], v[4:5], 2, s[28:29]
	s_wait_dscnt 0x0
	global_store_b32 v[2:3], v6, off
	v_cmp_le_i64_e32 vcc_lo, s[4:5], v[0:1]
	s_or_b32 s12, vcc_lo, s12
	s_wait_xcnt 0x0
	s_and_not1_b32 exec_lo, exec_lo, s12
	s_cbranch_execz .LBB91_89
.LBB91_82:                              ; =>This Loop Header: Depth=1
                                        ;     Child Loop BB91_84 Depth 2
                                        ;     Child Loop BB91_88 Depth 2
	v_lshl_add_u32 v2, v0, 3, 0
	v_lshlrev_b32_e32 v3, 2, v0
	s_and_not1_b32 vcc_lo, exec_lo, s10
	s_mov_b64 s[8:9], 0
	s_delay_alu instid0(VALU_DEP_1)
	v_sub_nc_u32_e32 v4, v2, v3
	ds_load_b64 v[2:3], v2
	ds_load_b32 v6, v4 offset:32768
	v_mov_b64_e32 v[4:5], s[0:1]
	s_cbranch_vccnz .LBB91_86
; %bb.83:                               ;   in Loop: Header=BB91_82 Depth=1
	v_mov_b64_e32 v[4:5], s[0:1]
	s_mov_b32 s13, 0
.LBB91_84:                              ;   Parent Loop BB91_82 Depth=1
                                        ; =>  This Inner Loop Header: Depth=2
	s_delay_alu instid0(SALU_CYCLE_1)
	v_dual_mov_b32 v7, s13 :: v_dual_mov_b32 v17, s23
	s_add_nc_u64 s[8:9], s[8:9], 8
	s_add_co_i32 s13, s13, 64
	s_cmp_eq_u64 s[2:3], s[8:9]
	ds_load_2addr_b64 v[8:11], v7 offset1:1
	ds_load_2addr_b64 v[12:15], v7 offset0:2 offset1:3
	s_wait_dscnt 0x1
	v_cmp_gt_i64_e32 vcc_lo, v[2:3], v[8:9]
	v_cndmask_b32_e64 v16, 0, 1, vcc_lo
	v_cmp_gt_i64_e32 vcc_lo, v[2:3], v[10:11]
	ds_load_2addr_b64 v[8:11], v7 offset0:4 offset1:5
	v_add_nc_u64_e32 v[4:5], v[4:5], v[16:17]
	v_cndmask_b32_e64 v18, 0, 1, vcc_lo
	s_wait_dscnt 0x1
	v_cmp_gt_i64_e32 vcc_lo, v[2:3], v[12:13]
	v_cndmask_b32_e64 v16, 0, 1, vcc_lo
	v_cmp_gt_i64_e32 vcc_lo, v[2:3], v[14:15]
	ds_load_2addr_b64 v[12:15], v7 offset0:6 offset1:7
	v_mov_b32_e32 v19, s23
	s_delay_alu instid0(VALU_DEP_1) | instskip(SKIP_4) | instid1(VALU_DEP_4)
	v_add_nc_u64_e32 v[4:5], v[4:5], v[18:19]
	v_cndmask_b32_e64 v18, 0, 1, vcc_lo
	s_wait_dscnt 0x1
	v_cmp_gt_i64_e32 vcc_lo, v[2:3], v[8:9]
	v_mov_b32_e32 v9, s23
	v_add_nc_u64_e32 v[4:5], v[4:5], v[16:17]
	v_cndmask_b32_e64 v16, 0, 1, vcc_lo
	v_cmp_gt_i64_e32 vcc_lo, v[2:3], v[10:11]
	v_mov_b32_e32 v11, s23
	s_delay_alu instid0(VALU_DEP_4) | instskip(SKIP_3) | instid1(VALU_DEP_3)
	v_add_nc_u64_e32 v[4:5], v[4:5], v[18:19]
	v_cndmask_b32_e64 v8, 0, 1, vcc_lo
	s_wait_dscnt 0x0
	v_cmp_gt_i64_e32 vcc_lo, v[2:3], v[12:13]
	v_add_nc_u64_e32 v[4:5], v[4:5], v[16:17]
	v_cndmask_b32_e64 v10, 0, 1, vcc_lo
	v_cmp_gt_i64_e32 vcc_lo, v[2:3], v[14:15]
	s_delay_alu instid0(VALU_DEP_3) | instskip(SKIP_1) | instid1(VALU_DEP_2)
	v_add_nc_u64_e32 v[4:5], v[4:5], v[8:9]
	v_cndmask_b32_e64 v8, 0, 1, vcc_lo
	v_add_nc_u64_e32 v[4:5], v[4:5], v[10:11]
	s_delay_alu instid0(VALU_DEP_1)
	v_add_nc_u64_e32 v[4:5], v[4:5], v[8:9]
	s_cbranch_scc0 .LBB91_84
; %bb.85:                               ;   in Loop: Header=BB91_82 Depth=1
	s_mov_b64 s[8:9], s[2:3]
.LBB91_86:                              ;   in Loop: Header=BB91_82 Depth=1
	s_and_not1_b32 vcc_lo, exec_lo, s11
	s_cbranch_vccnz .LBB91_81
; %bb.87:                               ;   in Loop: Header=BB91_82 Depth=1
	s_lshl_b32 s8, s8, 3
	s_delay_alu instid0(SALU_CYCLE_1)
	s_add_co_i32 s13, s8, 0
	s_mov_b64 s[8:9], s[6:7]
.LBB91_88:                              ;   Parent Loop BB91_82 Depth=1
                                        ; =>  This Inner Loop Header: Depth=2
	v_dual_mov_b32 v7, s13 :: v_dual_mov_b32 v11, s23
	s_add_nc_u64 s[8:9], s[8:9], -1
	s_add_co_i32 s13, s13, 8
	s_cmp_lg_u64 s[8:9], 0
	ds_load_b64 v[8:9], v7
	s_wait_dscnt 0x0
	v_cmp_gt_i64_e32 vcc_lo, v[2:3], v[8:9]
	v_cndmask_b32_e64 v10, 0, 1, vcc_lo
	s_delay_alu instid0(VALU_DEP_1)
	v_add_nc_u64_e32 v[4:5], v[4:5], v[10:11]
	s_cbranch_scc1 .LBB91_88
	s_branch .LBB91_81
.LBB91_89:
	s_endpgm
	.section	.rodata,"a",@progbits
	.p2align	6, 0x0
	.amdhsa_kernel _ZN9rocsparseL41csrgemm_numeric_fill_block_per_row_kernelILj1024ELj64ELj4096ELj137ELj64EllfEEvT5_PKS1_S3_NS_24const_host_device_scalarIT6_EEPKT4_S3_PKS5_S9_S3_SB_S6_S9_S3_SB_S9_S3_PS5_21rocsparse_index_base_SD_SD_SD_bbb
		.amdhsa_group_segment_fixed_size 0
		.amdhsa_private_segment_fixed_size 0
		.amdhsa_kernarg_size 156
		.amdhsa_user_sgpr_count 2
		.amdhsa_user_sgpr_dispatch_ptr 0
		.amdhsa_user_sgpr_queue_ptr 0
		.amdhsa_user_sgpr_kernarg_segment_ptr 1
		.amdhsa_user_sgpr_dispatch_id 0
		.amdhsa_user_sgpr_kernarg_preload_length 0
		.amdhsa_user_sgpr_kernarg_preload_offset 0
		.amdhsa_user_sgpr_private_segment_size 0
		.amdhsa_wavefront_size32 1
		.amdhsa_uses_dynamic_stack 0
		.amdhsa_enable_private_segment 0
		.amdhsa_system_sgpr_workgroup_id_x 1
		.amdhsa_system_sgpr_workgroup_id_y 0
		.amdhsa_system_sgpr_workgroup_id_z 0
		.amdhsa_system_sgpr_workgroup_info 0
		.amdhsa_system_vgpr_workitem_id 0
		.amdhsa_next_free_vgpr 24
		.amdhsa_next_free_sgpr 47
		.amdhsa_named_barrier_count 0
		.amdhsa_reserve_vcc 1
		.amdhsa_float_round_mode_32 0
		.amdhsa_float_round_mode_16_64 0
		.amdhsa_float_denorm_mode_32 3
		.amdhsa_float_denorm_mode_16_64 3
		.amdhsa_fp16_overflow 0
		.amdhsa_memory_ordered 1
		.amdhsa_forward_progress 1
		.amdhsa_inst_pref_size 26
		.amdhsa_round_robin_scheduling 0
		.amdhsa_exception_fp_ieee_invalid_op 0
		.amdhsa_exception_fp_denorm_src 0
		.amdhsa_exception_fp_ieee_div_zero 0
		.amdhsa_exception_fp_ieee_overflow 0
		.amdhsa_exception_fp_ieee_underflow 0
		.amdhsa_exception_fp_ieee_inexact 0
		.amdhsa_exception_int_div_zero 0
	.end_amdhsa_kernel
	.section	.text._ZN9rocsparseL41csrgemm_numeric_fill_block_per_row_kernelILj1024ELj64ELj4096ELj137ELj64EllfEEvT5_PKS1_S3_NS_24const_host_device_scalarIT6_EEPKT4_S3_PKS5_S9_S3_SB_S6_S9_S3_SB_S9_S3_PS5_21rocsparse_index_base_SD_SD_SD_bbb,"axG",@progbits,_ZN9rocsparseL41csrgemm_numeric_fill_block_per_row_kernelILj1024ELj64ELj4096ELj137ELj64EllfEEvT5_PKS1_S3_NS_24const_host_device_scalarIT6_EEPKT4_S3_PKS5_S9_S3_SB_S6_S9_S3_SB_S9_S3_PS5_21rocsparse_index_base_SD_SD_SD_bbb,comdat
.Lfunc_end91:
	.size	_ZN9rocsparseL41csrgemm_numeric_fill_block_per_row_kernelILj1024ELj64ELj4096ELj137ELj64EllfEEvT5_PKS1_S3_NS_24const_host_device_scalarIT6_EEPKT4_S3_PKS5_S9_S3_SB_S6_S9_S3_SB_S9_S3_PS5_21rocsparse_index_base_SD_SD_SD_bbb, .Lfunc_end91-_ZN9rocsparseL41csrgemm_numeric_fill_block_per_row_kernelILj1024ELj64ELj4096ELj137ELj64EllfEEvT5_PKS1_S3_NS_24const_host_device_scalarIT6_EEPKT4_S3_PKS5_S9_S3_SB_S6_S9_S3_SB_S9_S3_PS5_21rocsparse_index_base_SD_SD_SD_bbb
                                        ; -- End function
	.set _ZN9rocsparseL41csrgemm_numeric_fill_block_per_row_kernelILj1024ELj64ELj4096ELj137ELj64EllfEEvT5_PKS1_S3_NS_24const_host_device_scalarIT6_EEPKT4_S3_PKS5_S9_S3_SB_S6_S9_S3_SB_S9_S3_PS5_21rocsparse_index_base_SD_SD_SD_bbb.num_vgpr, 24
	.set _ZN9rocsparseL41csrgemm_numeric_fill_block_per_row_kernelILj1024ELj64ELj4096ELj137ELj64EllfEEvT5_PKS1_S3_NS_24const_host_device_scalarIT6_EEPKT4_S3_PKS5_S9_S3_SB_S6_S9_S3_SB_S9_S3_PS5_21rocsparse_index_base_SD_SD_SD_bbb.num_agpr, 0
	.set _ZN9rocsparseL41csrgemm_numeric_fill_block_per_row_kernelILj1024ELj64ELj4096ELj137ELj64EllfEEvT5_PKS1_S3_NS_24const_host_device_scalarIT6_EEPKT4_S3_PKS5_S9_S3_SB_S6_S9_S3_SB_S9_S3_PS5_21rocsparse_index_base_SD_SD_SD_bbb.numbered_sgpr, 47
	.set _ZN9rocsparseL41csrgemm_numeric_fill_block_per_row_kernelILj1024ELj64ELj4096ELj137ELj64EllfEEvT5_PKS1_S3_NS_24const_host_device_scalarIT6_EEPKT4_S3_PKS5_S9_S3_SB_S6_S9_S3_SB_S9_S3_PS5_21rocsparse_index_base_SD_SD_SD_bbb.num_named_barrier, 0
	.set _ZN9rocsparseL41csrgemm_numeric_fill_block_per_row_kernelILj1024ELj64ELj4096ELj137ELj64EllfEEvT5_PKS1_S3_NS_24const_host_device_scalarIT6_EEPKT4_S3_PKS5_S9_S3_SB_S6_S9_S3_SB_S9_S3_PS5_21rocsparse_index_base_SD_SD_SD_bbb.private_seg_size, 0
	.set _ZN9rocsparseL41csrgemm_numeric_fill_block_per_row_kernelILj1024ELj64ELj4096ELj137ELj64EllfEEvT5_PKS1_S3_NS_24const_host_device_scalarIT6_EEPKT4_S3_PKS5_S9_S3_SB_S6_S9_S3_SB_S9_S3_PS5_21rocsparse_index_base_SD_SD_SD_bbb.uses_vcc, 1
	.set _ZN9rocsparseL41csrgemm_numeric_fill_block_per_row_kernelILj1024ELj64ELj4096ELj137ELj64EllfEEvT5_PKS1_S3_NS_24const_host_device_scalarIT6_EEPKT4_S3_PKS5_S9_S3_SB_S6_S9_S3_SB_S9_S3_PS5_21rocsparse_index_base_SD_SD_SD_bbb.uses_flat_scratch, 0
	.set _ZN9rocsparseL41csrgemm_numeric_fill_block_per_row_kernelILj1024ELj64ELj4096ELj137ELj64EllfEEvT5_PKS1_S3_NS_24const_host_device_scalarIT6_EEPKT4_S3_PKS5_S9_S3_SB_S6_S9_S3_SB_S9_S3_PS5_21rocsparse_index_base_SD_SD_SD_bbb.has_dyn_sized_stack, 0
	.set _ZN9rocsparseL41csrgemm_numeric_fill_block_per_row_kernelILj1024ELj64ELj4096ELj137ELj64EllfEEvT5_PKS1_S3_NS_24const_host_device_scalarIT6_EEPKT4_S3_PKS5_S9_S3_SB_S6_S9_S3_SB_S9_S3_PS5_21rocsparse_index_base_SD_SD_SD_bbb.has_recursion, 0
	.set _ZN9rocsparseL41csrgemm_numeric_fill_block_per_row_kernelILj1024ELj64ELj4096ELj137ELj64EllfEEvT5_PKS1_S3_NS_24const_host_device_scalarIT6_EEPKT4_S3_PKS5_S9_S3_SB_S6_S9_S3_SB_S9_S3_PS5_21rocsparse_index_base_SD_SD_SD_bbb.has_indirect_call, 0
	.section	.AMDGPU.csdata,"",@progbits
; Kernel info:
; codeLenInByte = 3328
; TotalNumSgprs: 49
; NumVgprs: 24
; ScratchSize: 0
; MemoryBound: 0
; FloatMode: 240
; IeeeMode: 1
; LDSByteSize: 0 bytes/workgroup (compile time only)
; SGPRBlocks: 0
; VGPRBlocks: 1
; NumSGPRsForWavesPerEU: 49
; NumVGPRsForWavesPerEU: 24
; NamedBarCnt: 0
; Occupancy: 16
; WaveLimiterHint : 1
; COMPUTE_PGM_RSRC2:SCRATCH_EN: 0
; COMPUTE_PGM_RSRC2:USER_SGPR: 2
; COMPUTE_PGM_RSRC2:TRAP_HANDLER: 0
; COMPUTE_PGM_RSRC2:TGID_X_EN: 1
; COMPUTE_PGM_RSRC2:TGID_Y_EN: 0
; COMPUTE_PGM_RSRC2:TGID_Z_EN: 0
; COMPUTE_PGM_RSRC2:TIDIG_COMP_CNT: 0
	.section	.text._ZN9rocsparseL41csrgemm_numeric_fill_block_per_row_kernelILj1024ELj64ELj8192ELj137ELj32EllfEEvT5_PKS1_S3_NS_24const_host_device_scalarIT6_EEPKT4_S3_PKS5_S9_S3_SB_S6_S9_S3_SB_S9_S3_PS5_21rocsparse_index_base_SD_SD_SD_bbb,"axG",@progbits,_ZN9rocsparseL41csrgemm_numeric_fill_block_per_row_kernelILj1024ELj64ELj8192ELj137ELj32EllfEEvT5_PKS1_S3_NS_24const_host_device_scalarIT6_EEPKT4_S3_PKS5_S9_S3_SB_S6_S9_S3_SB_S9_S3_PS5_21rocsparse_index_base_SD_SD_SD_bbb,comdat
	.globl	_ZN9rocsparseL41csrgemm_numeric_fill_block_per_row_kernelILj1024ELj64ELj8192ELj137ELj32EllfEEvT5_PKS1_S3_NS_24const_host_device_scalarIT6_EEPKT4_S3_PKS5_S9_S3_SB_S6_S9_S3_SB_S9_S3_PS5_21rocsparse_index_base_SD_SD_SD_bbb ; -- Begin function _ZN9rocsparseL41csrgemm_numeric_fill_block_per_row_kernelILj1024ELj64ELj8192ELj137ELj32EllfEEvT5_PKS1_S3_NS_24const_host_device_scalarIT6_EEPKT4_S3_PKS5_S9_S3_SB_S6_S9_S3_SB_S9_S3_PS5_21rocsparse_index_base_SD_SD_SD_bbb
	.p2align	8
	.type	_ZN9rocsparseL41csrgemm_numeric_fill_block_per_row_kernelILj1024ELj64ELj8192ELj137ELj32EllfEEvT5_PKS1_S3_NS_24const_host_device_scalarIT6_EEPKT4_S3_PKS5_S9_S3_SB_S6_S9_S3_SB_S9_S3_PS5_21rocsparse_index_base_SD_SD_SD_bbb,@function
_ZN9rocsparseL41csrgemm_numeric_fill_block_per_row_kernelILj1024ELj64ELj8192ELj137ELj32EllfEEvT5_PKS1_S3_NS_24const_host_device_scalarIT6_EEPKT4_S3_PKS5_S9_S3_SB_S6_S9_S3_SB_S9_S3_PS5_21rocsparse_index_base_SD_SD_SD_bbb: ; @_ZN9rocsparseL41csrgemm_numeric_fill_block_per_row_kernelILj1024ELj64ELj8192ELj137ELj32EllfEEvT5_PKS1_S3_NS_24const_host_device_scalarIT6_EEPKT4_S3_PKS5_S9_S3_SB_S6_S9_S3_SB_S9_S3_PS5_21rocsparse_index_base_SD_SD_SD_bbb
; %bb.0:
	s_clause 0x4
	s_load_b32 s9, s[0:1], 0x98
	s_load_b64 s[4:5], s[0:1], 0x18
	s_load_b128 s[36:39], s[0:1], 0x88
	s_load_b64 s[2:3], s[0:1], 0x8
	s_load_b64 s[6:7], s[0:1], 0x50
	s_wait_kmcnt 0x0
	s_and_b32 s8, 1, s9
	s_bitcmp1_b32 s9, 16
	s_cselect_b32 s10, -1, 0
	s_cmp_eq_u32 s8, 1
	s_cselect_b32 s8, -1, 0
	s_delay_alu instid0(SALU_CYCLE_1) | instskip(SKIP_2) | instid1(SALU_CYCLE_1)
	s_and_b32 s11, s8, exec_lo
	s_cselect_b32 s19, s4, 0
	s_xor_b32 s11, s8, -1
	s_or_b32 s11, s10, s11
	s_delay_alu instid0(SALU_CYCLE_1)
	s_and_b32 vcc_lo, exec_lo, s11
	s_cbranch_vccnz .LBB92_2
; %bb.1:
	s_load_b32 s19, s[4:5], 0x0
.LBB92_2:
	s_wait_xcnt 0x0
	s_load_b64 s[4:5], s[0:1], 0x10
	s_bitcmp1_b32 s9, 8
	s_cselect_b32 s20, -1, 0
	s_delay_alu instid0(SALU_CYCLE_1) | instskip(SKIP_2) | instid1(SALU_CYCLE_1)
	s_and_b32 s9, s20, exec_lo
	s_cselect_b32 s18, s6, 0
	s_xor_b32 s9, s20, -1
	s_or_b32 s9, s10, s9
	s_delay_alu instid0(SALU_CYCLE_1)
	s_and_b32 vcc_lo, exec_lo, s9
	s_cbranch_vccnz .LBB92_4
; %bb.3:
	s_load_b32 s18, s[6:7], 0x0
.LBB92_4:
	s_load_b64 s[34:35], s[0:1], 0x0
	v_dual_lshlrev_b32 v1, 2, v0 :: v_dual_mov_b32 v5, 0
	v_lshl_add_u32 v19, v0, 3, 0
	s_wait_xcnt 0x0
	s_bfe_u32 s6, ttmp6, 0x4000c
	s_and_b32 s7, ttmp6, 15
	v_add3_u32 v18, 0, v1, 0x10000
	s_add_co_i32 s6, s6, 1
	s_getreg_b32 s9, hwreg(HW_REG_IB_STS2, 6, 4)
	s_mul_i32 s6, ttmp9, s6
	ds_store_2addr_stride64_b32 v18, v5, v5 offset1:16
	ds_store_2addr_stride64_b32 v18, v5, v5 offset0:32 offset1:48
	ds_store_2addr_stride64_b32 v18, v5, v5 offset0:64 offset1:80
	s_add_co_i32 s7, s7, s6
	s_wait_kmcnt 0x0
	v_mov_b64_e32 v[2:3], s[34:35]
	v_mov_b64_e32 v[6:7], s[34:35]
	;; [unrolled: 1-line block ×8, first 2 shown]
	ds_store_2addr_stride64_b32 v18, v5, v5 offset0:96 offset1:112
	ds_store_2addr_stride64_b64 v19, v[2:3], v[6:7] offset1:16
	ds_store_2addr_stride64_b64 v19, v[8:9], v[10:11] offset0:32 offset1:48
	ds_store_2addr_stride64_b64 v19, v[12:13], v[14:15] offset0:64 offset1:80
	;; [unrolled: 1-line block ×3, first 2 shown]
	s_wait_dscnt 0x0
	s_barrier_signal -1
	s_barrier_wait -1
	s_load_b64 s[2:3], s[2:3], 0x0
	s_wait_kmcnt 0x0
	s_lshl_b64 s[2:3], s[2:3], 3
	s_cmp_eq_u32 s9, 0
	s_add_nc_u64 s[2:3], s[4:5], s[2:3]
	s_cselect_b32 s4, ttmp9, s7
	s_and_not1_b32 vcc_lo, exec_lo, s8
	s_load_b64 s[40:41], s[2:3], s4 offset:0x0 scale_offset
	s_wait_xcnt 0x0
	s_mov_b32 s3, 0
	s_cbranch_vccnz .LBB92_24
; %bb.5:
	s_load_b64 s[4:5], s[0:1], 0x20
	s_wait_kmcnt 0x0
	s_lshl_b64 s[6:7], s[40:41], 3
	v_lshrrev_b32_e32 v4, 6, v0
	s_mov_b32 s2, s36
	s_mov_b32 s21, exec_lo
	s_delay_alu instid0(VALU_DEP_1) | instskip(SKIP_3) | instid1(VALU_DEP_1)
	v_sub_nc_u64_e64 v[2:3], v[4:5], s[2:3]
	s_add_nc_u64 s[8:9], s[4:5], s[6:7]
	s_load_b128 s[4:7], s[8:9], 0x0
	s_wait_kmcnt 0x0
	v_add_nc_u64_e32 v[2:3], s[4:5], v[2:3]
	s_sub_nc_u64 s[12:13], s[6:7], s[2:3]
	s_delay_alu instid0(VALU_DEP_1) | instid1(SALU_CYCLE_1)
	v_cmpx_gt_i64_e64 s[12:13], v[2:3]
	s_cbranch_execz .LBB92_23
; %bb.6:
	s_clause 0x1
	s_load_b64 s[14:15], s[0:1], 0x48
	s_load_b256 s[4:11], s[0:1], 0x28
	v_and_b32_e32 v4, 63, v0
	s_mov_b32 s17, 0
	s_mov_b32 s16, s37
	;; [unrolled: 1-line block ×3, first 2 shown]
	s_delay_alu instid0(VALU_DEP_1)
	v_sub_nc_u64_e64 v[4:5], v[4:5], s[16:17]
	s_branch .LBB92_8
.LBB92_7:                               ;   in Loop: Header=BB92_8 Depth=1
	s_or_b32 exec_lo, exec_lo, s23
	v_add_nc_u64_e32 v[2:3], 16, v[2:3]
	s_delay_alu instid0(VALU_DEP_1) | instskip(SKIP_1) | instid1(SALU_CYCLE_1)
	v_cmp_le_i64_e32 vcc_lo, s[12:13], v[2:3]
	s_or_b32 s22, vcc_lo, s22
	s_and_not1_b32 exec_lo, exec_lo, s22
	s_cbranch_execz .LBB92_23
.LBB92_8:                               ; =>This Loop Header: Depth=1
                                        ;     Child Loop BB92_12 Depth 2
                                        ;       Child Loop BB92_15 Depth 3
	s_wait_kmcnt 0x0
	v_lshl_add_u64 v[6:7], v[2:3], 3, s[4:5]
	s_mov_b32 s23, exec_lo
	global_load_b64 v[6:7], v[6:7], off
	s_wait_loadcnt 0x0
	s_wait_xcnt 0x0
	v_sub_nc_u64_e64 v[6:7], v[6:7], s[2:3]
	s_delay_alu instid0(VALU_DEP_1)
	v_lshl_add_u64 v[6:7], v[6:7], 3, s[8:9]
	global_load_b128 v[8:11], v[6:7], off
	s_wait_loadcnt 0x0
	s_wait_xcnt 0x0
	v_sub_nc_u64_e64 v[6:7], v[10:11], s[16:17]
	v_add_nc_u64_e32 v[8:9], v[8:9], v[4:5]
	s_delay_alu instid0(VALU_DEP_1)
	v_cmpx_lt_i64_e64 v[8:9], v[6:7]
	s_cbranch_execz .LBB92_7
; %bb.9:                                ;   in Loop: Header=BB92_8 Depth=1
	v_lshl_add_u64 v[10:11], v[2:3], 2, s[6:7]
	s_mov_b32 s24, 0
	global_load_b32 v1, v[10:11], off
	s_wait_loadcnt 0x0
	v_mul_f32_e32 v1, s19, v1
	s_branch .LBB92_12
.LBB92_10:                              ;   in Loop: Header=BB92_12 Depth=2
	s_or_b32 exec_lo, exec_lo, s26
.LBB92_11:                              ;   in Loop: Header=BB92_12 Depth=2
	s_delay_alu instid0(SALU_CYCLE_1) | instskip(SKIP_3) | instid1(VALU_DEP_2)
	s_or_b32 exec_lo, exec_lo, s25
	s_wait_loadcnt 0x0
	v_dual_mul_f32 v11, v1, v20 :: v_dual_lshlrev_b32 v10, 2, v10
	v_add_nc_u64_e32 v[8:9], 64, v[8:9]
	v_add3_u32 v10, 0, v10, 0x10000
	s_delay_alu instid0(VALU_DEP_2) | instskip(SKIP_2) | instid1(SALU_CYCLE_1)
	v_cmp_ge_i64_e32 vcc_lo, v[8:9], v[6:7]
	ds_add_f32 v10, v11
	s_or_b32 s24, vcc_lo, s24
	s_and_not1_b32 exec_lo, exec_lo, s24
	s_cbranch_execz .LBB92_7
.LBB92_12:                              ;   Parent Loop BB92_8 Depth=1
                                        ; =>  This Loop Header: Depth=2
                                        ;       Child Loop BB92_15 Depth 3
	s_wait_xcnt 0x0
	v_lshl_add_u64 v[10:11], v[8:9], 3, s[10:11]
	v_lshl_add_u64 v[12:13], v[8:9], 2, s[14:15]
	s_mov_b32 s25, exec_lo
	global_load_b64 v[10:11], v[10:11], off
	global_load_b32 v20, v[12:13], off
	s_wait_loadcnt 0x1
	s_wait_xcnt 0x0
	v_sub_nc_u64_e64 v[12:13], v[10:11], s[16:17]
	s_delay_alu instid0(VALU_DEP_1) | instskip(NEXT) | instid1(VALU_DEP_1)
	v_mul_lo_u32 v10, 0x89, v12
	v_and_b32_e32 v10, 0x1fff, v10
	s_delay_alu instid0(VALU_DEP_1)
	v_lshl_add_u32 v21, v10, 3, 0
	ds_load_b64 v[16:17], v21
	s_wait_dscnt 0x0
	v_cmpx_ne_u64_e64 v[16:17], v[12:13]
	s_cbranch_execz .LBB92_11
; %bb.13:                               ;   in Loop: Header=BB92_12 Depth=2
	s_mov_b32 s26, 0
                                        ; implicit-def: $sgpr27
                                        ; implicit-def: $sgpr28
	s_branch .LBB92_15
.LBB92_14:                              ;   in Loop: Header=BB92_15 Depth=3
	s_or_b32 exec_lo, exec_lo, s31
	s_delay_alu instid0(SALU_CYCLE_1) | instskip(NEXT) | instid1(SALU_CYCLE_1)
	s_and_b32 s29, exec_lo, s30
	s_or_b32 s26, s29, s26
	s_and_not1_b32 s27, s27, exec_lo
	s_and_b32 s29, s28, exec_lo
	s_delay_alu instid0(SALU_CYCLE_1)
	s_or_b32 s27, s27, s29
	s_and_not1_b32 exec_lo, exec_lo, s26
	s_cbranch_execz .LBB92_21
.LBB92_15:                              ;   Parent Loop BB92_8 Depth=1
                                        ;     Parent Loop BB92_12 Depth=2
                                        ; =>    This Inner Loop Header: Depth=3
	v_mov_b64_e32 v[14:15], v[10:11]
	s_mov_b32 s29, 0
	s_mov_b32 s30, exec_lo
                                        ; implicit-def: $vgpr10_vgpr11
	v_cmpx_ne_u64_e64 s[34:35], v[16:17]
	s_xor_b32 s30, exec_lo, s30
; %bb.16:                               ;   in Loop: Header=BB92_15 Depth=3
	s_delay_alu instid0(VALU_DEP_2) | instskip(SKIP_1) | instid1(VALU_DEP_1)
	v_add_nc_u32_e32 v10, 1, v14
	s_mov_b32 s29, exec_lo
                                        ; implicit-def: $vgpr21
	v_and_b32_e32 v10, 0x1fff, v10
; %bb.17:                               ;   in Loop: Header=BB92_15 Depth=3
	s_and_not1_saveexec_b32 s30, s30
	s_cbranch_execz .LBB92_19
; %bb.18:                               ;   in Loop: Header=BB92_15 Depth=3
	v_mov_b64_e32 v[10:11], s[34:35]
	s_and_not1_b32 s29, s29, exec_lo
	ds_cmpstore_rtn_b64 v[10:11], v21, v[12:13], v[10:11]
	s_wait_dscnt 0x0
	v_cmp_ne_u64_e32 vcc_lo, s[34:35], v[10:11]
	v_mov_b64_e32 v[10:11], v[14:15]
	s_and_b32 s31, vcc_lo, exec_lo
	s_delay_alu instid0(SALU_CYCLE_1)
	s_or_b32 s29, s29, s31
.LBB92_19:                              ;   in Loop: Header=BB92_15 Depth=3
	s_or_b32 exec_lo, exec_lo, s30
	s_mov_b32 s30, -1
	s_or_b32 s28, s28, exec_lo
                                        ; implicit-def: $vgpr21
                                        ; implicit-def: $vgpr16_vgpr17
	s_and_saveexec_b32 s31, s29
	s_cbranch_execz .LBB92_14
; %bb.20:                               ;   in Loop: Header=BB92_15 Depth=3
	v_lshl_add_u32 v21, v10, 3, 0
	s_and_not1_b32 s28, s28, exec_lo
	ds_load_b64 v[16:17], v21
	s_wait_dscnt 0x0
	v_cmp_eq_u64_e32 vcc_lo, v[16:17], v[12:13]
	s_or_not1_b32 s30, vcc_lo, exec_lo
	s_branch .LBB92_14
.LBB92_21:                              ;   in Loop: Header=BB92_12 Depth=2
	s_or_b32 exec_lo, exec_lo, s26
	s_and_saveexec_b32 s26, s27
	s_delay_alu instid0(SALU_CYCLE_1)
	s_xor_b32 s26, exec_lo, s26
	s_cbranch_execz .LBB92_10
; %bb.22:                               ;   in Loop: Header=BB92_12 Depth=2
	v_mov_b32_e32 v10, v14
	s_branch .LBB92_10
.LBB92_23:
	s_or_b32 exec_lo, exec_lo, s21
.LBB92_24:
	s_delay_alu instid0(SALU_CYCLE_1)
	s_and_not1_b32 vcc_lo, exec_lo, s20
	s_cbranch_vccnz .LBB92_41
; %bb.25:
	s_load_b64 s[2:3], s[0:1], 0x58
	s_wait_kmcnt 0x0
	s_lshl_b64 s[4:5], s[40:41], 3
	v_mov_b32_e32 v1, 0
	s_mov_b32 s10, exec_lo
	s_add_nc_u64 s[2:3], s[2:3], s[4:5]
	s_load_b128 s[4:7], s[2:3], 0x0
	s_wait_xcnt 0x0
	s_mov_b32 s3, 0
	s_mov_b32 s2, s39
	s_delay_alu instid0(SALU_CYCLE_1) | instskip(SKIP_1) | instid1(VALU_DEP_1)
	v_sub_nc_u64_e64 v[2:3], v[0:1], s[2:3]
	s_wait_kmcnt 0x0
	v_add_nc_u64_e32 v[2:3], s[4:5], v[2:3]
	s_sub_nc_u64 s[8:9], s[6:7], s[2:3]
	s_delay_alu instid0(VALU_DEP_1) | instid1(SALU_CYCLE_1)
	v_cmpx_gt_i64_e64 s[8:9], v[2:3]
	s_cbranch_execz .LBB92_40
; %bb.26:
	s_load_b128 s[4:7], s[0:1], 0x60
	s_mov_b32 s11, s3
	s_branch .LBB92_29
.LBB92_27:                              ;   in Loop: Header=BB92_29 Depth=1
	s_or_b32 exec_lo, exec_lo, s13
.LBB92_28:                              ;   in Loop: Header=BB92_29 Depth=1
	s_delay_alu instid0(SALU_CYCLE_1) | instskip(SKIP_3) | instid1(VALU_DEP_2)
	s_or_b32 exec_lo, exec_lo, s12
	s_wait_loadcnt 0x0
	v_dual_mul_f32 v1, s18, v1 :: v_dual_lshlrev_b32 v4, 2, v4
	v_add_nc_u64_e32 v[2:3], 0x400, v[2:3]
	v_add3_u32 v4, 0, v4, 0x10000
	s_delay_alu instid0(VALU_DEP_2) | instskip(SKIP_2) | instid1(SALU_CYCLE_1)
	v_cmp_le_i64_e32 vcc_lo, s[8:9], v[2:3]
	ds_add_f32 v4, v1
	s_or_b32 s11, vcc_lo, s11
	s_and_not1_b32 exec_lo, exec_lo, s11
	s_cbranch_execz .LBB92_40
.LBB92_29:                              ; =>This Loop Header: Depth=1
                                        ;     Child Loop BB92_32 Depth 2
	s_wait_kmcnt 0x0
	v_lshl_add_u64 v[4:5], v[2:3], 3, s[4:5]
	v_lshl_add_u64 v[6:7], v[2:3], 2, s[6:7]
	s_mov_b32 s12, exec_lo
	global_load_b64 v[4:5], v[4:5], off
	global_load_b32 v1, v[6:7], off
	s_wait_loadcnt 0x1
	s_wait_xcnt 0x0
	v_sub_nc_u64_e64 v[6:7], v[4:5], s[2:3]
	s_delay_alu instid0(VALU_DEP_1) | instskip(NEXT) | instid1(VALU_DEP_1)
	v_mul_lo_u32 v4, 0x89, v6
	v_and_b32_e32 v4, 0x1fff, v4
	s_delay_alu instid0(VALU_DEP_1)
	v_lshl_add_u32 v12, v4, 3, 0
	ds_load_b64 v[10:11], v12
	s_wait_dscnt 0x0
	v_cmpx_ne_u64_e64 v[10:11], v[6:7]
	s_cbranch_execz .LBB92_28
; %bb.30:                               ;   in Loop: Header=BB92_29 Depth=1
	s_mov_b32 s13, 0
                                        ; implicit-def: $sgpr14
                                        ; implicit-def: $sgpr15
	s_branch .LBB92_32
.LBB92_31:                              ;   in Loop: Header=BB92_32 Depth=2
	s_or_b32 exec_lo, exec_lo, s19
	s_delay_alu instid0(SALU_CYCLE_1) | instskip(NEXT) | instid1(SALU_CYCLE_1)
	s_and_b32 s16, exec_lo, s17
	s_or_b32 s13, s16, s13
	s_and_not1_b32 s14, s14, exec_lo
	s_and_b32 s16, s15, exec_lo
	s_delay_alu instid0(SALU_CYCLE_1)
	s_or_b32 s14, s14, s16
	s_and_not1_b32 exec_lo, exec_lo, s13
	s_cbranch_execz .LBB92_38
.LBB92_32:                              ;   Parent Loop BB92_29 Depth=1
                                        ; =>  This Inner Loop Header: Depth=2
	v_mov_b64_e32 v[8:9], v[4:5]
	s_mov_b32 s16, 0
	s_mov_b32 s17, exec_lo
                                        ; implicit-def: $vgpr4_vgpr5
	v_cmpx_ne_u64_e64 s[34:35], v[10:11]
	s_xor_b32 s17, exec_lo, s17
; %bb.33:                               ;   in Loop: Header=BB92_32 Depth=2
	s_delay_alu instid0(VALU_DEP_2) | instskip(SKIP_1) | instid1(VALU_DEP_1)
	v_add_nc_u32_e32 v4, 1, v8
	s_mov_b32 s16, exec_lo
                                        ; implicit-def: $vgpr12
	v_and_b32_e32 v4, 0x1fff, v4
; %bb.34:                               ;   in Loop: Header=BB92_32 Depth=2
	s_and_not1_saveexec_b32 s17, s17
	s_cbranch_execz .LBB92_36
; %bb.35:                               ;   in Loop: Header=BB92_32 Depth=2
	v_mov_b64_e32 v[4:5], s[34:35]
	s_and_not1_b32 s16, s16, exec_lo
	ds_cmpstore_rtn_b64 v[4:5], v12, v[6:7], v[4:5]
	s_wait_dscnt 0x0
	v_cmp_ne_u64_e32 vcc_lo, s[34:35], v[4:5]
	v_mov_b64_e32 v[4:5], v[8:9]
	s_and_b32 s19, vcc_lo, exec_lo
	s_delay_alu instid0(SALU_CYCLE_1)
	s_or_b32 s16, s16, s19
.LBB92_36:                              ;   in Loop: Header=BB92_32 Depth=2
	s_or_b32 exec_lo, exec_lo, s17
	s_mov_b32 s17, -1
	s_or_b32 s15, s15, exec_lo
                                        ; implicit-def: $vgpr12
                                        ; implicit-def: $vgpr10_vgpr11
	s_and_saveexec_b32 s19, s16
	s_cbranch_execz .LBB92_31
; %bb.37:                               ;   in Loop: Header=BB92_32 Depth=2
	v_lshl_add_u32 v12, v4, 3, 0
	s_and_not1_b32 s15, s15, exec_lo
	ds_load_b64 v[10:11], v12
	s_wait_dscnt 0x0
	v_cmp_eq_u64_e32 vcc_lo, v[10:11], v[6:7]
	s_or_not1_b32 s17, vcc_lo, exec_lo
	s_branch .LBB92_31
.LBB92_38:                              ;   in Loop: Header=BB92_29 Depth=1
	s_or_b32 exec_lo, exec_lo, s13
	s_and_saveexec_b32 s13, s14
	s_delay_alu instid0(SALU_CYCLE_1)
	s_xor_b32 s13, exec_lo, s13
	s_cbranch_execz .LBB92_27
; %bb.39:                               ;   in Loop: Header=BB92_29 Depth=1
	v_mov_b32_e32 v4, v8
	s_branch .LBB92_27
.LBB92_40:
	s_or_b32 exec_lo, exec_lo, s10
.LBB92_41:
	s_clause 0x1
	s_load_b64 s[36:37], s[0:1], 0x80
	s_load_b64 s[42:43], s[0:1], 0x70
	v_mbcnt_lo_u32_b32 v1, -1, 0
	v_lshrrev_b32_e32 v2, 2, v0
	v_mov_b64_e32 v[6:7], 0
	v_mov_b32_e32 v5, 0
	s_wait_xcnt 0x0
	v_cmp_lt_u32_e64 s0, 31, v0
	v_xor_b32_e32 v1, 31, v1
	v_and_b32_e32 v3, 0xf8, v2
	v_cmp_lt_u32_e64 s1, 63, v0
	v_cmp_lt_u32_e64 s2, 0x5f, v0
	v_cmp_lt_u32_e64 s3, 0x7f, v0
	v_lshrrev_b32_e64 v2, v1, -1
	v_add3_u32 v1, 0x18000, 0, v3
	v_cmp_lt_u32_e64 s4, 0x9f, v0
	v_cmp_lt_u32_e64 s5, 0xbf, v0
	;; [unrolled: 1-line block ×27, first 2 shown]
	v_or_b32_e32 v3, 0xfffffc00, v0
	s_mov_b32 s33, 0
	s_add_co_i32 s39, 0, 0x18000
	s_add_co_i32 s44, 0, 0x18008
	;; [unrolled: 1-line block ×32, first 2 shown]
	s_wait_dscnt 0x0
	s_barrier_signal -1
	s_barrier_wait -1
	v_cmp_eq_u32_e32 vcc_lo, 0x3ff, v0
	s_branch .LBB92_43
.LBB92_42:                              ;   in Loop: Header=BB92_43 Depth=1
	s_or_b32 exec_lo, exec_lo, s31
	v_dual_mov_b32 v4, s74 :: v_dual_add_nc_u32 v3, 0x400, v3
	s_wait_dscnt 0x0
	s_barrier_signal -1
	s_barrier_wait -1
	ds_load_b64 v[8:9], v4
	v_cmp_lt_u32_e64 s31, 0x1bff, v3
	v_add_nc_u32_e32 v18, 0x1000, v18
	v_add_nc_u32_e32 v19, 0x2000, v19
	s_or_b32 s33, s31, s33
	s_wait_dscnt 0x0
	v_add_nc_u64_e32 v[6:7], v[8:9], v[6:7]
	s_and_not1_b32 exec_lo, exec_lo, s33
	s_cbranch_execz .LBB92_109
.LBB92_43:                              ; =>This Inner Loop Header: Depth=1
	ds_load_b64 v[8:9], v19
	ds_load_b32 v12, v18
	s_wait_dscnt 0x0
	s_barrier_signal -1
	s_barrier_wait -1
	v_cmp_gt_i64_e64 s31, s[34:35], v[8:9]
	s_bcnt1_i32_b32 s75, s31
	s_delay_alu instid0(SALU_CYCLE_1) | instskip(NEXT) | instid1(VALU_DEP_1)
	v_dual_mov_b32 v4, s75 :: v_dual_bitop2_b32 v10, s31, v2 bitop3:0x40
	v_bcnt_u32_b32 v10, v10, 0
	ds_store_b64 v1, v[4:5]
	s_wait_dscnt 0x0
	s_barrier_signal -1
	s_barrier_wait -1
	s_and_saveexec_b32 s75, s0
	s_cbranch_execnz .LBB92_76
; %bb.44:                               ;   in Loop: Header=BB92_43 Depth=1
	s_or_b32 exec_lo, exec_lo, s75
	s_and_saveexec_b32 s75, s1
	s_cbranch_execnz .LBB92_77
.LBB92_45:                              ;   in Loop: Header=BB92_43 Depth=1
	s_or_b32 exec_lo, exec_lo, s75
	s_and_saveexec_b32 s75, s2
	s_cbranch_execnz .LBB92_78
.LBB92_46:                              ;   in Loop: Header=BB92_43 Depth=1
	s_or_b32 exec_lo, exec_lo, s75
	s_and_saveexec_b32 s75, s3
	s_cbranch_execnz .LBB92_79
.LBB92_47:                              ;   in Loop: Header=BB92_43 Depth=1
	s_or_b32 exec_lo, exec_lo, s75
	s_and_saveexec_b32 s75, s4
	s_cbranch_execnz .LBB92_80
.LBB92_48:                              ;   in Loop: Header=BB92_43 Depth=1
	s_or_b32 exec_lo, exec_lo, s75
	s_and_saveexec_b32 s75, s5
	s_cbranch_execnz .LBB92_81
.LBB92_49:                              ;   in Loop: Header=BB92_43 Depth=1
	s_or_b32 exec_lo, exec_lo, s75
	s_and_saveexec_b32 s75, s6
	s_cbranch_execnz .LBB92_82
.LBB92_50:                              ;   in Loop: Header=BB92_43 Depth=1
	s_or_b32 exec_lo, exec_lo, s75
	s_and_saveexec_b32 s75, s7
	s_cbranch_execnz .LBB92_83
.LBB92_51:                              ;   in Loop: Header=BB92_43 Depth=1
	s_or_b32 exec_lo, exec_lo, s75
	s_and_saveexec_b32 s75, s8
	s_cbranch_execnz .LBB92_84
.LBB92_52:                              ;   in Loop: Header=BB92_43 Depth=1
	s_or_b32 exec_lo, exec_lo, s75
	s_and_saveexec_b32 s75, s9
	s_cbranch_execnz .LBB92_85
.LBB92_53:                              ;   in Loop: Header=BB92_43 Depth=1
	s_or_b32 exec_lo, exec_lo, s75
	s_and_saveexec_b32 s75, s10
	s_cbranch_execnz .LBB92_86
.LBB92_54:                              ;   in Loop: Header=BB92_43 Depth=1
	s_or_b32 exec_lo, exec_lo, s75
	s_and_saveexec_b32 s75, s11
	s_cbranch_execnz .LBB92_87
.LBB92_55:                              ;   in Loop: Header=BB92_43 Depth=1
	s_or_b32 exec_lo, exec_lo, s75
	s_and_saveexec_b32 s75, s12
	s_cbranch_execnz .LBB92_88
.LBB92_56:                              ;   in Loop: Header=BB92_43 Depth=1
	s_or_b32 exec_lo, exec_lo, s75
	s_and_saveexec_b32 s75, s13
	s_cbranch_execnz .LBB92_89
.LBB92_57:                              ;   in Loop: Header=BB92_43 Depth=1
	s_or_b32 exec_lo, exec_lo, s75
	s_and_saveexec_b32 s75, s14
	s_cbranch_execnz .LBB92_90
.LBB92_58:                              ;   in Loop: Header=BB92_43 Depth=1
	s_or_b32 exec_lo, exec_lo, s75
	s_and_saveexec_b32 s75, s15
	s_cbranch_execnz .LBB92_91
.LBB92_59:                              ;   in Loop: Header=BB92_43 Depth=1
	s_or_b32 exec_lo, exec_lo, s75
	s_and_saveexec_b32 s75, s16
	s_cbranch_execnz .LBB92_92
.LBB92_60:                              ;   in Loop: Header=BB92_43 Depth=1
	s_or_b32 exec_lo, exec_lo, s75
	s_and_saveexec_b32 s75, s17
	s_cbranch_execnz .LBB92_93
.LBB92_61:                              ;   in Loop: Header=BB92_43 Depth=1
	s_or_b32 exec_lo, exec_lo, s75
	s_and_saveexec_b32 s75, s18
	s_cbranch_execnz .LBB92_94
.LBB92_62:                              ;   in Loop: Header=BB92_43 Depth=1
	s_or_b32 exec_lo, exec_lo, s75
	s_and_saveexec_b32 s75, s19
	s_cbranch_execnz .LBB92_95
.LBB92_63:                              ;   in Loop: Header=BB92_43 Depth=1
	s_or_b32 exec_lo, exec_lo, s75
	s_and_saveexec_b32 s75, s20
	s_cbranch_execnz .LBB92_96
.LBB92_64:                              ;   in Loop: Header=BB92_43 Depth=1
	s_or_b32 exec_lo, exec_lo, s75
	s_and_saveexec_b32 s75, s21
	s_cbranch_execnz .LBB92_97
.LBB92_65:                              ;   in Loop: Header=BB92_43 Depth=1
	s_or_b32 exec_lo, exec_lo, s75
	s_and_saveexec_b32 s75, s22
	s_cbranch_execnz .LBB92_98
.LBB92_66:                              ;   in Loop: Header=BB92_43 Depth=1
	s_or_b32 exec_lo, exec_lo, s75
	s_and_saveexec_b32 s75, s23
	s_cbranch_execnz .LBB92_99
.LBB92_67:                              ;   in Loop: Header=BB92_43 Depth=1
	s_or_b32 exec_lo, exec_lo, s75
	s_and_saveexec_b32 s75, s24
	s_cbranch_execnz .LBB92_100
.LBB92_68:                              ;   in Loop: Header=BB92_43 Depth=1
	s_or_b32 exec_lo, exec_lo, s75
	s_and_saveexec_b32 s75, s25
	s_cbranch_execnz .LBB92_101
.LBB92_69:                              ;   in Loop: Header=BB92_43 Depth=1
	s_or_b32 exec_lo, exec_lo, s75
	s_and_saveexec_b32 s75, s26
	s_cbranch_execnz .LBB92_102
.LBB92_70:                              ;   in Loop: Header=BB92_43 Depth=1
	s_or_b32 exec_lo, exec_lo, s75
	s_and_saveexec_b32 s75, s27
	s_cbranch_execnz .LBB92_103
.LBB92_71:                              ;   in Loop: Header=BB92_43 Depth=1
	s_or_b32 exec_lo, exec_lo, s75
	s_and_saveexec_b32 s75, s28
	s_cbranch_execnz .LBB92_104
.LBB92_72:                              ;   in Loop: Header=BB92_43 Depth=1
	s_or_b32 exec_lo, exec_lo, s75
	s_and_saveexec_b32 s75, s29
	s_cbranch_execnz .LBB92_105
.LBB92_73:                              ;   in Loop: Header=BB92_43 Depth=1
	s_or_b32 exec_lo, exec_lo, s75
	s_and_saveexec_b32 s75, s30
	s_cbranch_execnz .LBB92_106
.LBB92_74:                              ;   in Loop: Header=BB92_43 Depth=1
	s_or_b32 exec_lo, exec_lo, s75
	v_ashrrev_i32_e32 v11, 31, v10
	s_and_saveexec_b32 s75, s31
	s_cbranch_execnz .LBB92_107
.LBB92_75:                              ;   in Loop: Header=BB92_43 Depth=1
	s_or_b32 exec_lo, exec_lo, s75
	s_and_saveexec_b32 s31, vcc_lo
	s_cbranch_execz .LBB92_42
	s_branch .LBB92_108
.LBB92_76:                              ;   in Loop: Header=BB92_43 Depth=1
	v_mov_b32_e32 v4, s39
	ds_load_b32 v4, v4
	s_wait_dscnt 0x0
	v_add_nc_u32_e32 v10, v4, v10
	s_or_b32 exec_lo, exec_lo, s75
	s_and_saveexec_b32 s75, s1
	s_cbranch_execz .LBB92_45
.LBB92_77:                              ;   in Loop: Header=BB92_43 Depth=1
	v_mov_b32_e32 v4, s44
	ds_load_b32 v4, v4
	s_wait_dscnt 0x0
	v_add_nc_u32_e32 v10, v10, v4
	s_or_b32 exec_lo, exec_lo, s75
	s_and_saveexec_b32 s75, s2
	s_cbranch_execz .LBB92_46
.LBB92_78:                              ;   in Loop: Header=BB92_43 Depth=1
	v_mov_b32_e32 v4, s45
	ds_load_b32 v4, v4
	s_wait_dscnt 0x0
	v_add_nc_u32_e32 v10, v10, v4
	s_or_b32 exec_lo, exec_lo, s75
	s_and_saveexec_b32 s75, s3
	s_cbranch_execz .LBB92_47
.LBB92_79:                              ;   in Loop: Header=BB92_43 Depth=1
	v_mov_b32_e32 v4, s46
	ds_load_b32 v4, v4
	s_wait_dscnt 0x0
	v_add_nc_u32_e32 v10, v10, v4
	s_or_b32 exec_lo, exec_lo, s75
	s_and_saveexec_b32 s75, s4
	s_cbranch_execz .LBB92_48
.LBB92_80:                              ;   in Loop: Header=BB92_43 Depth=1
	v_mov_b32_e32 v4, s47
	ds_load_b32 v4, v4
	s_wait_dscnt 0x0
	v_add_nc_u32_e32 v10, v10, v4
	s_or_b32 exec_lo, exec_lo, s75
	s_and_saveexec_b32 s75, s5
	s_cbranch_execz .LBB92_49
.LBB92_81:                              ;   in Loop: Header=BB92_43 Depth=1
	v_mov_b32_e32 v4, s48
	ds_load_b32 v4, v4
	s_wait_dscnt 0x0
	v_add_nc_u32_e32 v10, v10, v4
	s_or_b32 exec_lo, exec_lo, s75
	s_and_saveexec_b32 s75, s6
	s_cbranch_execz .LBB92_50
.LBB92_82:                              ;   in Loop: Header=BB92_43 Depth=1
	v_mov_b32_e32 v4, s49
	ds_load_b32 v4, v4
	s_wait_dscnt 0x0
	v_add_nc_u32_e32 v10, v10, v4
	s_or_b32 exec_lo, exec_lo, s75
	s_and_saveexec_b32 s75, s7
	s_cbranch_execz .LBB92_51
.LBB92_83:                              ;   in Loop: Header=BB92_43 Depth=1
	v_mov_b32_e32 v4, s50
	ds_load_b32 v4, v4
	s_wait_dscnt 0x0
	v_add_nc_u32_e32 v10, v10, v4
	s_or_b32 exec_lo, exec_lo, s75
	s_and_saveexec_b32 s75, s8
	s_cbranch_execz .LBB92_52
.LBB92_84:                              ;   in Loop: Header=BB92_43 Depth=1
	v_mov_b32_e32 v4, s51
	ds_load_b32 v4, v4
	s_wait_dscnt 0x0
	v_add_nc_u32_e32 v10, v10, v4
	s_or_b32 exec_lo, exec_lo, s75
	s_and_saveexec_b32 s75, s9
	s_cbranch_execz .LBB92_53
.LBB92_85:                              ;   in Loop: Header=BB92_43 Depth=1
	v_mov_b32_e32 v4, s52
	ds_load_b32 v4, v4
	s_wait_dscnt 0x0
	v_add_nc_u32_e32 v10, v10, v4
	s_or_b32 exec_lo, exec_lo, s75
	s_and_saveexec_b32 s75, s10
	s_cbranch_execz .LBB92_54
.LBB92_86:                              ;   in Loop: Header=BB92_43 Depth=1
	v_mov_b32_e32 v4, s53
	ds_load_b32 v4, v4
	s_wait_dscnt 0x0
	v_add_nc_u32_e32 v10, v10, v4
	s_or_b32 exec_lo, exec_lo, s75
	s_and_saveexec_b32 s75, s11
	s_cbranch_execz .LBB92_55
.LBB92_87:                              ;   in Loop: Header=BB92_43 Depth=1
	v_mov_b32_e32 v4, s54
	ds_load_b32 v4, v4
	s_wait_dscnt 0x0
	v_add_nc_u32_e32 v10, v10, v4
	s_or_b32 exec_lo, exec_lo, s75
	s_and_saveexec_b32 s75, s12
	s_cbranch_execz .LBB92_56
.LBB92_88:                              ;   in Loop: Header=BB92_43 Depth=1
	v_mov_b32_e32 v4, s55
	ds_load_b32 v4, v4
	s_wait_dscnt 0x0
	v_add_nc_u32_e32 v10, v10, v4
	s_or_b32 exec_lo, exec_lo, s75
	s_and_saveexec_b32 s75, s13
	s_cbranch_execz .LBB92_57
.LBB92_89:                              ;   in Loop: Header=BB92_43 Depth=1
	v_mov_b32_e32 v4, s56
	ds_load_b32 v4, v4
	s_wait_dscnt 0x0
	v_add_nc_u32_e32 v10, v10, v4
	s_or_b32 exec_lo, exec_lo, s75
	s_and_saveexec_b32 s75, s14
	s_cbranch_execz .LBB92_58
.LBB92_90:                              ;   in Loop: Header=BB92_43 Depth=1
	v_mov_b32_e32 v4, s57
	ds_load_b32 v4, v4
	s_wait_dscnt 0x0
	v_add_nc_u32_e32 v10, v10, v4
	s_or_b32 exec_lo, exec_lo, s75
	s_and_saveexec_b32 s75, s15
	s_cbranch_execz .LBB92_59
.LBB92_91:                              ;   in Loop: Header=BB92_43 Depth=1
	v_mov_b32_e32 v4, s58
	ds_load_b32 v4, v4
	s_wait_dscnt 0x0
	v_add_nc_u32_e32 v10, v10, v4
	s_or_b32 exec_lo, exec_lo, s75
	s_and_saveexec_b32 s75, s16
	s_cbranch_execz .LBB92_60
.LBB92_92:                              ;   in Loop: Header=BB92_43 Depth=1
	v_mov_b32_e32 v4, s59
	ds_load_b32 v4, v4
	s_wait_dscnt 0x0
	v_add_nc_u32_e32 v10, v10, v4
	s_or_b32 exec_lo, exec_lo, s75
	s_and_saveexec_b32 s75, s17
	s_cbranch_execz .LBB92_61
.LBB92_93:                              ;   in Loop: Header=BB92_43 Depth=1
	v_mov_b32_e32 v4, s60
	ds_load_b32 v4, v4
	s_wait_dscnt 0x0
	v_add_nc_u32_e32 v10, v10, v4
	s_or_b32 exec_lo, exec_lo, s75
	s_and_saveexec_b32 s75, s18
	s_cbranch_execz .LBB92_62
.LBB92_94:                              ;   in Loop: Header=BB92_43 Depth=1
	v_mov_b32_e32 v4, s61
	ds_load_b32 v4, v4
	s_wait_dscnt 0x0
	v_add_nc_u32_e32 v10, v10, v4
	s_or_b32 exec_lo, exec_lo, s75
	s_and_saveexec_b32 s75, s19
	s_cbranch_execz .LBB92_63
.LBB92_95:                              ;   in Loop: Header=BB92_43 Depth=1
	v_mov_b32_e32 v4, s62
	ds_load_b32 v4, v4
	s_wait_dscnt 0x0
	v_add_nc_u32_e32 v10, v10, v4
	s_or_b32 exec_lo, exec_lo, s75
	s_and_saveexec_b32 s75, s20
	s_cbranch_execz .LBB92_64
.LBB92_96:                              ;   in Loop: Header=BB92_43 Depth=1
	v_mov_b32_e32 v4, s63
	ds_load_b32 v4, v4
	s_wait_dscnt 0x0
	v_add_nc_u32_e32 v10, v10, v4
	s_or_b32 exec_lo, exec_lo, s75
	s_and_saveexec_b32 s75, s21
	s_cbranch_execz .LBB92_65
.LBB92_97:                              ;   in Loop: Header=BB92_43 Depth=1
	v_mov_b32_e32 v4, s64
	ds_load_b32 v4, v4
	s_wait_dscnt 0x0
	v_add_nc_u32_e32 v10, v10, v4
	s_or_b32 exec_lo, exec_lo, s75
	s_and_saveexec_b32 s75, s22
	s_cbranch_execz .LBB92_66
.LBB92_98:                              ;   in Loop: Header=BB92_43 Depth=1
	v_mov_b32_e32 v4, s65
	ds_load_b32 v4, v4
	s_wait_dscnt 0x0
	v_add_nc_u32_e32 v10, v10, v4
	s_or_b32 exec_lo, exec_lo, s75
	s_and_saveexec_b32 s75, s23
	s_cbranch_execz .LBB92_67
.LBB92_99:                              ;   in Loop: Header=BB92_43 Depth=1
	v_mov_b32_e32 v4, s66
	ds_load_b32 v4, v4
	s_wait_dscnt 0x0
	v_add_nc_u32_e32 v10, v10, v4
	s_or_b32 exec_lo, exec_lo, s75
	s_and_saveexec_b32 s75, s24
	s_cbranch_execz .LBB92_68
.LBB92_100:                             ;   in Loop: Header=BB92_43 Depth=1
	v_mov_b32_e32 v4, s67
	ds_load_b32 v4, v4
	s_wait_dscnt 0x0
	v_add_nc_u32_e32 v10, v10, v4
	s_or_b32 exec_lo, exec_lo, s75
	s_and_saveexec_b32 s75, s25
	s_cbranch_execz .LBB92_69
.LBB92_101:                             ;   in Loop: Header=BB92_43 Depth=1
	v_mov_b32_e32 v4, s68
	ds_load_b32 v4, v4
	s_wait_dscnt 0x0
	v_add_nc_u32_e32 v10, v10, v4
	s_or_b32 exec_lo, exec_lo, s75
	s_and_saveexec_b32 s75, s26
	s_cbranch_execz .LBB92_70
.LBB92_102:                             ;   in Loop: Header=BB92_43 Depth=1
	v_mov_b32_e32 v4, s69
	ds_load_b32 v4, v4
	s_wait_dscnt 0x0
	v_add_nc_u32_e32 v10, v10, v4
	s_or_b32 exec_lo, exec_lo, s75
	s_and_saveexec_b32 s75, s27
	s_cbranch_execz .LBB92_71
.LBB92_103:                             ;   in Loop: Header=BB92_43 Depth=1
	v_mov_b32_e32 v4, s70
	ds_load_b32 v4, v4
	s_wait_dscnt 0x0
	v_add_nc_u32_e32 v10, v10, v4
	s_or_b32 exec_lo, exec_lo, s75
	s_and_saveexec_b32 s75, s28
	s_cbranch_execz .LBB92_72
.LBB92_104:                             ;   in Loop: Header=BB92_43 Depth=1
	v_mov_b32_e32 v4, s71
	ds_load_b32 v4, v4
	s_wait_dscnt 0x0
	v_add_nc_u32_e32 v10, v10, v4
	s_or_b32 exec_lo, exec_lo, s75
	s_and_saveexec_b32 s75, s29
	s_cbranch_execz .LBB92_73
.LBB92_105:                             ;   in Loop: Header=BB92_43 Depth=1
	v_mov_b32_e32 v4, s72
	ds_load_b32 v4, v4
	s_wait_dscnt 0x0
	v_add_nc_u32_e32 v10, v10, v4
	s_or_b32 exec_lo, exec_lo, s75
	s_and_saveexec_b32 s75, s30
	s_cbranch_execz .LBB92_74
.LBB92_106:                             ;   in Loop: Header=BB92_43 Depth=1
	v_mov_b32_e32 v4, s73
	ds_load_b32 v4, v4
	s_wait_dscnt 0x0
	v_add_nc_u32_e32 v10, v10, v4
	s_or_b32 exec_lo, exec_lo, s75
	s_delay_alu instid0(VALU_DEP_1)
	v_ashrrev_i32_e32 v11, 31, v10
	s_and_saveexec_b32 s75, s31
	s_cbranch_execz .LBB92_75
.LBB92_107:                             ;   in Loop: Header=BB92_43 Depth=1
	v_add3_u32 v4, v6, -1, v10
	v_add_nc_u32_e32 v13, v6, v10
	s_delay_alu instid0(VALU_DEP_2) | instskip(NEXT) | instid1(VALU_DEP_2)
	v_lshl_add_u32 v4, v4, 3, 0
	v_lshl_add_u32 v13, v13, 2, 0
	ds_store_b64 v4, v[8:9]
	ds_store_b32 v13, v12 offset:65532
	s_or_b32 exec_lo, exec_lo, s75
	s_and_saveexec_b32 s31, vcc_lo
	s_cbranch_execz .LBB92_42
.LBB92_108:                             ;   in Loop: Header=BB92_43 Depth=1
	v_mov_b32_e32 v4, s74
	ds_store_b64 v4, v[10:11]
	s_branch .LBB92_42
.LBB92_109:
	s_or_b32 exec_lo, exec_lo, s33
	s_wait_kmcnt 0x0
	s_lshl_b64 s[0:1], s[40:41], 3
	v_mov_b32_e32 v1, 0
	s_add_nc_u64 s[4:5], s[42:43], s[0:1]
	s_mov_b32 s6, exec_lo
	s_load_b128 s[0:3], s[4:5], 0x0
	s_wait_kmcnt 0x0
	s_sub_nc_u64 s[4:5], s[2:3], s[0:1]
	s_delay_alu instid0(SALU_CYCLE_1)
	v_cmpx_gt_i64_e64 s[4:5], v[0:1]
	s_cbranch_execz .LBB92_119
; %bb.110:
	s_sub_nc_u64 s[8:9], s[0:1], s[2:3]
	s_and_b64 s[6:7], s[4:5], 7
	v_cmp_lt_u64_e64 s10, s[8:9], -7
	s_and_b64 s[2:3], s[4:5], -8
	s_mov_b32 s39, 0
	s_cmp_lg_u64 s[6:7], 0
	s_sub_nc_u64 s[0:1], s[0:1], s[38:39]
	s_cselect_b32 s11, -1, 0
	s_mov_b32 s12, 0
	s_branch .LBB92_112
.LBB92_111:                             ;   in Loop: Header=BB92_112 Depth=1
	v_add_nc_u64_e32 v[0:1], 0x400, v[0:1]
	s_wait_dscnt 0x1
	s_delay_alu instid0(VALU_DEP_2)
	v_lshl_add_u64 v[2:3], v[4:5], 2, s[36:37]
	s_wait_dscnt 0x0
	global_store_b32 v[2:3], v6, off
	v_cmp_le_i64_e32 vcc_lo, s[4:5], v[0:1]
	s_or_b32 s12, vcc_lo, s12
	s_wait_xcnt 0x0
	s_and_not1_b32 exec_lo, exec_lo, s12
	s_cbranch_execz .LBB92_119
.LBB92_112:                             ; =>This Loop Header: Depth=1
                                        ;     Child Loop BB92_114 Depth 2
                                        ;     Child Loop BB92_118 Depth 2
	v_lshlrev_b32_e32 v2, 2, v0
	v_lshl_add_u32 v3, v0, 3, 0
	s_and_not1_b32 vcc_lo, exec_lo, s10
	s_mov_b64 s[8:9], 0
	s_delay_alu instid0(VALU_DEP_2)
	v_add3_u32 v4, 0, v2, 0x10000
	ds_load_b64 v[2:3], v3
	ds_load_b32 v6, v4
	v_mov_b64_e32 v[4:5], s[0:1]
	s_cbranch_vccnz .LBB92_116
; %bb.113:                              ;   in Loop: Header=BB92_112 Depth=1
	v_mov_b64_e32 v[4:5], s[0:1]
	s_mov_b32 s13, 0
.LBB92_114:                             ;   Parent Loop BB92_112 Depth=1
                                        ; =>  This Inner Loop Header: Depth=2
	s_delay_alu instid0(SALU_CYCLE_1)
	v_dual_mov_b32 v7, s13 :: v_dual_mov_b32 v17, s39
	s_add_nc_u64 s[8:9], s[8:9], 8
	s_add_co_i32 s13, s13, 64
	s_cmp_eq_u64 s[2:3], s[8:9]
	ds_load_2addr_b64 v[8:11], v7 offset1:1
	ds_load_2addr_b64 v[12:15], v7 offset0:2 offset1:3
	s_wait_dscnt 0x1
	v_cmp_gt_i64_e32 vcc_lo, v[2:3], v[8:9]
	v_cndmask_b32_e64 v16, 0, 1, vcc_lo
	v_cmp_gt_i64_e32 vcc_lo, v[2:3], v[10:11]
	ds_load_2addr_b64 v[8:11], v7 offset0:4 offset1:5
	v_add_nc_u64_e32 v[4:5], v[4:5], v[16:17]
	v_cndmask_b32_e64 v18, 0, 1, vcc_lo
	s_wait_dscnt 0x1
	v_cmp_gt_i64_e32 vcc_lo, v[2:3], v[12:13]
	v_cndmask_b32_e64 v16, 0, 1, vcc_lo
	v_cmp_gt_i64_e32 vcc_lo, v[2:3], v[14:15]
	ds_load_2addr_b64 v[12:15], v7 offset0:6 offset1:7
	v_mov_b32_e32 v19, s39
	s_delay_alu instid0(VALU_DEP_1) | instskip(SKIP_4) | instid1(VALU_DEP_4)
	v_add_nc_u64_e32 v[4:5], v[4:5], v[18:19]
	v_cndmask_b32_e64 v18, 0, 1, vcc_lo
	s_wait_dscnt 0x1
	v_cmp_gt_i64_e32 vcc_lo, v[2:3], v[8:9]
	v_mov_b32_e32 v9, s39
	v_add_nc_u64_e32 v[4:5], v[4:5], v[16:17]
	v_cndmask_b32_e64 v16, 0, 1, vcc_lo
	v_cmp_gt_i64_e32 vcc_lo, v[2:3], v[10:11]
	v_mov_b32_e32 v11, s39
	s_delay_alu instid0(VALU_DEP_4) | instskip(SKIP_3) | instid1(VALU_DEP_3)
	v_add_nc_u64_e32 v[4:5], v[4:5], v[18:19]
	v_cndmask_b32_e64 v8, 0, 1, vcc_lo
	s_wait_dscnt 0x0
	v_cmp_gt_i64_e32 vcc_lo, v[2:3], v[12:13]
	v_add_nc_u64_e32 v[4:5], v[4:5], v[16:17]
	v_cndmask_b32_e64 v10, 0, 1, vcc_lo
	v_cmp_gt_i64_e32 vcc_lo, v[2:3], v[14:15]
	s_delay_alu instid0(VALU_DEP_3) | instskip(SKIP_1) | instid1(VALU_DEP_2)
	v_add_nc_u64_e32 v[4:5], v[4:5], v[8:9]
	v_cndmask_b32_e64 v8, 0, 1, vcc_lo
	v_add_nc_u64_e32 v[4:5], v[4:5], v[10:11]
	s_delay_alu instid0(VALU_DEP_1)
	v_add_nc_u64_e32 v[4:5], v[4:5], v[8:9]
	s_cbranch_scc0 .LBB92_114
; %bb.115:                              ;   in Loop: Header=BB92_112 Depth=1
	s_mov_b64 s[8:9], s[2:3]
.LBB92_116:                             ;   in Loop: Header=BB92_112 Depth=1
	s_and_not1_b32 vcc_lo, exec_lo, s11
	s_cbranch_vccnz .LBB92_111
; %bb.117:                              ;   in Loop: Header=BB92_112 Depth=1
	s_lshl_b32 s8, s8, 3
	s_delay_alu instid0(SALU_CYCLE_1)
	s_add_co_i32 s13, s8, 0
	s_mov_b64 s[8:9], s[6:7]
.LBB92_118:                             ;   Parent Loop BB92_112 Depth=1
                                        ; =>  This Inner Loop Header: Depth=2
	v_dual_mov_b32 v7, s13 :: v_dual_mov_b32 v11, s39
	s_add_nc_u64 s[8:9], s[8:9], -1
	s_add_co_i32 s13, s13, 8
	s_cmp_lg_u64 s[8:9], 0
	ds_load_b64 v[8:9], v7
	s_wait_dscnt 0x0
	v_cmp_gt_i64_e32 vcc_lo, v[2:3], v[8:9]
	v_cndmask_b32_e64 v10, 0, 1, vcc_lo
	s_delay_alu instid0(VALU_DEP_1)
	v_add_nc_u64_e32 v[4:5], v[4:5], v[10:11]
	s_cbranch_scc1 .LBB92_118
	s_branch .LBB92_111
.LBB92_119:
	s_endpgm
	.section	.rodata,"a",@progbits
	.p2align	6, 0x0
	.amdhsa_kernel _ZN9rocsparseL41csrgemm_numeric_fill_block_per_row_kernelILj1024ELj64ELj8192ELj137ELj32EllfEEvT5_PKS1_S3_NS_24const_host_device_scalarIT6_EEPKT4_S3_PKS5_S9_S3_SB_S6_S9_S3_SB_S9_S3_PS5_21rocsparse_index_base_SD_SD_SD_bbb
		.amdhsa_group_segment_fixed_size 0
		.amdhsa_private_segment_fixed_size 0
		.amdhsa_kernarg_size 156
		.amdhsa_user_sgpr_count 2
		.amdhsa_user_sgpr_dispatch_ptr 0
		.amdhsa_user_sgpr_queue_ptr 0
		.amdhsa_user_sgpr_kernarg_segment_ptr 1
		.amdhsa_user_sgpr_dispatch_id 0
		.amdhsa_user_sgpr_kernarg_preload_length 0
		.amdhsa_user_sgpr_kernarg_preload_offset 0
		.amdhsa_user_sgpr_private_segment_size 0
		.amdhsa_wavefront_size32 1
		.amdhsa_uses_dynamic_stack 0
		.amdhsa_enable_private_segment 0
		.amdhsa_system_sgpr_workgroup_id_x 1
		.amdhsa_system_sgpr_workgroup_id_y 0
		.amdhsa_system_sgpr_workgroup_id_z 0
		.amdhsa_system_sgpr_workgroup_info 0
		.amdhsa_system_vgpr_workitem_id 0
		.amdhsa_next_free_vgpr 22
		.amdhsa_next_free_sgpr 76
		.amdhsa_named_barrier_count 0
		.amdhsa_reserve_vcc 1
		.amdhsa_float_round_mode_32 0
		.amdhsa_float_round_mode_16_64 0
		.amdhsa_float_denorm_mode_32 3
		.amdhsa_float_denorm_mode_16_64 3
		.amdhsa_fp16_overflow 0
		.amdhsa_memory_ordered 1
		.amdhsa_forward_progress 1
		.amdhsa_inst_pref_size 36
		.amdhsa_round_robin_scheduling 0
		.amdhsa_exception_fp_ieee_invalid_op 0
		.amdhsa_exception_fp_denorm_src 0
		.amdhsa_exception_fp_ieee_div_zero 0
		.amdhsa_exception_fp_ieee_overflow 0
		.amdhsa_exception_fp_ieee_underflow 0
		.amdhsa_exception_fp_ieee_inexact 0
		.amdhsa_exception_int_div_zero 0
	.end_amdhsa_kernel
	.section	.text._ZN9rocsparseL41csrgemm_numeric_fill_block_per_row_kernelILj1024ELj64ELj8192ELj137ELj32EllfEEvT5_PKS1_S3_NS_24const_host_device_scalarIT6_EEPKT4_S3_PKS5_S9_S3_SB_S6_S9_S3_SB_S9_S3_PS5_21rocsparse_index_base_SD_SD_SD_bbb,"axG",@progbits,_ZN9rocsparseL41csrgemm_numeric_fill_block_per_row_kernelILj1024ELj64ELj8192ELj137ELj32EllfEEvT5_PKS1_S3_NS_24const_host_device_scalarIT6_EEPKT4_S3_PKS5_S9_S3_SB_S6_S9_S3_SB_S9_S3_PS5_21rocsparse_index_base_SD_SD_SD_bbb,comdat
.Lfunc_end92:
	.size	_ZN9rocsparseL41csrgemm_numeric_fill_block_per_row_kernelILj1024ELj64ELj8192ELj137ELj32EllfEEvT5_PKS1_S3_NS_24const_host_device_scalarIT6_EEPKT4_S3_PKS5_S9_S3_SB_S6_S9_S3_SB_S9_S3_PS5_21rocsparse_index_base_SD_SD_SD_bbb, .Lfunc_end92-_ZN9rocsparseL41csrgemm_numeric_fill_block_per_row_kernelILj1024ELj64ELj8192ELj137ELj32EllfEEvT5_PKS1_S3_NS_24const_host_device_scalarIT6_EEPKT4_S3_PKS5_S9_S3_SB_S6_S9_S3_SB_S9_S3_PS5_21rocsparse_index_base_SD_SD_SD_bbb
                                        ; -- End function
	.set _ZN9rocsparseL41csrgemm_numeric_fill_block_per_row_kernelILj1024ELj64ELj8192ELj137ELj32EllfEEvT5_PKS1_S3_NS_24const_host_device_scalarIT6_EEPKT4_S3_PKS5_S9_S3_SB_S6_S9_S3_SB_S9_S3_PS5_21rocsparse_index_base_SD_SD_SD_bbb.num_vgpr, 22
	.set _ZN9rocsparseL41csrgemm_numeric_fill_block_per_row_kernelILj1024ELj64ELj8192ELj137ELj32EllfEEvT5_PKS1_S3_NS_24const_host_device_scalarIT6_EEPKT4_S3_PKS5_S9_S3_SB_S6_S9_S3_SB_S9_S3_PS5_21rocsparse_index_base_SD_SD_SD_bbb.num_agpr, 0
	.set _ZN9rocsparseL41csrgemm_numeric_fill_block_per_row_kernelILj1024ELj64ELj8192ELj137ELj32EllfEEvT5_PKS1_S3_NS_24const_host_device_scalarIT6_EEPKT4_S3_PKS5_S9_S3_SB_S6_S9_S3_SB_S9_S3_PS5_21rocsparse_index_base_SD_SD_SD_bbb.numbered_sgpr, 76
	.set _ZN9rocsparseL41csrgemm_numeric_fill_block_per_row_kernelILj1024ELj64ELj8192ELj137ELj32EllfEEvT5_PKS1_S3_NS_24const_host_device_scalarIT6_EEPKT4_S3_PKS5_S9_S3_SB_S6_S9_S3_SB_S9_S3_PS5_21rocsparse_index_base_SD_SD_SD_bbb.num_named_barrier, 0
	.set _ZN9rocsparseL41csrgemm_numeric_fill_block_per_row_kernelILj1024ELj64ELj8192ELj137ELj32EllfEEvT5_PKS1_S3_NS_24const_host_device_scalarIT6_EEPKT4_S3_PKS5_S9_S3_SB_S6_S9_S3_SB_S9_S3_PS5_21rocsparse_index_base_SD_SD_SD_bbb.private_seg_size, 0
	.set _ZN9rocsparseL41csrgemm_numeric_fill_block_per_row_kernelILj1024ELj64ELj8192ELj137ELj32EllfEEvT5_PKS1_S3_NS_24const_host_device_scalarIT6_EEPKT4_S3_PKS5_S9_S3_SB_S6_S9_S3_SB_S9_S3_PS5_21rocsparse_index_base_SD_SD_SD_bbb.uses_vcc, 1
	.set _ZN9rocsparseL41csrgemm_numeric_fill_block_per_row_kernelILj1024ELj64ELj8192ELj137ELj32EllfEEvT5_PKS1_S3_NS_24const_host_device_scalarIT6_EEPKT4_S3_PKS5_S9_S3_SB_S6_S9_S3_SB_S9_S3_PS5_21rocsparse_index_base_SD_SD_SD_bbb.uses_flat_scratch, 0
	.set _ZN9rocsparseL41csrgemm_numeric_fill_block_per_row_kernelILj1024ELj64ELj8192ELj137ELj32EllfEEvT5_PKS1_S3_NS_24const_host_device_scalarIT6_EEPKT4_S3_PKS5_S9_S3_SB_S6_S9_S3_SB_S9_S3_PS5_21rocsparse_index_base_SD_SD_SD_bbb.has_dyn_sized_stack, 0
	.set _ZN9rocsparseL41csrgemm_numeric_fill_block_per_row_kernelILj1024ELj64ELj8192ELj137ELj32EllfEEvT5_PKS1_S3_NS_24const_host_device_scalarIT6_EEPKT4_S3_PKS5_S9_S3_SB_S6_S9_S3_SB_S9_S3_PS5_21rocsparse_index_base_SD_SD_SD_bbb.has_recursion, 0
	.set _ZN9rocsparseL41csrgemm_numeric_fill_block_per_row_kernelILj1024ELj64ELj8192ELj137ELj32EllfEEvT5_PKS1_S3_NS_24const_host_device_scalarIT6_EEPKT4_S3_PKS5_S9_S3_SB_S6_S9_S3_SB_S9_S3_PS5_21rocsparse_index_base_SD_SD_SD_bbb.has_indirect_call, 0
	.section	.AMDGPU.csdata,"",@progbits
; Kernel info:
; codeLenInByte = 4600
; TotalNumSgprs: 78
; NumVgprs: 22
; ScratchSize: 0
; MemoryBound: 0
; FloatMode: 240
; IeeeMode: 1
; LDSByteSize: 0 bytes/workgroup (compile time only)
; SGPRBlocks: 0
; VGPRBlocks: 1
; NumSGPRsForWavesPerEU: 78
; NumVGPRsForWavesPerEU: 22
; NamedBarCnt: 0
; Occupancy: 16
; WaveLimiterHint : 1
; COMPUTE_PGM_RSRC2:SCRATCH_EN: 0
; COMPUTE_PGM_RSRC2:USER_SGPR: 2
; COMPUTE_PGM_RSRC2:TRAP_HANDLER: 0
; COMPUTE_PGM_RSRC2:TGID_X_EN: 1
; COMPUTE_PGM_RSRC2:TGID_Y_EN: 0
; COMPUTE_PGM_RSRC2:TGID_Z_EN: 0
; COMPUTE_PGM_RSRC2:TIDIG_COMP_CNT: 0
	.section	.text._ZN9rocsparseL41csrgemm_numeric_fill_block_per_row_kernelILj1024ELj64ELj8192ELj137ELj64EllfEEvT5_PKS1_S3_NS_24const_host_device_scalarIT6_EEPKT4_S3_PKS5_S9_S3_SB_S6_S9_S3_SB_S9_S3_PS5_21rocsparse_index_base_SD_SD_SD_bbb,"axG",@progbits,_ZN9rocsparseL41csrgemm_numeric_fill_block_per_row_kernelILj1024ELj64ELj8192ELj137ELj64EllfEEvT5_PKS1_S3_NS_24const_host_device_scalarIT6_EEPKT4_S3_PKS5_S9_S3_SB_S6_S9_S3_SB_S9_S3_PS5_21rocsparse_index_base_SD_SD_SD_bbb,comdat
	.globl	_ZN9rocsparseL41csrgemm_numeric_fill_block_per_row_kernelILj1024ELj64ELj8192ELj137ELj64EllfEEvT5_PKS1_S3_NS_24const_host_device_scalarIT6_EEPKT4_S3_PKS5_S9_S3_SB_S6_S9_S3_SB_S9_S3_PS5_21rocsparse_index_base_SD_SD_SD_bbb ; -- Begin function _ZN9rocsparseL41csrgemm_numeric_fill_block_per_row_kernelILj1024ELj64ELj8192ELj137ELj64EllfEEvT5_PKS1_S3_NS_24const_host_device_scalarIT6_EEPKT4_S3_PKS5_S9_S3_SB_S6_S9_S3_SB_S9_S3_PS5_21rocsparse_index_base_SD_SD_SD_bbb
	.p2align	8
	.type	_ZN9rocsparseL41csrgemm_numeric_fill_block_per_row_kernelILj1024ELj64ELj8192ELj137ELj64EllfEEvT5_PKS1_S3_NS_24const_host_device_scalarIT6_EEPKT4_S3_PKS5_S9_S3_SB_S6_S9_S3_SB_S9_S3_PS5_21rocsparse_index_base_SD_SD_SD_bbb,@function
_ZN9rocsparseL41csrgemm_numeric_fill_block_per_row_kernelILj1024ELj64ELj8192ELj137ELj64EllfEEvT5_PKS1_S3_NS_24const_host_device_scalarIT6_EEPKT4_S3_PKS5_S9_S3_SB_S6_S9_S3_SB_S9_S3_PS5_21rocsparse_index_base_SD_SD_SD_bbb: ; @_ZN9rocsparseL41csrgemm_numeric_fill_block_per_row_kernelILj1024ELj64ELj8192ELj137ELj64EllfEEvT5_PKS1_S3_NS_24const_host_device_scalarIT6_EEPKT4_S3_PKS5_S9_S3_SB_S6_S9_S3_SB_S9_S3_PS5_21rocsparse_index_base_SD_SD_SD_bbb
; %bb.0:
	s_clause 0x4
	s_load_b32 s9, s[0:1], 0x98
	s_load_b64 s[4:5], s[0:1], 0x18
	s_load_b128 s[16:19], s[0:1], 0x88
	s_load_b64 s[2:3], s[0:1], 0x8
	s_load_b64 s[6:7], s[0:1], 0x50
	s_wait_kmcnt 0x0
	s_and_b32 s8, 1, s9
	s_bitcmp1_b32 s9, 16
	s_cselect_b32 s10, -1, 0
	s_cmp_eq_u32 s8, 1
	s_cselect_b32 s8, -1, 0
	s_delay_alu instid0(SALU_CYCLE_1) | instskip(SKIP_2) | instid1(SALU_CYCLE_1)
	s_and_b32 s11, s8, exec_lo
	s_cselect_b32 s27, s4, 0
	s_xor_b32 s11, s8, -1
	s_or_b32 s11, s10, s11
	s_delay_alu instid0(SALU_CYCLE_1)
	s_and_b32 vcc_lo, exec_lo, s11
	s_cbranch_vccnz .LBB93_2
; %bb.1:
	s_load_b32 s27, s[4:5], 0x0
.LBB93_2:
	s_wait_xcnt 0x0
	s_load_b64 s[4:5], s[0:1], 0x10
	s_bitcmp1_b32 s9, 8
	s_cselect_b32 s28, -1, 0
	s_delay_alu instid0(SALU_CYCLE_1) | instskip(SKIP_2) | instid1(SALU_CYCLE_1)
	s_and_b32 s9, s28, exec_lo
	s_cselect_b32 s26, s6, 0
	s_xor_b32 s9, s28, -1
	s_or_b32 s9, s10, s9
	s_delay_alu instid0(SALU_CYCLE_1)
	s_and_b32 vcc_lo, exec_lo, s9
	s_cbranch_vccnz .LBB93_4
; %bb.3:
	s_load_b32 s26, s[6:7], 0x0
.LBB93_4:
	s_load_b64 s[20:21], s[0:1], 0x0
	v_dual_lshlrev_b32 v1, 2, v0 :: v_dual_mov_b32 v3, 0
	v_lshl_add_u32 v21, v0, 3, 0
	s_wait_xcnt 0x0
	s_bfe_u32 s6, ttmp6, 0x4000c
	s_and_b32 s7, ttmp6, 15
	v_add3_u32 v20, 0, v1, 0x10000
	s_add_co_i32 s6, s6, 1
	s_getreg_b32 s9, hwreg(HW_REG_IB_STS2, 6, 4)
	s_mul_i32 s6, ttmp9, s6
	ds_store_2addr_stride64_b32 v20, v3, v3 offset1:16
	ds_store_2addr_stride64_b32 v20, v3, v3 offset0:32 offset1:48
	ds_store_2addr_stride64_b32 v20, v3, v3 offset0:64 offset1:80
	s_add_co_i32 s7, s7, s6
	v_lshrrev_b32_e32 v2, 6, v0
	s_wait_kmcnt 0x0
	v_mov_b64_e32 v[4:5], s[20:21]
	v_mov_b64_e32 v[6:7], s[20:21]
	;; [unrolled: 1-line block ×8, first 2 shown]
	ds_store_2addr_stride64_b32 v20, v3, v3 offset0:96 offset1:112
	ds_store_2addr_stride64_b64 v21, v[4:5], v[6:7] offset1:16
	ds_store_2addr_stride64_b64 v21, v[8:9], v[10:11] offset0:32 offset1:48
	ds_store_2addr_stride64_b64 v21, v[12:13], v[14:15] offset0:64 offset1:80
	;; [unrolled: 1-line block ×3, first 2 shown]
	s_wait_dscnt 0x0
	s_barrier_signal -1
	s_barrier_wait -1
	s_load_b64 s[2:3], s[2:3], 0x0
	s_wait_kmcnt 0x0
	s_lshl_b64 s[2:3], s[2:3], 3
	s_cmp_eq_u32 s9, 0
	s_add_nc_u64 s[2:3], s[4:5], s[2:3]
	s_cselect_b32 s4, ttmp9, s7
	s_and_not1_b32 vcc_lo, exec_lo, s8
	s_load_b64 s[22:23], s[2:3], s4 offset:0x0 scale_offset
	s_wait_xcnt 0x0
	s_mov_b32 s3, 0
	s_cbranch_vccnz .LBB93_24
; %bb.5:
	s_load_b64 s[4:5], s[0:1], 0x20
	s_wait_kmcnt 0x0
	s_lshl_b64 s[6:7], s[22:23], 3
	s_mov_b32 s2, s16
	s_mov_b32 s16, exec_lo
	v_sub_nc_u64_e64 v[4:5], v[2:3], s[2:3]
	s_add_nc_u64 s[8:9], s[4:5], s[6:7]
	s_load_b128 s[4:7], s[8:9], 0x0
	s_wait_kmcnt 0x0
	s_delay_alu instid0(VALU_DEP_1)
	v_add_nc_u64_e32 v[4:5], s[4:5], v[4:5]
	s_sub_nc_u64 s[12:13], s[6:7], s[2:3]
	s_delay_alu instid0(VALU_DEP_1) | instid1(SALU_CYCLE_1)
	v_cmpx_gt_i64_e64 s[12:13], v[4:5]
	s_cbranch_execz .LBB93_23
; %bb.6:
	s_clause 0x1
	s_load_b64 s[14:15], s[0:1], 0x48
	s_load_b256 s[4:11], s[0:1], 0x28
	v_dual_mov_b32 v7, v3 :: v_dual_bitop2_b32 v6, 63, v0 bitop3:0x40
	s_mov_b32 s25, 0
	s_mov_b32 s24, s17
	;; [unrolled: 1-line block ×3, first 2 shown]
	s_delay_alu instid0(VALU_DEP_1)
	v_sub_nc_u64_e64 v[6:7], v[6:7], s[24:25]
	s_branch .LBB93_8
.LBB93_7:                               ;   in Loop: Header=BB93_8 Depth=1
	s_or_b32 exec_lo, exec_lo, s29
	v_add_nc_u64_e32 v[4:5], 16, v[4:5]
	s_delay_alu instid0(VALU_DEP_1) | instskip(SKIP_1) | instid1(SALU_CYCLE_1)
	v_cmp_le_i64_e32 vcc_lo, s[12:13], v[4:5]
	s_or_b32 s17, vcc_lo, s17
	s_and_not1_b32 exec_lo, exec_lo, s17
	s_cbranch_execz .LBB93_23
.LBB93_8:                               ; =>This Loop Header: Depth=1
                                        ;     Child Loop BB93_12 Depth 2
                                        ;       Child Loop BB93_15 Depth 3
	s_wait_kmcnt 0x0
	v_lshl_add_u64 v[8:9], v[4:5], 3, s[4:5]
	s_mov_b32 s29, exec_lo
	global_load_b64 v[8:9], v[8:9], off
	s_wait_loadcnt 0x0
	s_wait_xcnt 0x0
	v_sub_nc_u64_e64 v[8:9], v[8:9], s[2:3]
	s_delay_alu instid0(VALU_DEP_1)
	v_lshl_add_u64 v[8:9], v[8:9], 3, s[8:9]
	global_load_b128 v[10:13], v[8:9], off
	s_wait_loadcnt 0x0
	s_wait_xcnt 0x0
	v_sub_nc_u64_e64 v[8:9], v[12:13], s[24:25]
	v_add_nc_u64_e32 v[10:11], v[10:11], v[6:7]
	s_delay_alu instid0(VALU_DEP_1)
	v_cmpx_lt_i64_e64 v[10:11], v[8:9]
	s_cbranch_execz .LBB93_7
; %bb.9:                                ;   in Loop: Header=BB93_8 Depth=1
	v_lshl_add_u64 v[12:13], v[4:5], 2, s[6:7]
	s_mov_b32 s30, 0
	global_load_b32 v1, v[12:13], off
	s_wait_loadcnt 0x0
	v_mul_f32_e32 v1, s27, v1
	s_branch .LBB93_12
.LBB93_10:                              ;   in Loop: Header=BB93_12 Depth=2
	s_or_b32 exec_lo, exec_lo, s33
.LBB93_11:                              ;   in Loop: Header=BB93_12 Depth=2
	s_delay_alu instid0(SALU_CYCLE_1) | instskip(SKIP_3) | instid1(VALU_DEP_2)
	s_or_b32 exec_lo, exec_lo, s31
	s_wait_loadcnt 0x0
	v_dual_mul_f32 v3, v1, v3 :: v_dual_lshlrev_b32 v12, 2, v12
	v_add_nc_u64_e32 v[10:11], 64, v[10:11]
	v_add3_u32 v12, 0, v12, 0x10000
	s_delay_alu instid0(VALU_DEP_2) | instskip(SKIP_2) | instid1(SALU_CYCLE_1)
	v_cmp_ge_i64_e32 vcc_lo, v[10:11], v[8:9]
	ds_add_f32 v12, v3
	s_or_b32 s30, vcc_lo, s30
	s_and_not1_b32 exec_lo, exec_lo, s30
	s_cbranch_execz .LBB93_7
.LBB93_12:                              ;   Parent Loop BB93_8 Depth=1
                                        ; =>  This Loop Header: Depth=2
                                        ;       Child Loop BB93_15 Depth 3
	s_wait_xcnt 0x0
	v_lshl_add_u64 v[12:13], v[10:11], 3, s[10:11]
	v_lshl_add_u64 v[14:15], v[10:11], 2, s[14:15]
	s_mov_b32 s31, exec_lo
	global_load_b64 v[12:13], v[12:13], off
	global_load_b32 v3, v[14:15], off
	s_wait_loadcnt 0x1
	s_wait_xcnt 0x0
	v_sub_nc_u64_e64 v[14:15], v[12:13], s[24:25]
	s_delay_alu instid0(VALU_DEP_1) | instskip(NEXT) | instid1(VALU_DEP_1)
	v_mul_lo_u32 v12, 0x89, v14
	v_and_b32_e32 v12, 0x1fff, v12
	s_delay_alu instid0(VALU_DEP_1)
	v_lshl_add_u32 v22, v12, 3, 0
	ds_load_b64 v[18:19], v22
	s_wait_dscnt 0x0
	v_cmpx_ne_u64_e64 v[18:19], v[14:15]
	s_cbranch_execz .LBB93_11
; %bb.13:                               ;   in Loop: Header=BB93_12 Depth=2
	s_mov_b32 s33, 0
                                        ; implicit-def: $sgpr34
                                        ; implicit-def: $sgpr35
	s_branch .LBB93_15
.LBB93_14:                              ;   in Loop: Header=BB93_15 Depth=3
	s_or_b32 exec_lo, exec_lo, s38
	s_delay_alu instid0(SALU_CYCLE_1) | instskip(NEXT) | instid1(SALU_CYCLE_1)
	s_and_b32 s36, exec_lo, s37
	s_or_b32 s33, s36, s33
	s_and_not1_b32 s34, s34, exec_lo
	s_and_b32 s36, s35, exec_lo
	s_delay_alu instid0(SALU_CYCLE_1)
	s_or_b32 s34, s34, s36
	s_and_not1_b32 exec_lo, exec_lo, s33
	s_cbranch_execz .LBB93_21
.LBB93_15:                              ;   Parent Loop BB93_8 Depth=1
                                        ;     Parent Loop BB93_12 Depth=2
                                        ; =>    This Inner Loop Header: Depth=3
	v_mov_b64_e32 v[16:17], v[12:13]
	s_mov_b32 s36, 0
	s_mov_b32 s37, exec_lo
                                        ; implicit-def: $vgpr12_vgpr13
	v_cmpx_ne_u64_e64 s[20:21], v[18:19]
	s_xor_b32 s37, exec_lo, s37
; %bb.16:                               ;   in Loop: Header=BB93_15 Depth=3
	s_delay_alu instid0(VALU_DEP_2) | instskip(SKIP_1) | instid1(VALU_DEP_1)
	v_add_nc_u32_e32 v12, 1, v16
	s_mov_b32 s36, exec_lo
                                        ; implicit-def: $vgpr22
	v_and_b32_e32 v12, 0x1fff, v12
; %bb.17:                               ;   in Loop: Header=BB93_15 Depth=3
	s_and_not1_saveexec_b32 s37, s37
	s_cbranch_execz .LBB93_19
; %bb.18:                               ;   in Loop: Header=BB93_15 Depth=3
	v_mov_b64_e32 v[12:13], s[20:21]
	s_and_not1_b32 s36, s36, exec_lo
	ds_cmpstore_rtn_b64 v[12:13], v22, v[14:15], v[12:13]
	s_wait_dscnt 0x0
	v_cmp_ne_u64_e32 vcc_lo, s[20:21], v[12:13]
	v_mov_b64_e32 v[12:13], v[16:17]
	s_and_b32 s38, vcc_lo, exec_lo
	s_delay_alu instid0(SALU_CYCLE_1)
	s_or_b32 s36, s36, s38
.LBB93_19:                              ;   in Loop: Header=BB93_15 Depth=3
	s_or_b32 exec_lo, exec_lo, s37
	s_mov_b32 s37, -1
	s_or_b32 s35, s35, exec_lo
                                        ; implicit-def: $vgpr22
                                        ; implicit-def: $vgpr18_vgpr19
	s_and_saveexec_b32 s38, s36
	s_cbranch_execz .LBB93_14
; %bb.20:                               ;   in Loop: Header=BB93_15 Depth=3
	v_lshl_add_u32 v22, v12, 3, 0
	s_and_not1_b32 s35, s35, exec_lo
	ds_load_b64 v[18:19], v22
	s_wait_dscnt 0x0
	v_cmp_eq_u64_e32 vcc_lo, v[18:19], v[14:15]
	s_or_not1_b32 s37, vcc_lo, exec_lo
	s_branch .LBB93_14
.LBB93_21:                              ;   in Loop: Header=BB93_12 Depth=2
	s_or_b32 exec_lo, exec_lo, s33
	s_and_saveexec_b32 s33, s34
	s_delay_alu instid0(SALU_CYCLE_1)
	s_xor_b32 s33, exec_lo, s33
	s_cbranch_execz .LBB93_10
; %bb.22:                               ;   in Loop: Header=BB93_12 Depth=2
	v_mov_b32_e32 v12, v16
	s_branch .LBB93_10
.LBB93_23:
	s_or_b32 exec_lo, exec_lo, s16
.LBB93_24:
	s_delay_alu instid0(SALU_CYCLE_1)
	s_and_not1_b32 vcc_lo, exec_lo, s28
	s_cbranch_vccnz .LBB93_41
; %bb.25:
	s_load_b64 s[2:3], s[0:1], 0x58
	s_wait_kmcnt 0x0
	s_lshl_b64 s[4:5], s[22:23], 3
	v_mov_b32_e32 v1, 0
	s_mov_b32 s10, exec_lo
	s_add_nc_u64 s[2:3], s[2:3], s[4:5]
	s_load_b128 s[4:7], s[2:3], 0x0
	s_wait_xcnt 0x0
	s_mov_b32 s3, 0
	s_mov_b32 s2, s19
	s_delay_alu instid0(SALU_CYCLE_1) | instskip(SKIP_1) | instid1(VALU_DEP_1)
	v_sub_nc_u64_e64 v[4:5], v[0:1], s[2:3]
	s_wait_kmcnt 0x0
	v_add_nc_u64_e32 v[4:5], s[4:5], v[4:5]
	s_sub_nc_u64 s[8:9], s[6:7], s[2:3]
	s_delay_alu instid0(VALU_DEP_1) | instid1(SALU_CYCLE_1)
	v_cmpx_gt_i64_e64 s[8:9], v[4:5]
	s_cbranch_execz .LBB93_40
; %bb.26:
	s_load_b128 s[4:7], s[0:1], 0x60
	s_mov_b32 s11, s3
	s_branch .LBB93_29
.LBB93_27:                              ;   in Loop: Header=BB93_29 Depth=1
	s_or_b32 exec_lo, exec_lo, s13
.LBB93_28:                              ;   in Loop: Header=BB93_29 Depth=1
	s_delay_alu instid0(SALU_CYCLE_1) | instskip(SKIP_3) | instid1(VALU_DEP_2)
	s_or_b32 exec_lo, exec_lo, s12
	s_wait_loadcnt 0x0
	v_dual_lshlrev_b32 v3, 2, v6 :: v_dual_mul_f32 v1, s26, v1
	v_add_nc_u64_e32 v[4:5], 0x400, v[4:5]
	v_add3_u32 v3, 0, v3, 0x10000
	s_delay_alu instid0(VALU_DEP_2) | instskip(SKIP_2) | instid1(SALU_CYCLE_1)
	v_cmp_le_i64_e32 vcc_lo, s[8:9], v[4:5]
	ds_add_f32 v3, v1
	s_or_b32 s11, vcc_lo, s11
	s_and_not1_b32 exec_lo, exec_lo, s11
	s_cbranch_execz .LBB93_40
.LBB93_29:                              ; =>This Loop Header: Depth=1
                                        ;     Child Loop BB93_32 Depth 2
	s_wait_kmcnt 0x0
	v_lshl_add_u64 v[6:7], v[4:5], 3, s[4:5]
	v_lshl_add_u64 v[8:9], v[4:5], 2, s[6:7]
	s_mov_b32 s12, exec_lo
	global_load_b64 v[6:7], v[6:7], off
	global_load_b32 v1, v[8:9], off
	s_wait_loadcnt 0x1
	s_wait_xcnt 0x0
	v_sub_nc_u64_e64 v[8:9], v[6:7], s[2:3]
	s_delay_alu instid0(VALU_DEP_1) | instskip(NEXT) | instid1(VALU_DEP_1)
	v_mul_lo_u32 v3, 0x89, v8
	v_and_b32_e32 v6, 0x1fff, v3
	s_delay_alu instid0(VALU_DEP_1)
	v_lshl_add_u32 v3, v6, 3, 0
	ds_load_b64 v[12:13], v3
	s_wait_dscnt 0x0
	v_cmpx_ne_u64_e64 v[12:13], v[8:9]
	s_cbranch_execz .LBB93_28
; %bb.30:                               ;   in Loop: Header=BB93_29 Depth=1
	s_mov_b32 s13, 0
                                        ; implicit-def: $sgpr14
                                        ; implicit-def: $sgpr15
	s_branch .LBB93_32
.LBB93_31:                              ;   in Loop: Header=BB93_32 Depth=2
	s_or_b32 exec_lo, exec_lo, s19
	s_delay_alu instid0(SALU_CYCLE_1) | instskip(NEXT) | instid1(SALU_CYCLE_1)
	s_and_b32 s16, exec_lo, s17
	s_or_b32 s13, s16, s13
	s_and_not1_b32 s14, s14, exec_lo
	s_and_b32 s16, s15, exec_lo
	s_delay_alu instid0(SALU_CYCLE_1)
	s_or_b32 s14, s14, s16
	s_and_not1_b32 exec_lo, exec_lo, s13
	s_cbranch_execz .LBB93_38
.LBB93_32:                              ;   Parent Loop BB93_29 Depth=1
                                        ; =>  This Inner Loop Header: Depth=2
	v_mov_b64_e32 v[10:11], v[6:7]
	s_mov_b32 s16, 0
	s_mov_b32 s17, exec_lo
                                        ; implicit-def: $vgpr6_vgpr7
	v_cmpx_ne_u64_e64 s[20:21], v[12:13]
	s_xor_b32 s17, exec_lo, s17
; %bb.33:                               ;   in Loop: Header=BB93_32 Depth=2
	s_delay_alu instid0(VALU_DEP_2) | instskip(SKIP_1) | instid1(VALU_DEP_1)
	v_add_nc_u32_e32 v3, 1, v10
	s_mov_b32 s16, exec_lo
	v_and_b32_e32 v6, 0x1fff, v3
                                        ; implicit-def: $vgpr3
; %bb.34:                               ;   in Loop: Header=BB93_32 Depth=2
	s_and_not1_saveexec_b32 s17, s17
	s_cbranch_execz .LBB93_36
; %bb.35:                               ;   in Loop: Header=BB93_32 Depth=2
	v_mov_b64_e32 v[6:7], s[20:21]
	s_and_not1_b32 s16, s16, exec_lo
	ds_cmpstore_rtn_b64 v[6:7], v3, v[8:9], v[6:7]
	s_wait_dscnt 0x0
	v_cmp_ne_u64_e32 vcc_lo, s[20:21], v[6:7]
	v_mov_b64_e32 v[6:7], v[10:11]
	s_and_b32 s19, vcc_lo, exec_lo
	s_delay_alu instid0(SALU_CYCLE_1)
	s_or_b32 s16, s16, s19
.LBB93_36:                              ;   in Loop: Header=BB93_32 Depth=2
	s_or_b32 exec_lo, exec_lo, s17
	s_mov_b32 s17, -1
	s_or_b32 s15, s15, exec_lo
                                        ; implicit-def: $vgpr3
                                        ; implicit-def: $vgpr12_vgpr13
	s_and_saveexec_b32 s19, s16
	s_cbranch_execz .LBB93_31
; %bb.37:                               ;   in Loop: Header=BB93_32 Depth=2
	v_lshl_add_u32 v3, v6, 3, 0
	s_and_not1_b32 s15, s15, exec_lo
	ds_load_b64 v[12:13], v3
	s_wait_dscnt 0x0
	v_cmp_eq_u64_e32 vcc_lo, v[12:13], v[8:9]
	s_or_not1_b32 s17, vcc_lo, exec_lo
	s_branch .LBB93_31
.LBB93_38:                              ;   in Loop: Header=BB93_29 Depth=1
	s_or_b32 exec_lo, exec_lo, s13
	s_and_saveexec_b32 s13, s14
	s_delay_alu instid0(SALU_CYCLE_1)
	s_xor_b32 s13, exec_lo, s13
	s_cbranch_execz .LBB93_27
; %bb.39:                               ;   in Loop: Header=BB93_29 Depth=1
	v_mov_b32_e32 v6, v10
	s_branch .LBB93_27
.LBB93_40:
	s_or_b32 exec_lo, exec_lo, s10
.LBB93_41:
	s_clause 0x1
	s_load_b64 s[16:17], s[0:1], 0x80
	s_load_b64 s[24:25], s[0:1], 0x70
	v_mbcnt_lo_u32_b32 v1, -1, 0
	v_mov_b64_e32 v[6:7], 0
	s_add_co_i32 s38, 0, 0x18078
	s_delay_alu instid0(SALU_CYCLE_1) | instskip(NEXT) | instid1(VALU_DEP_3)
	v_dual_mov_b32 v3, 0 :: v_dual_mov_b32 v12, s38
	v_dual_lshlrev_b32 v2, 3, v2 :: v_dual_bitop2_b32 v1, 31, v1 bitop3:0x14
	s_wait_xcnt 0x0
	v_cmp_lt_u32_e64 s0, 63, v0
	v_cmp_lt_u32_e64 s1, 0x7f, v0
	;; [unrolled: 1-line block ×3, first 2 shown]
	v_lshrrev_b32_e64 v4, v1, -1
	v_add3_u32 v1, 0x18000, 0, v2
	v_cmp_lt_u32_e64 s3, 0xff, v0
	v_cmp_lt_u32_e64 s4, 0x13f, v0
	;; [unrolled: 1-line block ×12, first 2 shown]
	v_or_b32_e32 v5, 0xfffffc00, v0
	s_mov_b32 s19, 0
	s_add_co_i32 s26, 0, 0x18000
	s_add_co_i32 s27, 0, 0x18008
	;; [unrolled: 1-line block ×15, first 2 shown]
	s_wait_dscnt 0x0
	s_barrier_signal -1
	s_barrier_wait -1
	v_cmp_eq_u32_e32 vcc_lo, 0x3ff, v0
	s_branch .LBB93_43
.LBB93_42:                              ;   in Loop: Header=BB93_43 Depth=1
	s_or_b32 exec_lo, exec_lo, s15
	s_wait_dscnt 0x0
	s_barrier_signal -1
	s_barrier_wait -1
	ds_load_b64 v[8:9], v12
	v_add_nc_u32_e32 v5, 0x400, v5
	v_add_nc_u32_e32 v20, 0x1000, v20
	;; [unrolled: 1-line block ×3, first 2 shown]
	s_delay_alu instid0(VALU_DEP_3)
	v_cmp_lt_u32_e64 s15, 0x1bff, v5
	s_or_b32 s19, s15, s19
	s_wait_dscnt 0x0
	v_add_nc_u64_e32 v[6:7], v[8:9], v[6:7]
	s_and_not1_b32 exec_lo, exec_lo, s19
	s_cbranch_execz .LBB93_77
.LBB93_43:                              ; =>This Inner Loop Header: Depth=1
	ds_load_b64 v[8:9], v21
	ds_load_b32 v13, v20
	s_wait_dscnt 0x0
	s_barrier_signal -1
	s_barrier_wait -1
	v_cmp_gt_i64_e64 s15, s[20:21], v[8:9]
	s_bcnt1_i32_b32 s43, s15
	s_delay_alu instid0(SALU_CYCLE_1) | instskip(NEXT) | instid1(VALU_DEP_1)
	v_dual_mov_b32 v2, s43 :: v_dual_bitop2_b32 v10, s15, v4 bitop3:0x40
	v_bcnt_u32_b32 v10, v10, 0
	ds_store_b64 v1, v[2:3]
	s_wait_dscnt 0x0
	s_barrier_signal -1
	s_barrier_wait -1
	s_and_saveexec_b32 s43, s0
	s_cbranch_execnz .LBB93_60
; %bb.44:                               ;   in Loop: Header=BB93_43 Depth=1
	s_or_b32 exec_lo, exec_lo, s43
	s_and_saveexec_b32 s43, s1
	s_cbranch_execnz .LBB93_61
.LBB93_45:                              ;   in Loop: Header=BB93_43 Depth=1
	s_or_b32 exec_lo, exec_lo, s43
	s_and_saveexec_b32 s43, s2
	s_cbranch_execnz .LBB93_62
.LBB93_46:                              ;   in Loop: Header=BB93_43 Depth=1
	s_or_b32 exec_lo, exec_lo, s43
	s_and_saveexec_b32 s43, s3
	s_cbranch_execnz .LBB93_63
.LBB93_47:                              ;   in Loop: Header=BB93_43 Depth=1
	s_or_b32 exec_lo, exec_lo, s43
	s_and_saveexec_b32 s43, s4
	s_cbranch_execnz .LBB93_64
.LBB93_48:                              ;   in Loop: Header=BB93_43 Depth=1
	s_or_b32 exec_lo, exec_lo, s43
	s_and_saveexec_b32 s43, s5
	s_cbranch_execnz .LBB93_65
.LBB93_49:                              ;   in Loop: Header=BB93_43 Depth=1
	s_or_b32 exec_lo, exec_lo, s43
	s_and_saveexec_b32 s43, s6
	s_cbranch_execnz .LBB93_66
.LBB93_50:                              ;   in Loop: Header=BB93_43 Depth=1
	s_or_b32 exec_lo, exec_lo, s43
	s_and_saveexec_b32 s43, s7
	s_cbranch_execnz .LBB93_67
.LBB93_51:                              ;   in Loop: Header=BB93_43 Depth=1
	s_or_b32 exec_lo, exec_lo, s43
	s_and_saveexec_b32 s43, s8
	s_cbranch_execnz .LBB93_68
.LBB93_52:                              ;   in Loop: Header=BB93_43 Depth=1
	s_or_b32 exec_lo, exec_lo, s43
	s_and_saveexec_b32 s43, s9
	s_cbranch_execnz .LBB93_69
.LBB93_53:                              ;   in Loop: Header=BB93_43 Depth=1
	s_or_b32 exec_lo, exec_lo, s43
	s_and_saveexec_b32 s43, s10
	s_cbranch_execnz .LBB93_70
.LBB93_54:                              ;   in Loop: Header=BB93_43 Depth=1
	s_or_b32 exec_lo, exec_lo, s43
	s_and_saveexec_b32 s43, s11
	s_cbranch_execnz .LBB93_71
.LBB93_55:                              ;   in Loop: Header=BB93_43 Depth=1
	s_or_b32 exec_lo, exec_lo, s43
	s_and_saveexec_b32 s43, s12
	s_cbranch_execnz .LBB93_72
.LBB93_56:                              ;   in Loop: Header=BB93_43 Depth=1
	s_or_b32 exec_lo, exec_lo, s43
	s_and_saveexec_b32 s43, s13
	s_cbranch_execnz .LBB93_73
.LBB93_57:                              ;   in Loop: Header=BB93_43 Depth=1
	s_or_b32 exec_lo, exec_lo, s43
	s_and_saveexec_b32 s43, s14
	s_cbranch_execnz .LBB93_74
.LBB93_58:                              ;   in Loop: Header=BB93_43 Depth=1
	s_or_b32 exec_lo, exec_lo, s43
	v_ashrrev_i32_e32 v11, 31, v10
	s_and_saveexec_b32 s43, s15
	s_cbranch_execnz .LBB93_75
.LBB93_59:                              ;   in Loop: Header=BB93_43 Depth=1
	s_or_b32 exec_lo, exec_lo, s43
	s_and_saveexec_b32 s15, vcc_lo
	s_cbranch_execz .LBB93_42
	s_branch .LBB93_76
.LBB93_60:                              ;   in Loop: Header=BB93_43 Depth=1
	v_mov_b32_e32 v2, s26
	ds_load_b32 v2, v2
	s_wait_dscnt 0x0
	v_add_nc_u32_e32 v10, v2, v10
	s_or_b32 exec_lo, exec_lo, s43
	s_and_saveexec_b32 s43, s1
	s_cbranch_execz .LBB93_45
.LBB93_61:                              ;   in Loop: Header=BB93_43 Depth=1
	v_mov_b32_e32 v2, s27
	ds_load_b32 v2, v2
	s_wait_dscnt 0x0
	v_add_nc_u32_e32 v10, v10, v2
	s_or_b32 exec_lo, exec_lo, s43
	s_and_saveexec_b32 s43, s2
	s_cbranch_execz .LBB93_46
.LBB93_62:                              ;   in Loop: Header=BB93_43 Depth=1
	v_mov_b32_e32 v2, s28
	ds_load_b32 v2, v2
	s_wait_dscnt 0x0
	v_add_nc_u32_e32 v10, v10, v2
	s_or_b32 exec_lo, exec_lo, s43
	s_and_saveexec_b32 s43, s3
	s_cbranch_execz .LBB93_47
.LBB93_63:                              ;   in Loop: Header=BB93_43 Depth=1
	v_mov_b32_e32 v2, s29
	ds_load_b32 v2, v2
	s_wait_dscnt 0x0
	v_add_nc_u32_e32 v10, v10, v2
	s_or_b32 exec_lo, exec_lo, s43
	s_and_saveexec_b32 s43, s4
	s_cbranch_execz .LBB93_48
.LBB93_64:                              ;   in Loop: Header=BB93_43 Depth=1
	v_mov_b32_e32 v2, s30
	ds_load_b32 v2, v2
	s_wait_dscnt 0x0
	v_add_nc_u32_e32 v10, v10, v2
	s_or_b32 exec_lo, exec_lo, s43
	s_and_saveexec_b32 s43, s5
	s_cbranch_execz .LBB93_49
.LBB93_65:                              ;   in Loop: Header=BB93_43 Depth=1
	v_mov_b32_e32 v2, s31
	ds_load_b32 v2, v2
	s_wait_dscnt 0x0
	v_add_nc_u32_e32 v10, v10, v2
	s_or_b32 exec_lo, exec_lo, s43
	s_and_saveexec_b32 s43, s6
	s_cbranch_execz .LBB93_50
.LBB93_66:                              ;   in Loop: Header=BB93_43 Depth=1
	v_mov_b32_e32 v2, s33
	ds_load_b32 v2, v2
	s_wait_dscnt 0x0
	v_add_nc_u32_e32 v10, v10, v2
	s_or_b32 exec_lo, exec_lo, s43
	s_and_saveexec_b32 s43, s7
	s_cbranch_execz .LBB93_51
.LBB93_67:                              ;   in Loop: Header=BB93_43 Depth=1
	v_mov_b32_e32 v2, s34
	ds_load_b32 v2, v2
	s_wait_dscnt 0x0
	v_add_nc_u32_e32 v10, v10, v2
	s_or_b32 exec_lo, exec_lo, s43
	s_and_saveexec_b32 s43, s8
	s_cbranch_execz .LBB93_52
.LBB93_68:                              ;   in Loop: Header=BB93_43 Depth=1
	v_mov_b32_e32 v2, s35
	ds_load_b32 v2, v2
	s_wait_dscnt 0x0
	v_add_nc_u32_e32 v10, v10, v2
	s_or_b32 exec_lo, exec_lo, s43
	s_and_saveexec_b32 s43, s9
	s_cbranch_execz .LBB93_53
.LBB93_69:                              ;   in Loop: Header=BB93_43 Depth=1
	v_mov_b32_e32 v2, s36
	ds_load_b32 v2, v2
	s_wait_dscnt 0x0
	v_add_nc_u32_e32 v10, v10, v2
	s_or_b32 exec_lo, exec_lo, s43
	s_and_saveexec_b32 s43, s10
	s_cbranch_execz .LBB93_54
.LBB93_70:                              ;   in Loop: Header=BB93_43 Depth=1
	v_mov_b32_e32 v2, s37
	ds_load_b32 v2, v2
	s_wait_dscnt 0x0
	v_add_nc_u32_e32 v10, v10, v2
	s_or_b32 exec_lo, exec_lo, s43
	s_and_saveexec_b32 s43, s11
	s_cbranch_execz .LBB93_55
.LBB93_71:                              ;   in Loop: Header=BB93_43 Depth=1
	v_mov_b32_e32 v2, s39
	ds_load_b32 v2, v2
	s_wait_dscnt 0x0
	v_add_nc_u32_e32 v10, v10, v2
	s_or_b32 exec_lo, exec_lo, s43
	s_and_saveexec_b32 s43, s12
	s_cbranch_execz .LBB93_56
.LBB93_72:                              ;   in Loop: Header=BB93_43 Depth=1
	v_mov_b32_e32 v2, s40
	ds_load_b32 v2, v2
	s_wait_dscnt 0x0
	v_add_nc_u32_e32 v10, v10, v2
	s_or_b32 exec_lo, exec_lo, s43
	s_and_saveexec_b32 s43, s13
	s_cbranch_execz .LBB93_57
.LBB93_73:                              ;   in Loop: Header=BB93_43 Depth=1
	v_mov_b32_e32 v2, s41
	ds_load_b32 v2, v2
	s_wait_dscnt 0x0
	v_add_nc_u32_e32 v10, v10, v2
	s_or_b32 exec_lo, exec_lo, s43
	s_and_saveexec_b32 s43, s14
	s_cbranch_execz .LBB93_58
.LBB93_74:                              ;   in Loop: Header=BB93_43 Depth=1
	v_mov_b32_e32 v2, s42
	ds_load_b32 v2, v2
	s_wait_dscnt 0x0
	v_add_nc_u32_e32 v10, v10, v2
	s_or_b32 exec_lo, exec_lo, s43
	s_delay_alu instid0(VALU_DEP_1)
	v_ashrrev_i32_e32 v11, 31, v10
	s_and_saveexec_b32 s43, s15
	s_cbranch_execz .LBB93_59
.LBB93_75:                              ;   in Loop: Header=BB93_43 Depth=1
	v_add3_u32 v2, v6, -1, v10
	v_add_nc_u32_e32 v14, v6, v10
	s_delay_alu instid0(VALU_DEP_2) | instskip(NEXT) | instid1(VALU_DEP_2)
	v_lshl_add_u32 v2, v2, 3, 0
	v_lshl_add_u32 v14, v14, 2, 0
	ds_store_b64 v2, v[8:9]
	ds_store_b32 v14, v13 offset:65532
	s_or_b32 exec_lo, exec_lo, s43
	s_and_saveexec_b32 s15, vcc_lo
	s_cbranch_execz .LBB93_42
.LBB93_76:                              ;   in Loop: Header=BB93_43 Depth=1
	v_mov_b32_e32 v2, s38
	ds_store_b64 v2, v[10:11]
	s_branch .LBB93_42
.LBB93_77:
	s_or_b32 exec_lo, exec_lo, s19
	s_wait_kmcnt 0x0
	s_lshl_b64 s[0:1], s[22:23], 3
	v_mov_b32_e32 v1, 0
	s_add_nc_u64 s[4:5], s[24:25], s[0:1]
	s_mov_b32 s6, exec_lo
	s_load_b128 s[0:3], s[4:5], 0x0
	s_wait_kmcnt 0x0
	s_sub_nc_u64 s[4:5], s[2:3], s[0:1]
	s_delay_alu instid0(SALU_CYCLE_1)
	v_cmpx_gt_i64_e64 s[4:5], v[0:1]
	s_cbranch_execz .LBB93_87
; %bb.78:
	s_sub_nc_u64 s[8:9], s[0:1], s[2:3]
	s_and_b64 s[6:7], s[4:5], 7
	v_cmp_lt_u64_e64 s10, s[8:9], -7
	s_and_b64 s[2:3], s[4:5], -8
	s_mov_b32 s19, 0
	s_cmp_lg_u64 s[6:7], 0
	s_sub_nc_u64 s[0:1], s[0:1], s[18:19]
	s_cselect_b32 s11, -1, 0
	s_mov_b32 s12, 0
	s_branch .LBB93_80
.LBB93_79:                              ;   in Loop: Header=BB93_80 Depth=1
	v_add_nc_u64_e32 v[0:1], 0x400, v[0:1]
	s_wait_dscnt 0x1
	s_delay_alu instid0(VALU_DEP_2)
	v_lshl_add_u64 v[2:3], v[4:5], 2, s[16:17]
	s_wait_dscnt 0x0
	global_store_b32 v[2:3], v6, off
	v_cmp_le_i64_e32 vcc_lo, s[4:5], v[0:1]
	s_or_b32 s12, vcc_lo, s12
	s_wait_xcnt 0x0
	s_and_not1_b32 exec_lo, exec_lo, s12
	s_cbranch_execz .LBB93_87
.LBB93_80:                              ; =>This Loop Header: Depth=1
                                        ;     Child Loop BB93_82 Depth 2
                                        ;     Child Loop BB93_86 Depth 2
	v_lshlrev_b32_e32 v2, 2, v0
	v_lshl_add_u32 v3, v0, 3, 0
	s_and_not1_b32 vcc_lo, exec_lo, s10
	s_mov_b64 s[8:9], 0
	s_delay_alu instid0(VALU_DEP_2)
	v_add3_u32 v4, 0, v2, 0x10000
	ds_load_b64 v[2:3], v3
	ds_load_b32 v6, v4
	v_mov_b64_e32 v[4:5], s[0:1]
	s_cbranch_vccnz .LBB93_84
; %bb.81:                               ;   in Loop: Header=BB93_80 Depth=1
	v_mov_b64_e32 v[4:5], s[0:1]
	s_mov_b32 s13, 0
.LBB93_82:                              ;   Parent Loop BB93_80 Depth=1
                                        ; =>  This Inner Loop Header: Depth=2
	s_delay_alu instid0(SALU_CYCLE_1)
	v_dual_mov_b32 v7, s13 :: v_dual_mov_b32 v17, s19
	s_add_nc_u64 s[8:9], s[8:9], 8
	s_add_co_i32 s13, s13, 64
	s_cmp_eq_u64 s[2:3], s[8:9]
	ds_load_2addr_b64 v[8:11], v7 offset1:1
	ds_load_2addr_b64 v[12:15], v7 offset0:2 offset1:3
	s_wait_dscnt 0x1
	v_cmp_gt_i64_e32 vcc_lo, v[2:3], v[8:9]
	v_cndmask_b32_e64 v16, 0, 1, vcc_lo
	v_cmp_gt_i64_e32 vcc_lo, v[2:3], v[10:11]
	ds_load_2addr_b64 v[8:11], v7 offset0:4 offset1:5
	v_add_nc_u64_e32 v[4:5], v[4:5], v[16:17]
	v_cndmask_b32_e64 v18, 0, 1, vcc_lo
	s_wait_dscnt 0x1
	v_cmp_gt_i64_e32 vcc_lo, v[2:3], v[12:13]
	v_cndmask_b32_e64 v16, 0, 1, vcc_lo
	v_cmp_gt_i64_e32 vcc_lo, v[2:3], v[14:15]
	ds_load_2addr_b64 v[12:15], v7 offset0:6 offset1:7
	v_mov_b32_e32 v19, s19
	s_delay_alu instid0(VALU_DEP_1) | instskip(SKIP_4) | instid1(VALU_DEP_4)
	v_add_nc_u64_e32 v[4:5], v[4:5], v[18:19]
	v_cndmask_b32_e64 v18, 0, 1, vcc_lo
	s_wait_dscnt 0x1
	v_cmp_gt_i64_e32 vcc_lo, v[2:3], v[8:9]
	v_mov_b32_e32 v9, s19
	v_add_nc_u64_e32 v[4:5], v[4:5], v[16:17]
	v_cndmask_b32_e64 v16, 0, 1, vcc_lo
	v_cmp_gt_i64_e32 vcc_lo, v[2:3], v[10:11]
	v_mov_b32_e32 v11, s19
	s_delay_alu instid0(VALU_DEP_4) | instskip(SKIP_3) | instid1(VALU_DEP_3)
	v_add_nc_u64_e32 v[4:5], v[4:5], v[18:19]
	v_cndmask_b32_e64 v8, 0, 1, vcc_lo
	s_wait_dscnt 0x0
	v_cmp_gt_i64_e32 vcc_lo, v[2:3], v[12:13]
	v_add_nc_u64_e32 v[4:5], v[4:5], v[16:17]
	v_cndmask_b32_e64 v10, 0, 1, vcc_lo
	v_cmp_gt_i64_e32 vcc_lo, v[2:3], v[14:15]
	s_delay_alu instid0(VALU_DEP_3) | instskip(SKIP_1) | instid1(VALU_DEP_2)
	v_add_nc_u64_e32 v[4:5], v[4:5], v[8:9]
	v_cndmask_b32_e64 v8, 0, 1, vcc_lo
	v_add_nc_u64_e32 v[4:5], v[4:5], v[10:11]
	s_delay_alu instid0(VALU_DEP_1)
	v_add_nc_u64_e32 v[4:5], v[4:5], v[8:9]
	s_cbranch_scc0 .LBB93_82
; %bb.83:                               ;   in Loop: Header=BB93_80 Depth=1
	s_mov_b64 s[8:9], s[2:3]
.LBB93_84:                              ;   in Loop: Header=BB93_80 Depth=1
	s_and_not1_b32 vcc_lo, exec_lo, s11
	s_cbranch_vccnz .LBB93_79
; %bb.85:                               ;   in Loop: Header=BB93_80 Depth=1
	s_lshl_b32 s8, s8, 3
	s_delay_alu instid0(SALU_CYCLE_1)
	s_add_co_i32 s13, s8, 0
	s_mov_b64 s[8:9], s[6:7]
.LBB93_86:                              ;   Parent Loop BB93_80 Depth=1
                                        ; =>  This Inner Loop Header: Depth=2
	v_dual_mov_b32 v7, s13 :: v_dual_mov_b32 v11, s19
	s_add_nc_u64 s[8:9], s[8:9], -1
	s_add_co_i32 s13, s13, 8
	s_cmp_lg_u64 s[8:9], 0
	ds_load_b64 v[8:9], v7
	s_wait_dscnt 0x0
	v_cmp_gt_i64_e32 vcc_lo, v[2:3], v[8:9]
	v_cndmask_b32_e64 v10, 0, 1, vcc_lo
	s_delay_alu instid0(VALU_DEP_1)
	v_add_nc_u64_e32 v[4:5], v[4:5], v[10:11]
	s_cbranch_scc1 .LBB93_86
	s_branch .LBB93_79
.LBB93_87:
	s_endpgm
	.section	.rodata,"a",@progbits
	.p2align	6, 0x0
	.amdhsa_kernel _ZN9rocsparseL41csrgemm_numeric_fill_block_per_row_kernelILj1024ELj64ELj8192ELj137ELj64EllfEEvT5_PKS1_S3_NS_24const_host_device_scalarIT6_EEPKT4_S3_PKS5_S9_S3_SB_S6_S9_S3_SB_S9_S3_PS5_21rocsparse_index_base_SD_SD_SD_bbb
		.amdhsa_group_segment_fixed_size 0
		.amdhsa_private_segment_fixed_size 0
		.amdhsa_kernarg_size 156
		.amdhsa_user_sgpr_count 2
		.amdhsa_user_sgpr_dispatch_ptr 0
		.amdhsa_user_sgpr_queue_ptr 0
		.amdhsa_user_sgpr_kernarg_segment_ptr 1
		.amdhsa_user_sgpr_dispatch_id 0
		.amdhsa_user_sgpr_kernarg_preload_length 0
		.amdhsa_user_sgpr_kernarg_preload_offset 0
		.amdhsa_user_sgpr_private_segment_size 0
		.amdhsa_wavefront_size32 1
		.amdhsa_uses_dynamic_stack 0
		.amdhsa_enable_private_segment 0
		.amdhsa_system_sgpr_workgroup_id_x 1
		.amdhsa_system_sgpr_workgroup_id_y 0
		.amdhsa_system_sgpr_workgroup_id_z 0
		.amdhsa_system_sgpr_workgroup_info 0
		.amdhsa_system_vgpr_workitem_id 0
		.amdhsa_next_free_vgpr 23
		.amdhsa_next_free_sgpr 44
		.amdhsa_named_barrier_count 0
		.amdhsa_reserve_vcc 1
		.amdhsa_float_round_mode_32 0
		.amdhsa_float_round_mode_16_64 0
		.amdhsa_float_denorm_mode_32 3
		.amdhsa_float_denorm_mode_16_64 3
		.amdhsa_fp16_overflow 0
		.amdhsa_memory_ordered 1
		.amdhsa_forward_progress 1
		.amdhsa_inst_pref_size 29
		.amdhsa_round_robin_scheduling 0
		.amdhsa_exception_fp_ieee_invalid_op 0
		.amdhsa_exception_fp_denorm_src 0
		.amdhsa_exception_fp_ieee_div_zero 0
		.amdhsa_exception_fp_ieee_overflow 0
		.amdhsa_exception_fp_ieee_underflow 0
		.amdhsa_exception_fp_ieee_inexact 0
		.amdhsa_exception_int_div_zero 0
	.end_amdhsa_kernel
	.section	.text._ZN9rocsparseL41csrgemm_numeric_fill_block_per_row_kernelILj1024ELj64ELj8192ELj137ELj64EllfEEvT5_PKS1_S3_NS_24const_host_device_scalarIT6_EEPKT4_S3_PKS5_S9_S3_SB_S6_S9_S3_SB_S9_S3_PS5_21rocsparse_index_base_SD_SD_SD_bbb,"axG",@progbits,_ZN9rocsparseL41csrgemm_numeric_fill_block_per_row_kernelILj1024ELj64ELj8192ELj137ELj64EllfEEvT5_PKS1_S3_NS_24const_host_device_scalarIT6_EEPKT4_S3_PKS5_S9_S3_SB_S6_S9_S3_SB_S9_S3_PS5_21rocsparse_index_base_SD_SD_SD_bbb,comdat
.Lfunc_end93:
	.size	_ZN9rocsparseL41csrgemm_numeric_fill_block_per_row_kernelILj1024ELj64ELj8192ELj137ELj64EllfEEvT5_PKS1_S3_NS_24const_host_device_scalarIT6_EEPKT4_S3_PKS5_S9_S3_SB_S6_S9_S3_SB_S9_S3_PS5_21rocsparse_index_base_SD_SD_SD_bbb, .Lfunc_end93-_ZN9rocsparseL41csrgemm_numeric_fill_block_per_row_kernelILj1024ELj64ELj8192ELj137ELj64EllfEEvT5_PKS1_S3_NS_24const_host_device_scalarIT6_EEPKT4_S3_PKS5_S9_S3_SB_S6_S9_S3_SB_S9_S3_PS5_21rocsparse_index_base_SD_SD_SD_bbb
                                        ; -- End function
	.set _ZN9rocsparseL41csrgemm_numeric_fill_block_per_row_kernelILj1024ELj64ELj8192ELj137ELj64EllfEEvT5_PKS1_S3_NS_24const_host_device_scalarIT6_EEPKT4_S3_PKS5_S9_S3_SB_S6_S9_S3_SB_S9_S3_PS5_21rocsparse_index_base_SD_SD_SD_bbb.num_vgpr, 23
	.set _ZN9rocsparseL41csrgemm_numeric_fill_block_per_row_kernelILj1024ELj64ELj8192ELj137ELj64EllfEEvT5_PKS1_S3_NS_24const_host_device_scalarIT6_EEPKT4_S3_PKS5_S9_S3_SB_S6_S9_S3_SB_S9_S3_PS5_21rocsparse_index_base_SD_SD_SD_bbb.num_agpr, 0
	.set _ZN9rocsparseL41csrgemm_numeric_fill_block_per_row_kernelILj1024ELj64ELj8192ELj137ELj64EllfEEvT5_PKS1_S3_NS_24const_host_device_scalarIT6_EEPKT4_S3_PKS5_S9_S3_SB_S6_S9_S3_SB_S9_S3_PS5_21rocsparse_index_base_SD_SD_SD_bbb.numbered_sgpr, 44
	.set _ZN9rocsparseL41csrgemm_numeric_fill_block_per_row_kernelILj1024ELj64ELj8192ELj137ELj64EllfEEvT5_PKS1_S3_NS_24const_host_device_scalarIT6_EEPKT4_S3_PKS5_S9_S3_SB_S6_S9_S3_SB_S9_S3_PS5_21rocsparse_index_base_SD_SD_SD_bbb.num_named_barrier, 0
	.set _ZN9rocsparseL41csrgemm_numeric_fill_block_per_row_kernelILj1024ELj64ELj8192ELj137ELj64EllfEEvT5_PKS1_S3_NS_24const_host_device_scalarIT6_EEPKT4_S3_PKS5_S9_S3_SB_S6_S9_S3_SB_S9_S3_PS5_21rocsparse_index_base_SD_SD_SD_bbb.private_seg_size, 0
	.set _ZN9rocsparseL41csrgemm_numeric_fill_block_per_row_kernelILj1024ELj64ELj8192ELj137ELj64EllfEEvT5_PKS1_S3_NS_24const_host_device_scalarIT6_EEPKT4_S3_PKS5_S9_S3_SB_S6_S9_S3_SB_S9_S3_PS5_21rocsparse_index_base_SD_SD_SD_bbb.uses_vcc, 1
	.set _ZN9rocsparseL41csrgemm_numeric_fill_block_per_row_kernelILj1024ELj64ELj8192ELj137ELj64EllfEEvT5_PKS1_S3_NS_24const_host_device_scalarIT6_EEPKT4_S3_PKS5_S9_S3_SB_S6_S9_S3_SB_S9_S3_PS5_21rocsparse_index_base_SD_SD_SD_bbb.uses_flat_scratch, 0
	.set _ZN9rocsparseL41csrgemm_numeric_fill_block_per_row_kernelILj1024ELj64ELj8192ELj137ELj64EllfEEvT5_PKS1_S3_NS_24const_host_device_scalarIT6_EEPKT4_S3_PKS5_S9_S3_SB_S6_S9_S3_SB_S9_S3_PS5_21rocsparse_index_base_SD_SD_SD_bbb.has_dyn_sized_stack, 0
	.set _ZN9rocsparseL41csrgemm_numeric_fill_block_per_row_kernelILj1024ELj64ELj8192ELj137ELj64EllfEEvT5_PKS1_S3_NS_24const_host_device_scalarIT6_EEPKT4_S3_PKS5_S9_S3_SB_S6_S9_S3_SB_S9_S3_PS5_21rocsparse_index_base_SD_SD_SD_bbb.has_recursion, 0
	.set _ZN9rocsparseL41csrgemm_numeric_fill_block_per_row_kernelILj1024ELj64ELj8192ELj137ELj64EllfEEvT5_PKS1_S3_NS_24const_host_device_scalarIT6_EEPKT4_S3_PKS5_S9_S3_SB_S6_S9_S3_SB_S9_S3_PS5_21rocsparse_index_base_SD_SD_SD_bbb.has_indirect_call, 0
	.section	.AMDGPU.csdata,"",@progbits
; Kernel info:
; codeLenInByte = 3596
; TotalNumSgprs: 46
; NumVgprs: 23
; ScratchSize: 0
; MemoryBound: 0
; FloatMode: 240
; IeeeMode: 1
; LDSByteSize: 0 bytes/workgroup (compile time only)
; SGPRBlocks: 0
; VGPRBlocks: 1
; NumSGPRsForWavesPerEU: 46
; NumVGPRsForWavesPerEU: 23
; NamedBarCnt: 0
; Occupancy: 16
; WaveLimiterHint : 1
; COMPUTE_PGM_RSRC2:SCRATCH_EN: 0
; COMPUTE_PGM_RSRC2:USER_SGPR: 2
; COMPUTE_PGM_RSRC2:TRAP_HANDLER: 0
; COMPUTE_PGM_RSRC2:TGID_X_EN: 1
; COMPUTE_PGM_RSRC2:TGID_Y_EN: 0
; COMPUTE_PGM_RSRC2:TGID_Z_EN: 0
; COMPUTE_PGM_RSRC2:TIDIG_COMP_CNT: 0
	.section	.text._ZN9rocsparseL41csrgemm_numeric_fill_block_per_row_kernelILj1024ELj64ELj16384ELj137ELj32EllfEEvT5_PKS1_S3_NS_24const_host_device_scalarIT6_EEPKT4_S3_PKS5_S9_S3_SB_S6_S9_S3_SB_S9_S3_PS5_21rocsparse_index_base_SD_SD_SD_bbb,"axG",@progbits,_ZN9rocsparseL41csrgemm_numeric_fill_block_per_row_kernelILj1024ELj64ELj16384ELj137ELj32EllfEEvT5_PKS1_S3_NS_24const_host_device_scalarIT6_EEPKT4_S3_PKS5_S9_S3_SB_S6_S9_S3_SB_S9_S3_PS5_21rocsparse_index_base_SD_SD_SD_bbb,comdat
	.globl	_ZN9rocsparseL41csrgemm_numeric_fill_block_per_row_kernelILj1024ELj64ELj16384ELj137ELj32EllfEEvT5_PKS1_S3_NS_24const_host_device_scalarIT6_EEPKT4_S3_PKS5_S9_S3_SB_S6_S9_S3_SB_S9_S3_PS5_21rocsparse_index_base_SD_SD_SD_bbb ; -- Begin function _ZN9rocsparseL41csrgemm_numeric_fill_block_per_row_kernelILj1024ELj64ELj16384ELj137ELj32EllfEEvT5_PKS1_S3_NS_24const_host_device_scalarIT6_EEPKT4_S3_PKS5_S9_S3_SB_S6_S9_S3_SB_S9_S3_PS5_21rocsparse_index_base_SD_SD_SD_bbb
	.p2align	8
	.type	_ZN9rocsparseL41csrgemm_numeric_fill_block_per_row_kernelILj1024ELj64ELj16384ELj137ELj32EllfEEvT5_PKS1_S3_NS_24const_host_device_scalarIT6_EEPKT4_S3_PKS5_S9_S3_SB_S6_S9_S3_SB_S9_S3_PS5_21rocsparse_index_base_SD_SD_SD_bbb,@function
_ZN9rocsparseL41csrgemm_numeric_fill_block_per_row_kernelILj1024ELj64ELj16384ELj137ELj32EllfEEvT5_PKS1_S3_NS_24const_host_device_scalarIT6_EEPKT4_S3_PKS5_S9_S3_SB_S6_S9_S3_SB_S9_S3_PS5_21rocsparse_index_base_SD_SD_SD_bbb: ; @_ZN9rocsparseL41csrgemm_numeric_fill_block_per_row_kernelILj1024ELj64ELj16384ELj137ELj32EllfEEvT5_PKS1_S3_NS_24const_host_device_scalarIT6_EEPKT4_S3_PKS5_S9_S3_SB_S6_S9_S3_SB_S9_S3_PS5_21rocsparse_index_base_SD_SD_SD_bbb
; %bb.0:
	s_clause 0x3
	s_load_b32 s6, s[0:1], 0x98
	s_load_b64 s[2:3], s[0:1], 0x18
	s_load_b128 s[44:47], s[0:1], 0x88
	s_load_b64 s[4:5], s[0:1], 0x50
	s_wait_kmcnt 0x0
	s_and_b32 s8, 1, s6
	s_bitcmp1_b32 s6, 16
	s_cselect_b32 s7, -1, 0
	s_cmp_eq_u32 s8, 1
	s_cselect_b32 s21, -1, 0
	s_delay_alu instid0(SALU_CYCLE_1) | instskip(SKIP_2) | instid1(SALU_CYCLE_1)
	s_and_b32 s8, s21, exec_lo
	s_cselect_b32 s19, s2, 0
	s_xor_b32 s8, s21, -1
	s_or_b32 s8, s7, s8
	s_delay_alu instid0(SALU_CYCLE_1)
	s_and_b32 vcc_lo, exec_lo, s8
	s_cbranch_vccnz .LBB94_2
; %bb.1:
	s_load_b32 s19, s[2:3], 0x0
.LBB94_2:
	s_wait_xcnt 0x0
	s_load_b64 s[2:3], s[0:1], 0x8
	s_bitcmp1_b32 s6, 8
	s_cselect_b32 s20, -1, 0
	s_delay_alu instid0(SALU_CYCLE_1) | instskip(SKIP_2) | instid1(SALU_CYCLE_1)
	s_and_b32 s6, s20, exec_lo
	s_cselect_b32 s18, s4, 0
	s_xor_b32 s6, s20, -1
	s_or_b32 s6, s7, s6
	s_delay_alu instid0(SALU_CYCLE_1)
	s_and_b32 vcc_lo, exec_lo, s6
	s_cbranch_vccnz .LBB94_4
; %bb.3:
	s_load_b32 s18, s[4:5], 0x0
.LBB94_4:
	s_clause 0x4
	s_load_b64 s[48:49], s[0:1], 0x0
	s_load_b64 s[16:17], s[0:1], 0x10
	;; [unrolled: 1-line block ×3, first 2 shown]
	s_load_b256 s[36:43], s[0:1], 0x58
	s_load_b128 s[12:15], s[0:1], 0x40
	s_wait_xcnt 0x0
	s_load_b256 s[4:11], s[0:1], 0x20
	v_lshl_add_u32 v18, v0, 3, 0
	v_lshlrev_b32_e32 v1, 2, v0
	v_or_b32_e32 v20, 0xfffffc00, v0
	s_wait_xcnt 0x0
	s_mov_b32 s0, 0
	v_mov_b32_e32 v4, v18
	v_add3_u32 v19, v1, 0, 0x20000
	v_dual_mov_b32 v1, 0 :: v_dual_mov_b32 v6, v20
	s_delay_alu instid0(VALU_DEP_2)
	v_mov_b32_e32 v5, v19
	s_wait_kmcnt 0x0
	v_mov_b64_e32 v[2:3], s[48:49]
.LBB94_5:                               ; =>This Inner Loop Header: Depth=1
	s_delay_alu instid0(VALU_DEP_3)
	v_add_nc_u32_e32 v6, 0x400, v6
	ds_store_b64 v4, v[2:3]
	ds_store_b32 v5, v1
	v_add_nc_u32_e32 v5, 0x1000, v5
	v_add_nc_u32_e32 v4, 0x2000, v4
	v_cmp_lt_u32_e32 vcc_lo, 0x3bff, v6
	s_or_b32 s0, vcc_lo, s0
	s_delay_alu instid0(SALU_CYCLE_1)
	s_and_not1_b32 exec_lo, exec_lo, s0
	s_cbranch_execnz .LBB94_5
; %bb.6:
	s_or_b32 exec_lo, exec_lo, s0
	s_wait_dscnt 0x0
	s_barrier_signal -1
	s_barrier_wait -1
	s_load_b64 s[0:1], s[2:3], 0x0
	s_wait_xcnt 0x0
	s_bfe_u32 s2, ttmp6, 0x4000c
	s_and_b32 s3, ttmp6, 15
	s_add_co_i32 s2, s2, 1
	s_getreg_b32 s22, hwreg(HW_REG_IB_STS2, 6, 4)
	s_mul_i32 s2, ttmp9, s2
	s_delay_alu instid0(SALU_CYCLE_1)
	s_add_co_i32 s3, s3, s2
	s_wait_kmcnt 0x0
	s_lshl_b64 s[0:1], s[0:1], 3
	s_cmp_eq_u32 s22, 0
	s_add_nc_u64 s[0:1], s[16:17], s[0:1]
	s_cselect_b32 s2, ttmp9, s3
	s_and_b32 vcc_lo, exec_lo, s21
	s_load_b64 s[50:51], s[0:1], s2 offset:0x0 scale_offset
	s_wait_xcnt 0x0
	s_mov_b32 s1, 0
	s_cbranch_vccz .LBB94_26
; %bb.7:
	s_wait_kmcnt 0x0
	s_lshl_b64 s[2:3], s[50:51], 3
	v_dual_mov_b32 v5, 0 :: v_dual_lshrrev_b32 v4, 6, v0
	s_add_nc_u64 s[2:3], s[4:5], s[2:3]
	s_mov_b32 s0, s44
	s_load_b128 s[24:27], s[2:3], 0x0
	s_mov_b32 s16, exec_lo
	v_sub_nc_u64_e64 v[2:3], v[4:5], s[0:1]
	s_wait_kmcnt 0x0
	s_delay_alu instid0(VALU_DEP_1)
	v_add_nc_u64_e32 v[2:3], s[24:25], v[2:3]
	s_sub_nc_u64 s[2:3], s[26:27], s[0:1]
	s_delay_alu instid0(VALU_DEP_1) | instid1(SALU_CYCLE_1)
	v_cmpx_gt_i64_e64 s[2:3], v[2:3]
	s_cbranch_execz .LBB94_25
; %bb.8:
	v_and_b32_e32 v4, 63, v0
	s_mov_b32 s5, 0
	s_mov_b32 s4, s45
	s_mov_b32 s17, s5
	s_delay_alu instid0(VALU_DEP_1)
	v_sub_nc_u64_e64 v[4:5], v[4:5], s[4:5]
	s_branch .LBB94_10
.LBB94_9:                               ;   in Loop: Header=BB94_10 Depth=1
	s_or_b32 exec_lo, exec_lo, s21
	v_add_nc_u64_e32 v[2:3], 16, v[2:3]
	s_delay_alu instid0(VALU_DEP_1) | instskip(SKIP_1) | instid1(SALU_CYCLE_1)
	v_cmp_le_i64_e32 vcc_lo, s[2:3], v[2:3]
	s_or_b32 s17, vcc_lo, s17
	s_and_not1_b32 exec_lo, exec_lo, s17
	s_cbranch_execz .LBB94_25
.LBB94_10:                              ; =>This Loop Header: Depth=1
                                        ;     Child Loop BB94_14 Depth 2
                                        ;       Child Loop BB94_17 Depth 3
	v_lshl_add_u64 v[6:7], v[2:3], 3, s[6:7]
	s_mov_b32 s21, exec_lo
	global_load_b64 v[6:7], v[6:7], off
	s_wait_loadcnt 0x0
	s_wait_xcnt 0x0
	v_sub_nc_u64_e64 v[6:7], v[6:7], s[0:1]
	s_delay_alu instid0(VALU_DEP_1)
	v_lshl_add_u64 v[6:7], v[6:7], 3, s[10:11]
	global_load_b128 v[8:11], v[6:7], off
	s_wait_loadcnt 0x0
	s_wait_xcnt 0x0
	v_sub_nc_u64_e64 v[6:7], v[10:11], s[4:5]
	v_add_nc_u64_e32 v[8:9], v[8:9], v[4:5]
	s_delay_alu instid0(VALU_DEP_1)
	v_cmpx_lt_i64_e64 v[8:9], v[6:7]
	s_cbranch_execz .LBB94_9
; %bb.11:                               ;   in Loop: Header=BB94_10 Depth=1
	v_lshl_add_u64 v[10:11], v[2:3], 2, s[8:9]
	s_mov_b32 s22, 0
	global_load_b32 v1, v[10:11], off
	s_wait_loadcnt 0x0
	v_mul_f32_e32 v1, s19, v1
	s_branch .LBB94_14
.LBB94_12:                              ;   in Loop: Header=BB94_14 Depth=2
	s_or_b32 exec_lo, exec_lo, s24
.LBB94_13:                              ;   in Loop: Header=BB94_14 Depth=2
	s_delay_alu instid0(SALU_CYCLE_1) | instskip(SKIP_3) | instid1(VALU_DEP_2)
	s_or_b32 exec_lo, exec_lo, s23
	s_wait_loadcnt 0x0
	v_dual_mul_f32 v11, v1, v21 :: v_dual_lshlrev_b32 v10, 2, v10
	v_add_nc_u64_e32 v[8:9], 64, v[8:9]
	v_add3_u32 v10, 0, v10, 0x20000
	s_delay_alu instid0(VALU_DEP_2) | instskip(SKIP_2) | instid1(SALU_CYCLE_1)
	v_cmp_ge_i64_e32 vcc_lo, v[8:9], v[6:7]
	ds_add_f32 v10, v11
	s_or_b32 s22, vcc_lo, s22
	s_and_not1_b32 exec_lo, exec_lo, s22
	s_cbranch_execz .LBB94_9
.LBB94_14:                              ;   Parent Loop BB94_10 Depth=1
                                        ; =>  This Loop Header: Depth=2
                                        ;       Child Loop BB94_17 Depth 3
	s_wait_xcnt 0x0
	v_lshl_add_u64 v[10:11], v[8:9], 3, s[12:13]
	v_lshl_add_u64 v[12:13], v[8:9], 2, s[14:15]
	s_mov_b32 s23, exec_lo
	global_load_b64 v[10:11], v[10:11], off
	global_load_b32 v21, v[12:13], off
	s_wait_loadcnt 0x1
	s_wait_xcnt 0x0
	v_sub_nc_u64_e64 v[12:13], v[10:11], s[4:5]
	s_delay_alu instid0(VALU_DEP_1) | instskip(NEXT) | instid1(VALU_DEP_1)
	v_mul_lo_u32 v10, 0x89, v12
	v_and_b32_e32 v10, 0x3fff, v10
	s_delay_alu instid0(VALU_DEP_1)
	v_lshl_add_u32 v22, v10, 3, 0
	ds_load_b64 v[16:17], v22
	s_wait_dscnt 0x0
	v_cmpx_ne_u64_e64 v[16:17], v[12:13]
	s_cbranch_execz .LBB94_13
; %bb.15:                               ;   in Loop: Header=BB94_14 Depth=2
	s_mov_b32 s24, 0
                                        ; implicit-def: $sgpr25
                                        ; implicit-def: $sgpr26
	s_branch .LBB94_17
.LBB94_16:                              ;   in Loop: Header=BB94_17 Depth=3
	s_or_b32 exec_lo, exec_lo, s29
	s_delay_alu instid0(SALU_CYCLE_1) | instskip(NEXT) | instid1(SALU_CYCLE_1)
	s_and_b32 s27, exec_lo, s28
	s_or_b32 s24, s27, s24
	s_and_not1_b32 s25, s25, exec_lo
	s_and_b32 s27, s26, exec_lo
	s_delay_alu instid0(SALU_CYCLE_1)
	s_or_b32 s25, s25, s27
	s_and_not1_b32 exec_lo, exec_lo, s24
	s_cbranch_execz .LBB94_23
.LBB94_17:                              ;   Parent Loop BB94_10 Depth=1
                                        ;     Parent Loop BB94_14 Depth=2
                                        ; =>    This Inner Loop Header: Depth=3
	v_mov_b64_e32 v[14:15], v[10:11]
	s_mov_b32 s27, 0
	s_mov_b32 s28, exec_lo
                                        ; implicit-def: $vgpr10_vgpr11
	v_cmpx_ne_u64_e64 s[48:49], v[16:17]
	s_xor_b32 s28, exec_lo, s28
; %bb.18:                               ;   in Loop: Header=BB94_17 Depth=3
	s_delay_alu instid0(VALU_DEP_2) | instskip(SKIP_1) | instid1(VALU_DEP_1)
	v_add_nc_u32_e32 v10, 1, v14
	s_mov_b32 s27, exec_lo
                                        ; implicit-def: $vgpr22
	v_and_b32_e32 v10, 0x3fff, v10
; %bb.19:                               ;   in Loop: Header=BB94_17 Depth=3
	s_and_not1_saveexec_b32 s28, s28
	s_cbranch_execz .LBB94_21
; %bb.20:                               ;   in Loop: Header=BB94_17 Depth=3
	v_mov_b64_e32 v[10:11], s[48:49]
	s_and_not1_b32 s27, s27, exec_lo
	ds_cmpstore_rtn_b64 v[10:11], v22, v[12:13], v[10:11]
	s_wait_dscnt 0x0
	v_cmp_ne_u64_e32 vcc_lo, s[48:49], v[10:11]
	v_mov_b64_e32 v[10:11], v[14:15]
	s_and_b32 s29, vcc_lo, exec_lo
	s_delay_alu instid0(SALU_CYCLE_1)
	s_or_b32 s27, s27, s29
.LBB94_21:                              ;   in Loop: Header=BB94_17 Depth=3
	s_or_b32 exec_lo, exec_lo, s28
	s_mov_b32 s28, -1
	s_or_b32 s26, s26, exec_lo
                                        ; implicit-def: $vgpr22
                                        ; implicit-def: $vgpr16_vgpr17
	s_and_saveexec_b32 s29, s27
	s_cbranch_execz .LBB94_16
; %bb.22:                               ;   in Loop: Header=BB94_17 Depth=3
	v_lshl_add_u32 v22, v10, 3, 0
	s_and_not1_b32 s26, s26, exec_lo
	ds_load_b64 v[16:17], v22
	s_wait_dscnt 0x0
	v_cmp_eq_u64_e32 vcc_lo, v[16:17], v[12:13]
	s_or_not1_b32 s28, vcc_lo, exec_lo
	s_branch .LBB94_16
.LBB94_23:                              ;   in Loop: Header=BB94_14 Depth=2
	s_or_b32 exec_lo, exec_lo, s24
	s_and_saveexec_b32 s24, s25
	s_delay_alu instid0(SALU_CYCLE_1)
	s_xor_b32 s24, exec_lo, s24
	s_cbranch_execz .LBB94_12
; %bb.24:                               ;   in Loop: Header=BB94_14 Depth=2
	v_mov_b32_e32 v10, v14
	s_branch .LBB94_12
.LBB94_25:
	s_or_b32 exec_lo, exec_lo, s16
.LBB94_26:
	s_delay_alu instid0(SALU_CYCLE_1)
	s_and_not1_b32 vcc_lo, exec_lo, s20
	s_cbranch_vccnz .LBB94_43
; %bb.27:
	s_wait_kmcnt 0x0
	s_lshl_b64 s[0:1], s[50:51], 3
	v_mov_b32_e32 v1, 0
	s_add_nc_u64 s[0:1], s[36:37], s[0:1]
	s_load_b128 s[4:7], s[0:1], 0x0
	s_wait_xcnt 0x0
	s_mov_b32 s1, 0
	s_mov_b32 s0, s47
	s_delay_alu instid0(SALU_CYCLE_1) | instskip(SKIP_1) | instid1(VALU_DEP_1)
	v_sub_nc_u64_e64 v[2:3], v[0:1], s[0:1]
	s_wait_kmcnt 0x0
	v_add_nc_u64_e32 v[2:3], s[4:5], v[2:3]
	s_sub_nc_u64 s[2:3], s[6:7], s[0:1]
	s_mov_b32 s4, exec_lo
	s_delay_alu instid0(VALU_DEP_1)
	v_cmpx_gt_i64_e64 s[2:3], v[2:3]
	s_cbranch_execz .LBB94_42
; %bb.28:
	s_mov_b32 s5, s1
	s_branch .LBB94_31
.LBB94_29:                              ;   in Loop: Header=BB94_31 Depth=1
	s_or_b32 exec_lo, exec_lo, s7
.LBB94_30:                              ;   in Loop: Header=BB94_31 Depth=1
	s_delay_alu instid0(SALU_CYCLE_1) | instskip(SKIP_3) | instid1(VALU_DEP_2)
	s_or_b32 exec_lo, exec_lo, s6
	s_wait_loadcnt 0x0
	v_dual_mul_f32 v1, s18, v1 :: v_dual_lshlrev_b32 v4, 2, v4
	v_add_nc_u64_e32 v[2:3], 0x400, v[2:3]
	v_add3_u32 v4, 0, v4, 0x20000
	s_delay_alu instid0(VALU_DEP_2) | instskip(SKIP_2) | instid1(SALU_CYCLE_1)
	v_cmp_le_i64_e32 vcc_lo, s[2:3], v[2:3]
	ds_add_f32 v4, v1
	s_or_b32 s5, vcc_lo, s5
	s_and_not1_b32 exec_lo, exec_lo, s5
	s_cbranch_execz .LBB94_42
.LBB94_31:                              ; =>This Loop Header: Depth=1
                                        ;     Child Loop BB94_34 Depth 2
	v_lshl_add_u64 v[4:5], v[2:3], 3, s[38:39]
	v_lshl_add_u64 v[6:7], v[2:3], 2, s[40:41]
	s_mov_b32 s6, exec_lo
	global_load_b64 v[4:5], v[4:5], off
	global_load_b32 v1, v[6:7], off
	s_wait_loadcnt 0x1
	s_wait_xcnt 0x0
	v_sub_nc_u64_e64 v[6:7], v[4:5], s[0:1]
	s_delay_alu instid0(VALU_DEP_1) | instskip(NEXT) | instid1(VALU_DEP_1)
	v_mul_lo_u32 v4, 0x89, v6
	v_and_b32_e32 v4, 0x3fff, v4
	s_delay_alu instid0(VALU_DEP_1)
	v_lshl_add_u32 v12, v4, 3, 0
	ds_load_b64 v[10:11], v12
	s_wait_dscnt 0x0
	v_cmpx_ne_u64_e64 v[10:11], v[6:7]
	s_cbranch_execz .LBB94_30
; %bb.32:                               ;   in Loop: Header=BB94_31 Depth=1
	s_mov_b32 s7, 0
                                        ; implicit-def: $sgpr8
                                        ; implicit-def: $sgpr9
	s_branch .LBB94_34
.LBB94_33:                              ;   in Loop: Header=BB94_34 Depth=2
	s_or_b32 exec_lo, exec_lo, s12
	s_delay_alu instid0(SALU_CYCLE_1) | instskip(NEXT) | instid1(SALU_CYCLE_1)
	s_and_b32 s10, exec_lo, s11
	s_or_b32 s7, s10, s7
	s_and_not1_b32 s8, s8, exec_lo
	s_and_b32 s10, s9, exec_lo
	s_delay_alu instid0(SALU_CYCLE_1)
	s_or_b32 s8, s8, s10
	s_and_not1_b32 exec_lo, exec_lo, s7
	s_cbranch_execz .LBB94_40
.LBB94_34:                              ;   Parent Loop BB94_31 Depth=1
                                        ; =>  This Inner Loop Header: Depth=2
	v_mov_b64_e32 v[8:9], v[4:5]
	s_mov_b32 s10, 0
	s_mov_b32 s11, exec_lo
                                        ; implicit-def: $vgpr4_vgpr5
	v_cmpx_ne_u64_e64 s[48:49], v[10:11]
	s_xor_b32 s11, exec_lo, s11
; %bb.35:                               ;   in Loop: Header=BB94_34 Depth=2
	s_delay_alu instid0(VALU_DEP_2) | instskip(SKIP_1) | instid1(VALU_DEP_1)
	v_add_nc_u32_e32 v4, 1, v8
	s_mov_b32 s10, exec_lo
                                        ; implicit-def: $vgpr12
	v_and_b32_e32 v4, 0x3fff, v4
; %bb.36:                               ;   in Loop: Header=BB94_34 Depth=2
	s_and_not1_saveexec_b32 s11, s11
	s_cbranch_execz .LBB94_38
; %bb.37:                               ;   in Loop: Header=BB94_34 Depth=2
	v_mov_b64_e32 v[4:5], s[48:49]
	s_and_not1_b32 s10, s10, exec_lo
	ds_cmpstore_rtn_b64 v[4:5], v12, v[6:7], v[4:5]
	s_wait_dscnt 0x0
	v_cmp_ne_u64_e32 vcc_lo, s[48:49], v[4:5]
	v_mov_b64_e32 v[4:5], v[8:9]
	s_and_b32 s12, vcc_lo, exec_lo
	s_delay_alu instid0(SALU_CYCLE_1)
	s_or_b32 s10, s10, s12
.LBB94_38:                              ;   in Loop: Header=BB94_34 Depth=2
	s_or_b32 exec_lo, exec_lo, s11
	s_mov_b32 s11, -1
	s_or_b32 s9, s9, exec_lo
                                        ; implicit-def: $vgpr12
                                        ; implicit-def: $vgpr10_vgpr11
	s_and_saveexec_b32 s12, s10
	s_cbranch_execz .LBB94_33
; %bb.39:                               ;   in Loop: Header=BB94_34 Depth=2
	v_lshl_add_u32 v12, v4, 3, 0
	s_and_not1_b32 s9, s9, exec_lo
	ds_load_b64 v[10:11], v12
	s_wait_dscnt 0x0
	v_cmp_eq_u64_e32 vcc_lo, v[10:11], v[6:7]
	s_or_not1_b32 s11, vcc_lo, exec_lo
	s_branch .LBB94_33
.LBB94_40:                              ;   in Loop: Header=BB94_31 Depth=1
	s_or_b32 exec_lo, exec_lo, s7
	s_and_saveexec_b32 s7, s8
	s_delay_alu instid0(SALU_CYCLE_1)
	s_xor_b32 s7, exec_lo, s7
	s_cbranch_execz .LBB94_29
; %bb.41:                               ;   in Loop: Header=BB94_31 Depth=1
	v_mov_b32_e32 v4, v8
	s_branch .LBB94_29
.LBB94_42:
	s_or_b32 exec_lo, exec_lo, s4
.LBB94_43:
	v_mbcnt_lo_u32_b32 v1, -1, 0
	v_lshrrev_b32_e32 v2, 2, v0
	v_mov_b64_e32 v[6:7], 0
	v_mov_b32_e32 v3, 0
	v_cmp_lt_u32_e64 s0, 31, v0
	v_xor_b32_e32 v1, 31, v1
	v_and_b32_e32 v2, 0xf8, v2
	v_cmp_lt_u32_e64 s1, 63, v0
	v_cmp_lt_u32_e64 s2, 0x5f, v0
	;; [unrolled: 1-line block ×3, first 2 shown]
	v_lshrrev_b32_e64 v4, v1, -1
	v_add3_u32 v1, 0x30000, 0, v2
	v_cmp_lt_u32_e64 s4, 0x9f, v0
	v_cmp_lt_u32_e64 s5, 0xbf, v0
	;; [unrolled: 1-line block ×27, first 2 shown]
	s_mov_b32 s33, 0
	s_add_co_i32 s36, 0, 0x30000
	s_add_co_i32 s37, 0, 0x30008
	s_add_co_i32 s38, 0, 0x30010
	s_add_co_i32 s39, 0, 0x30018
	s_add_co_i32 s40, 0, 0x30020
	s_add_co_i32 s41, 0, 0x30028
	s_add_co_i32 s44, 0, 0x30030
	s_add_co_i32 s45, 0, 0x30038
	s_add_co_i32 s47, 0, 0x30040
	s_add_co_i32 s52, 0, 0x30048
	s_add_co_i32 s53, 0, 0x30050
	s_add_co_i32 s54, 0, 0x30058
	s_add_co_i32 s55, 0, 0x30060
	s_add_co_i32 s56, 0, 0x30068
	s_add_co_i32 s57, 0, 0x30070
	s_add_co_i32 s58, 0, 0x30078
	s_add_co_i32 s59, 0, 0x30080
	s_add_co_i32 s60, 0, 0x30088
	s_add_co_i32 s61, 0, 0x30090
	s_add_co_i32 s62, 0, 0x30098
	s_add_co_i32 s63, 0, 0x300a0
	s_add_co_i32 s64, 0, 0x300a8
	s_add_co_i32 s65, 0, 0x300b0
	s_add_co_i32 s66, 0, 0x300b8
	s_add_co_i32 s67, 0, 0x300c0
	s_add_co_i32 s68, 0, 0x300c8
	s_add_co_i32 s69, 0, 0x300d0
	s_add_co_i32 s70, 0, 0x300d8
	s_add_co_i32 s71, 0, 0x300e0
	s_add_co_i32 s72, 0, 0x300e8
	s_add_co_i32 s73, 0, 0x300f0
	s_add_co_i32 s74, 0, 0x300f8
	s_wait_dscnt 0x0
	s_barrier_signal -1
	s_barrier_wait -1
	v_cmp_eq_u32_e32 vcc_lo, 0x3ff, v0
	s_branch .LBB94_45
.LBB94_44:                              ;   in Loop: Header=BB94_45 Depth=1
	s_or_b32 exec_lo, exec_lo, s31
	v_dual_mov_b32 v2, s74 :: v_dual_add_nc_u32 v19, 0x1000, v19
	s_wait_dscnt 0x0
	s_barrier_signal -1
	s_barrier_wait -1
	ds_load_b64 v[8:9], v2
	v_add_nc_u32_e32 v20, 0x400, v20
	v_add_nc_u32_e32 v18, 0x2000, v18
	s_delay_alu instid0(VALU_DEP_2)
	v_cmp_lt_u32_e64 s31, 0x3bff, v20
	s_or_b32 s33, s31, s33
	s_wait_dscnt 0x0
	v_add_nc_u64_e32 v[6:7], v[8:9], v[6:7]
	s_and_not1_b32 exec_lo, exec_lo, s33
	s_cbranch_execz .LBB94_111
.LBB94_45:                              ; =>This Inner Loop Header: Depth=1
	ds_load_b64 v[8:9], v18
	ds_load_b32 v5, v19
	s_wait_dscnt 0x0
	s_barrier_signal -1
	s_barrier_wait -1
	v_cmp_gt_i64_e64 s31, s[48:49], v[8:9]
	s_bcnt1_i32_b32 s75, s31
	s_delay_alu instid0(SALU_CYCLE_1) | instskip(NEXT) | instid1(VALU_DEP_1)
	v_dual_mov_b32 v2, s75 :: v_dual_bitop2_b32 v10, s31, v4 bitop3:0x40
	v_bcnt_u32_b32 v10, v10, 0
	ds_store_b64 v1, v[2:3]
	s_wait_dscnt 0x0
	s_barrier_signal -1
	s_barrier_wait -1
	s_and_saveexec_b32 s75, s0
	s_cbranch_execnz .LBB94_78
; %bb.46:                               ;   in Loop: Header=BB94_45 Depth=1
	s_or_b32 exec_lo, exec_lo, s75
	s_and_saveexec_b32 s75, s1
	s_cbranch_execnz .LBB94_79
.LBB94_47:                              ;   in Loop: Header=BB94_45 Depth=1
	s_or_b32 exec_lo, exec_lo, s75
	s_and_saveexec_b32 s75, s2
	s_cbranch_execnz .LBB94_80
.LBB94_48:                              ;   in Loop: Header=BB94_45 Depth=1
	s_or_b32 exec_lo, exec_lo, s75
	s_and_saveexec_b32 s75, s3
	s_cbranch_execnz .LBB94_81
.LBB94_49:                              ;   in Loop: Header=BB94_45 Depth=1
	s_or_b32 exec_lo, exec_lo, s75
	s_and_saveexec_b32 s75, s4
	s_cbranch_execnz .LBB94_82
.LBB94_50:                              ;   in Loop: Header=BB94_45 Depth=1
	s_or_b32 exec_lo, exec_lo, s75
	s_and_saveexec_b32 s75, s5
	s_cbranch_execnz .LBB94_83
.LBB94_51:                              ;   in Loop: Header=BB94_45 Depth=1
	s_or_b32 exec_lo, exec_lo, s75
	s_and_saveexec_b32 s75, s6
	s_cbranch_execnz .LBB94_84
.LBB94_52:                              ;   in Loop: Header=BB94_45 Depth=1
	s_or_b32 exec_lo, exec_lo, s75
	s_and_saveexec_b32 s75, s7
	s_cbranch_execnz .LBB94_85
.LBB94_53:                              ;   in Loop: Header=BB94_45 Depth=1
	s_or_b32 exec_lo, exec_lo, s75
	s_and_saveexec_b32 s75, s8
	s_cbranch_execnz .LBB94_86
.LBB94_54:                              ;   in Loop: Header=BB94_45 Depth=1
	s_or_b32 exec_lo, exec_lo, s75
	s_and_saveexec_b32 s75, s9
	s_cbranch_execnz .LBB94_87
.LBB94_55:                              ;   in Loop: Header=BB94_45 Depth=1
	s_or_b32 exec_lo, exec_lo, s75
	s_and_saveexec_b32 s75, s10
	s_cbranch_execnz .LBB94_88
.LBB94_56:                              ;   in Loop: Header=BB94_45 Depth=1
	s_or_b32 exec_lo, exec_lo, s75
	s_and_saveexec_b32 s75, s11
	s_cbranch_execnz .LBB94_89
.LBB94_57:                              ;   in Loop: Header=BB94_45 Depth=1
	s_or_b32 exec_lo, exec_lo, s75
	s_and_saveexec_b32 s75, s12
	s_cbranch_execnz .LBB94_90
.LBB94_58:                              ;   in Loop: Header=BB94_45 Depth=1
	s_or_b32 exec_lo, exec_lo, s75
	s_and_saveexec_b32 s75, s13
	s_cbranch_execnz .LBB94_91
.LBB94_59:                              ;   in Loop: Header=BB94_45 Depth=1
	s_or_b32 exec_lo, exec_lo, s75
	s_and_saveexec_b32 s75, s14
	s_cbranch_execnz .LBB94_92
.LBB94_60:                              ;   in Loop: Header=BB94_45 Depth=1
	s_or_b32 exec_lo, exec_lo, s75
	s_and_saveexec_b32 s75, s15
	s_cbranch_execnz .LBB94_93
.LBB94_61:                              ;   in Loop: Header=BB94_45 Depth=1
	s_or_b32 exec_lo, exec_lo, s75
	s_and_saveexec_b32 s75, s16
	s_cbranch_execnz .LBB94_94
.LBB94_62:                              ;   in Loop: Header=BB94_45 Depth=1
	s_or_b32 exec_lo, exec_lo, s75
	s_and_saveexec_b32 s75, s17
	s_cbranch_execnz .LBB94_95
.LBB94_63:                              ;   in Loop: Header=BB94_45 Depth=1
	s_or_b32 exec_lo, exec_lo, s75
	s_and_saveexec_b32 s75, s18
	s_cbranch_execnz .LBB94_96
.LBB94_64:                              ;   in Loop: Header=BB94_45 Depth=1
	s_or_b32 exec_lo, exec_lo, s75
	s_and_saveexec_b32 s75, s19
	s_cbranch_execnz .LBB94_97
.LBB94_65:                              ;   in Loop: Header=BB94_45 Depth=1
	s_or_b32 exec_lo, exec_lo, s75
	s_and_saveexec_b32 s75, s20
	s_cbranch_execnz .LBB94_98
.LBB94_66:                              ;   in Loop: Header=BB94_45 Depth=1
	s_or_b32 exec_lo, exec_lo, s75
	s_and_saveexec_b32 s75, s21
	s_cbranch_execnz .LBB94_99
.LBB94_67:                              ;   in Loop: Header=BB94_45 Depth=1
	s_or_b32 exec_lo, exec_lo, s75
	s_and_saveexec_b32 s75, s22
	s_cbranch_execnz .LBB94_100
.LBB94_68:                              ;   in Loop: Header=BB94_45 Depth=1
	s_or_b32 exec_lo, exec_lo, s75
	s_and_saveexec_b32 s75, s23
	s_cbranch_execnz .LBB94_101
.LBB94_69:                              ;   in Loop: Header=BB94_45 Depth=1
	s_or_b32 exec_lo, exec_lo, s75
	s_and_saveexec_b32 s75, s24
	s_cbranch_execnz .LBB94_102
.LBB94_70:                              ;   in Loop: Header=BB94_45 Depth=1
	s_or_b32 exec_lo, exec_lo, s75
	s_and_saveexec_b32 s75, s25
	s_cbranch_execnz .LBB94_103
.LBB94_71:                              ;   in Loop: Header=BB94_45 Depth=1
	s_or_b32 exec_lo, exec_lo, s75
	s_and_saveexec_b32 s75, s26
	s_cbranch_execnz .LBB94_104
.LBB94_72:                              ;   in Loop: Header=BB94_45 Depth=1
	s_or_b32 exec_lo, exec_lo, s75
	s_and_saveexec_b32 s75, s27
	s_cbranch_execnz .LBB94_105
.LBB94_73:                              ;   in Loop: Header=BB94_45 Depth=1
	s_or_b32 exec_lo, exec_lo, s75
	s_and_saveexec_b32 s75, s28
	s_cbranch_execnz .LBB94_106
.LBB94_74:                              ;   in Loop: Header=BB94_45 Depth=1
	s_or_b32 exec_lo, exec_lo, s75
	s_and_saveexec_b32 s75, s29
	s_cbranch_execnz .LBB94_107
.LBB94_75:                              ;   in Loop: Header=BB94_45 Depth=1
	s_or_b32 exec_lo, exec_lo, s75
	s_and_saveexec_b32 s75, s30
	s_cbranch_execnz .LBB94_108
.LBB94_76:                              ;   in Loop: Header=BB94_45 Depth=1
	s_or_b32 exec_lo, exec_lo, s75
	v_ashrrev_i32_e32 v11, 31, v10
	s_and_saveexec_b32 s75, s31
	s_cbranch_execnz .LBB94_109
.LBB94_77:                              ;   in Loop: Header=BB94_45 Depth=1
	s_or_b32 exec_lo, exec_lo, s75
	s_and_saveexec_b32 s31, vcc_lo
	s_cbranch_execz .LBB94_44
	s_branch .LBB94_110
.LBB94_78:                              ;   in Loop: Header=BB94_45 Depth=1
	v_mov_b32_e32 v2, s36
	ds_load_b32 v2, v2
	s_wait_dscnt 0x0
	v_add_nc_u32_e32 v10, v2, v10
	s_or_b32 exec_lo, exec_lo, s75
	s_and_saveexec_b32 s75, s1
	s_cbranch_execz .LBB94_47
.LBB94_79:                              ;   in Loop: Header=BB94_45 Depth=1
	v_mov_b32_e32 v2, s37
	ds_load_b32 v2, v2
	s_wait_dscnt 0x0
	v_add_nc_u32_e32 v10, v10, v2
	s_or_b32 exec_lo, exec_lo, s75
	s_and_saveexec_b32 s75, s2
	s_cbranch_execz .LBB94_48
.LBB94_80:                              ;   in Loop: Header=BB94_45 Depth=1
	v_mov_b32_e32 v2, s38
	ds_load_b32 v2, v2
	s_wait_dscnt 0x0
	v_add_nc_u32_e32 v10, v10, v2
	s_or_b32 exec_lo, exec_lo, s75
	s_and_saveexec_b32 s75, s3
	s_cbranch_execz .LBB94_49
.LBB94_81:                              ;   in Loop: Header=BB94_45 Depth=1
	v_mov_b32_e32 v2, s39
	ds_load_b32 v2, v2
	s_wait_dscnt 0x0
	v_add_nc_u32_e32 v10, v10, v2
	s_or_b32 exec_lo, exec_lo, s75
	s_and_saveexec_b32 s75, s4
	s_cbranch_execz .LBB94_50
.LBB94_82:                              ;   in Loop: Header=BB94_45 Depth=1
	v_mov_b32_e32 v2, s40
	ds_load_b32 v2, v2
	s_wait_dscnt 0x0
	v_add_nc_u32_e32 v10, v10, v2
	s_or_b32 exec_lo, exec_lo, s75
	s_and_saveexec_b32 s75, s5
	s_cbranch_execz .LBB94_51
.LBB94_83:                              ;   in Loop: Header=BB94_45 Depth=1
	v_mov_b32_e32 v2, s41
	ds_load_b32 v2, v2
	s_wait_dscnt 0x0
	v_add_nc_u32_e32 v10, v10, v2
	s_or_b32 exec_lo, exec_lo, s75
	s_and_saveexec_b32 s75, s6
	s_cbranch_execz .LBB94_52
.LBB94_84:                              ;   in Loop: Header=BB94_45 Depth=1
	v_mov_b32_e32 v2, s44
	ds_load_b32 v2, v2
	s_wait_dscnt 0x0
	v_add_nc_u32_e32 v10, v10, v2
	s_or_b32 exec_lo, exec_lo, s75
	s_and_saveexec_b32 s75, s7
	s_cbranch_execz .LBB94_53
.LBB94_85:                              ;   in Loop: Header=BB94_45 Depth=1
	v_mov_b32_e32 v2, s45
	ds_load_b32 v2, v2
	s_wait_dscnt 0x0
	v_add_nc_u32_e32 v10, v10, v2
	s_or_b32 exec_lo, exec_lo, s75
	s_and_saveexec_b32 s75, s8
	s_cbranch_execz .LBB94_54
.LBB94_86:                              ;   in Loop: Header=BB94_45 Depth=1
	v_mov_b32_e32 v2, s47
	ds_load_b32 v2, v2
	s_wait_dscnt 0x0
	v_add_nc_u32_e32 v10, v10, v2
	s_or_b32 exec_lo, exec_lo, s75
	s_and_saveexec_b32 s75, s9
	s_cbranch_execz .LBB94_55
.LBB94_87:                              ;   in Loop: Header=BB94_45 Depth=1
	v_mov_b32_e32 v2, s52
	ds_load_b32 v2, v2
	s_wait_dscnt 0x0
	v_add_nc_u32_e32 v10, v10, v2
	s_or_b32 exec_lo, exec_lo, s75
	s_and_saveexec_b32 s75, s10
	s_cbranch_execz .LBB94_56
.LBB94_88:                              ;   in Loop: Header=BB94_45 Depth=1
	v_mov_b32_e32 v2, s53
	ds_load_b32 v2, v2
	s_wait_dscnt 0x0
	v_add_nc_u32_e32 v10, v10, v2
	s_or_b32 exec_lo, exec_lo, s75
	s_and_saveexec_b32 s75, s11
	s_cbranch_execz .LBB94_57
.LBB94_89:                              ;   in Loop: Header=BB94_45 Depth=1
	v_mov_b32_e32 v2, s54
	ds_load_b32 v2, v2
	s_wait_dscnt 0x0
	v_add_nc_u32_e32 v10, v10, v2
	s_or_b32 exec_lo, exec_lo, s75
	s_and_saveexec_b32 s75, s12
	s_cbranch_execz .LBB94_58
.LBB94_90:                              ;   in Loop: Header=BB94_45 Depth=1
	v_mov_b32_e32 v2, s55
	ds_load_b32 v2, v2
	s_wait_dscnt 0x0
	v_add_nc_u32_e32 v10, v10, v2
	s_or_b32 exec_lo, exec_lo, s75
	s_and_saveexec_b32 s75, s13
	s_cbranch_execz .LBB94_59
.LBB94_91:                              ;   in Loop: Header=BB94_45 Depth=1
	v_mov_b32_e32 v2, s56
	ds_load_b32 v2, v2
	s_wait_dscnt 0x0
	v_add_nc_u32_e32 v10, v10, v2
	s_or_b32 exec_lo, exec_lo, s75
	s_and_saveexec_b32 s75, s14
	s_cbranch_execz .LBB94_60
.LBB94_92:                              ;   in Loop: Header=BB94_45 Depth=1
	v_mov_b32_e32 v2, s57
	ds_load_b32 v2, v2
	s_wait_dscnt 0x0
	v_add_nc_u32_e32 v10, v10, v2
	s_or_b32 exec_lo, exec_lo, s75
	s_and_saveexec_b32 s75, s15
	s_cbranch_execz .LBB94_61
.LBB94_93:                              ;   in Loop: Header=BB94_45 Depth=1
	v_mov_b32_e32 v2, s58
	ds_load_b32 v2, v2
	s_wait_dscnt 0x0
	v_add_nc_u32_e32 v10, v10, v2
	s_or_b32 exec_lo, exec_lo, s75
	s_and_saveexec_b32 s75, s16
	s_cbranch_execz .LBB94_62
.LBB94_94:                              ;   in Loop: Header=BB94_45 Depth=1
	v_mov_b32_e32 v2, s59
	ds_load_b32 v2, v2
	s_wait_dscnt 0x0
	v_add_nc_u32_e32 v10, v10, v2
	s_or_b32 exec_lo, exec_lo, s75
	s_and_saveexec_b32 s75, s17
	s_cbranch_execz .LBB94_63
.LBB94_95:                              ;   in Loop: Header=BB94_45 Depth=1
	v_mov_b32_e32 v2, s60
	ds_load_b32 v2, v2
	s_wait_dscnt 0x0
	v_add_nc_u32_e32 v10, v10, v2
	s_or_b32 exec_lo, exec_lo, s75
	s_and_saveexec_b32 s75, s18
	s_cbranch_execz .LBB94_64
.LBB94_96:                              ;   in Loop: Header=BB94_45 Depth=1
	v_mov_b32_e32 v2, s61
	ds_load_b32 v2, v2
	s_wait_dscnt 0x0
	v_add_nc_u32_e32 v10, v10, v2
	s_or_b32 exec_lo, exec_lo, s75
	s_and_saveexec_b32 s75, s19
	s_cbranch_execz .LBB94_65
.LBB94_97:                              ;   in Loop: Header=BB94_45 Depth=1
	v_mov_b32_e32 v2, s62
	ds_load_b32 v2, v2
	s_wait_dscnt 0x0
	v_add_nc_u32_e32 v10, v10, v2
	s_or_b32 exec_lo, exec_lo, s75
	s_and_saveexec_b32 s75, s20
	s_cbranch_execz .LBB94_66
.LBB94_98:                              ;   in Loop: Header=BB94_45 Depth=1
	v_mov_b32_e32 v2, s63
	ds_load_b32 v2, v2
	s_wait_dscnt 0x0
	v_add_nc_u32_e32 v10, v10, v2
	s_or_b32 exec_lo, exec_lo, s75
	s_and_saveexec_b32 s75, s21
	s_cbranch_execz .LBB94_67
.LBB94_99:                              ;   in Loop: Header=BB94_45 Depth=1
	v_mov_b32_e32 v2, s64
	ds_load_b32 v2, v2
	s_wait_dscnt 0x0
	v_add_nc_u32_e32 v10, v10, v2
	s_or_b32 exec_lo, exec_lo, s75
	s_and_saveexec_b32 s75, s22
	s_cbranch_execz .LBB94_68
.LBB94_100:                             ;   in Loop: Header=BB94_45 Depth=1
	v_mov_b32_e32 v2, s65
	ds_load_b32 v2, v2
	s_wait_dscnt 0x0
	v_add_nc_u32_e32 v10, v10, v2
	s_or_b32 exec_lo, exec_lo, s75
	s_and_saveexec_b32 s75, s23
	s_cbranch_execz .LBB94_69
.LBB94_101:                             ;   in Loop: Header=BB94_45 Depth=1
	v_mov_b32_e32 v2, s66
	ds_load_b32 v2, v2
	s_wait_dscnt 0x0
	v_add_nc_u32_e32 v10, v10, v2
	s_or_b32 exec_lo, exec_lo, s75
	s_and_saveexec_b32 s75, s24
	s_cbranch_execz .LBB94_70
.LBB94_102:                             ;   in Loop: Header=BB94_45 Depth=1
	v_mov_b32_e32 v2, s67
	ds_load_b32 v2, v2
	s_wait_dscnt 0x0
	v_add_nc_u32_e32 v10, v10, v2
	s_or_b32 exec_lo, exec_lo, s75
	s_and_saveexec_b32 s75, s25
	s_cbranch_execz .LBB94_71
.LBB94_103:                             ;   in Loop: Header=BB94_45 Depth=1
	v_mov_b32_e32 v2, s68
	ds_load_b32 v2, v2
	s_wait_dscnt 0x0
	v_add_nc_u32_e32 v10, v10, v2
	s_or_b32 exec_lo, exec_lo, s75
	s_and_saveexec_b32 s75, s26
	s_cbranch_execz .LBB94_72
.LBB94_104:                             ;   in Loop: Header=BB94_45 Depth=1
	v_mov_b32_e32 v2, s69
	ds_load_b32 v2, v2
	s_wait_dscnt 0x0
	v_add_nc_u32_e32 v10, v10, v2
	s_or_b32 exec_lo, exec_lo, s75
	s_and_saveexec_b32 s75, s27
	s_cbranch_execz .LBB94_73
.LBB94_105:                             ;   in Loop: Header=BB94_45 Depth=1
	v_mov_b32_e32 v2, s70
	ds_load_b32 v2, v2
	s_wait_dscnt 0x0
	v_add_nc_u32_e32 v10, v10, v2
	s_or_b32 exec_lo, exec_lo, s75
	s_and_saveexec_b32 s75, s28
	s_cbranch_execz .LBB94_74
.LBB94_106:                             ;   in Loop: Header=BB94_45 Depth=1
	v_mov_b32_e32 v2, s71
	ds_load_b32 v2, v2
	s_wait_dscnt 0x0
	v_add_nc_u32_e32 v10, v10, v2
	s_or_b32 exec_lo, exec_lo, s75
	s_and_saveexec_b32 s75, s29
	s_cbranch_execz .LBB94_75
.LBB94_107:                             ;   in Loop: Header=BB94_45 Depth=1
	v_mov_b32_e32 v2, s72
	ds_load_b32 v2, v2
	s_wait_dscnt 0x0
	v_add_nc_u32_e32 v10, v10, v2
	s_or_b32 exec_lo, exec_lo, s75
	s_and_saveexec_b32 s75, s30
	s_cbranch_execz .LBB94_76
.LBB94_108:                             ;   in Loop: Header=BB94_45 Depth=1
	v_mov_b32_e32 v2, s73
	ds_load_b32 v2, v2
	s_wait_dscnt 0x0
	v_add_nc_u32_e32 v10, v10, v2
	s_or_b32 exec_lo, exec_lo, s75
	s_delay_alu instid0(VALU_DEP_1)
	v_ashrrev_i32_e32 v11, 31, v10
	s_and_saveexec_b32 s75, s31
	s_cbranch_execz .LBB94_77
.LBB94_109:                             ;   in Loop: Header=BB94_45 Depth=1
	v_add3_u32 v2, v6, -1, v10
	s_delay_alu instid0(VALU_DEP_1) | instskip(SKIP_1) | instid1(VALU_DEP_2)
	v_lshlrev_b32_e32 v12, 2, v2
	v_lshl_add_u32 v2, v2, 3, 0
	v_add3_u32 v12, 0, v12, 0x20000
	ds_store_b64 v2, v[8:9]
	ds_store_b32 v12, v5
	s_or_b32 exec_lo, exec_lo, s75
	s_and_saveexec_b32 s31, vcc_lo
	s_cbranch_execz .LBB94_44
.LBB94_110:                             ;   in Loop: Header=BB94_45 Depth=1
	v_mov_b32_e32 v2, s74
	ds_store_b64 v2, v[10:11]
	s_branch .LBB94_44
.LBB94_111:
	s_or_b32 exec_lo, exec_lo, s33
	s_wait_kmcnt 0x0
	s_lshl_b64 s[0:1], s[50:51], 3
	v_mov_b32_e32 v1, 0
	s_add_nc_u64 s[4:5], s[42:43], s[0:1]
	s_mov_b32 s6, exec_lo
	s_load_b128 s[0:3], s[4:5], 0x0
	s_wait_kmcnt 0x0
	s_sub_nc_u64 s[4:5], s[2:3], s[0:1]
	s_delay_alu instid0(SALU_CYCLE_1)
	v_cmpx_gt_i64_e64 s[4:5], v[0:1]
	s_cbranch_execz .LBB94_121
; %bb.112:
	s_sub_nc_u64 s[8:9], s[0:1], s[2:3]
	s_and_b64 s[6:7], s[4:5], 7
	v_cmp_lt_u64_e64 s10, s[8:9], -7
	s_and_b64 s[2:3], s[4:5], -8
	s_mov_b32 s47, 0
	s_cmp_lg_u64 s[6:7], 0
	s_sub_nc_u64 s[0:1], s[0:1], s[46:47]
	s_cselect_b32 s11, -1, 0
	s_mov_b32 s12, 0
	s_branch .LBB94_114
.LBB94_113:                             ;   in Loop: Header=BB94_114 Depth=1
	v_add_nc_u64_e32 v[0:1], 0x400, v[0:1]
	s_wait_dscnt 0x1
	s_delay_alu instid0(VALU_DEP_2)
	v_lshl_add_u64 v[2:3], v[4:5], 2, s[34:35]
	s_wait_dscnt 0x0
	global_store_b32 v[2:3], v6, off
	v_cmp_le_i64_e32 vcc_lo, s[4:5], v[0:1]
	s_or_b32 s12, vcc_lo, s12
	s_wait_xcnt 0x0
	s_and_not1_b32 exec_lo, exec_lo, s12
	s_cbranch_execz .LBB94_121
.LBB94_114:                             ; =>This Loop Header: Depth=1
                                        ;     Child Loop BB94_116 Depth 2
                                        ;     Child Loop BB94_120 Depth 2
	v_lshlrev_b32_e32 v2, 2, v0
	v_lshl_add_u32 v3, v0, 3, 0
	s_and_not1_b32 vcc_lo, exec_lo, s10
	s_mov_b64 s[8:9], 0
	s_delay_alu instid0(VALU_DEP_2)
	v_add3_u32 v4, 0, v2, 0x20000
	ds_load_b64 v[2:3], v3
	ds_load_b32 v6, v4
	v_mov_b64_e32 v[4:5], s[0:1]
	s_cbranch_vccnz .LBB94_118
; %bb.115:                              ;   in Loop: Header=BB94_114 Depth=1
	v_mov_b64_e32 v[4:5], s[0:1]
	s_mov_b32 s13, 0
.LBB94_116:                             ;   Parent Loop BB94_114 Depth=1
                                        ; =>  This Inner Loop Header: Depth=2
	s_delay_alu instid0(SALU_CYCLE_1)
	v_dual_mov_b32 v7, s13 :: v_dual_mov_b32 v17, s47
	s_add_nc_u64 s[8:9], s[8:9], 8
	s_add_co_i32 s13, s13, 64
	s_cmp_eq_u64 s[2:3], s[8:9]
	ds_load_2addr_b64 v[8:11], v7 offset1:1
	ds_load_2addr_b64 v[12:15], v7 offset0:2 offset1:3
	s_wait_dscnt 0x1
	v_cmp_gt_i64_e32 vcc_lo, v[2:3], v[8:9]
	v_cndmask_b32_e64 v16, 0, 1, vcc_lo
	v_cmp_gt_i64_e32 vcc_lo, v[2:3], v[10:11]
	ds_load_2addr_b64 v[8:11], v7 offset0:4 offset1:5
	v_add_nc_u64_e32 v[4:5], v[4:5], v[16:17]
	v_cndmask_b32_e64 v18, 0, 1, vcc_lo
	s_wait_dscnt 0x1
	v_cmp_gt_i64_e32 vcc_lo, v[2:3], v[12:13]
	v_cndmask_b32_e64 v16, 0, 1, vcc_lo
	v_cmp_gt_i64_e32 vcc_lo, v[2:3], v[14:15]
	ds_load_2addr_b64 v[12:15], v7 offset0:6 offset1:7
	v_mov_b32_e32 v19, s47
	s_delay_alu instid0(VALU_DEP_1) | instskip(SKIP_4) | instid1(VALU_DEP_4)
	v_add_nc_u64_e32 v[4:5], v[4:5], v[18:19]
	v_cndmask_b32_e64 v18, 0, 1, vcc_lo
	s_wait_dscnt 0x1
	v_cmp_gt_i64_e32 vcc_lo, v[2:3], v[8:9]
	v_mov_b32_e32 v9, s47
	v_add_nc_u64_e32 v[4:5], v[4:5], v[16:17]
	v_cndmask_b32_e64 v16, 0, 1, vcc_lo
	v_cmp_gt_i64_e32 vcc_lo, v[2:3], v[10:11]
	v_mov_b32_e32 v11, s47
	s_delay_alu instid0(VALU_DEP_4) | instskip(SKIP_3) | instid1(VALU_DEP_3)
	v_add_nc_u64_e32 v[4:5], v[4:5], v[18:19]
	v_cndmask_b32_e64 v8, 0, 1, vcc_lo
	s_wait_dscnt 0x0
	v_cmp_gt_i64_e32 vcc_lo, v[2:3], v[12:13]
	v_add_nc_u64_e32 v[4:5], v[4:5], v[16:17]
	v_cndmask_b32_e64 v10, 0, 1, vcc_lo
	v_cmp_gt_i64_e32 vcc_lo, v[2:3], v[14:15]
	s_delay_alu instid0(VALU_DEP_3) | instskip(SKIP_1) | instid1(VALU_DEP_2)
	v_add_nc_u64_e32 v[4:5], v[4:5], v[8:9]
	v_cndmask_b32_e64 v8, 0, 1, vcc_lo
	v_add_nc_u64_e32 v[4:5], v[4:5], v[10:11]
	s_delay_alu instid0(VALU_DEP_1)
	v_add_nc_u64_e32 v[4:5], v[4:5], v[8:9]
	s_cbranch_scc0 .LBB94_116
; %bb.117:                              ;   in Loop: Header=BB94_114 Depth=1
	s_mov_b64 s[8:9], s[2:3]
.LBB94_118:                             ;   in Loop: Header=BB94_114 Depth=1
	s_and_not1_b32 vcc_lo, exec_lo, s11
	s_cbranch_vccnz .LBB94_113
; %bb.119:                              ;   in Loop: Header=BB94_114 Depth=1
	s_lshl_b32 s8, s8, 3
	s_delay_alu instid0(SALU_CYCLE_1)
	s_add_co_i32 s13, s8, 0
	s_mov_b64 s[8:9], s[6:7]
.LBB94_120:                             ;   Parent Loop BB94_114 Depth=1
                                        ; =>  This Inner Loop Header: Depth=2
	v_dual_mov_b32 v7, s13 :: v_dual_mov_b32 v11, s47
	s_add_nc_u64 s[8:9], s[8:9], -1
	s_add_co_i32 s13, s13, 8
	s_cmp_lg_u64 s[8:9], 0
	ds_load_b64 v[8:9], v7
	s_wait_dscnt 0x0
	v_cmp_gt_i64_e32 vcc_lo, v[2:3], v[8:9]
	v_cndmask_b32_e64 v10, 0, 1, vcc_lo
	s_delay_alu instid0(VALU_DEP_1)
	v_add_nc_u64_e32 v[4:5], v[4:5], v[10:11]
	s_cbranch_scc1 .LBB94_120
	s_branch .LBB94_113
.LBB94_121:
	s_endpgm
	.section	.rodata,"a",@progbits
	.p2align	6, 0x0
	.amdhsa_kernel _ZN9rocsparseL41csrgemm_numeric_fill_block_per_row_kernelILj1024ELj64ELj16384ELj137ELj32EllfEEvT5_PKS1_S3_NS_24const_host_device_scalarIT6_EEPKT4_S3_PKS5_S9_S3_SB_S6_S9_S3_SB_S9_S3_PS5_21rocsparse_index_base_SD_SD_SD_bbb
		.amdhsa_group_segment_fixed_size 0
		.amdhsa_private_segment_fixed_size 0
		.amdhsa_kernarg_size 156
		.amdhsa_user_sgpr_count 2
		.amdhsa_user_sgpr_dispatch_ptr 0
		.amdhsa_user_sgpr_queue_ptr 0
		.amdhsa_user_sgpr_kernarg_segment_ptr 1
		.amdhsa_user_sgpr_dispatch_id 0
		.amdhsa_user_sgpr_kernarg_preload_length 0
		.amdhsa_user_sgpr_kernarg_preload_offset 0
		.amdhsa_user_sgpr_private_segment_size 0
		.amdhsa_wavefront_size32 1
		.amdhsa_uses_dynamic_stack 0
		.amdhsa_enable_private_segment 0
		.amdhsa_system_sgpr_workgroup_id_x 1
		.amdhsa_system_sgpr_workgroup_id_y 0
		.amdhsa_system_sgpr_workgroup_id_z 0
		.amdhsa_system_sgpr_workgroup_info 0
		.amdhsa_system_vgpr_workitem_id 0
		.amdhsa_next_free_vgpr 23
		.amdhsa_next_free_sgpr 76
		.amdhsa_named_barrier_count 0
		.amdhsa_reserve_vcc 1
		.amdhsa_float_round_mode_32 0
		.amdhsa_float_round_mode_16_64 0
		.amdhsa_float_denorm_mode_32 3
		.amdhsa_float_denorm_mode_16_64 3
		.amdhsa_fp16_overflow 0
		.amdhsa_memory_ordered 1
		.amdhsa_forward_progress 1
		.amdhsa_inst_pref_size 36
		.amdhsa_round_robin_scheduling 0
		.amdhsa_exception_fp_ieee_invalid_op 0
		.amdhsa_exception_fp_denorm_src 0
		.amdhsa_exception_fp_ieee_div_zero 0
		.amdhsa_exception_fp_ieee_overflow 0
		.amdhsa_exception_fp_ieee_underflow 0
		.amdhsa_exception_fp_ieee_inexact 0
		.amdhsa_exception_int_div_zero 0
	.end_amdhsa_kernel
	.section	.text._ZN9rocsparseL41csrgemm_numeric_fill_block_per_row_kernelILj1024ELj64ELj16384ELj137ELj32EllfEEvT5_PKS1_S3_NS_24const_host_device_scalarIT6_EEPKT4_S3_PKS5_S9_S3_SB_S6_S9_S3_SB_S9_S3_PS5_21rocsparse_index_base_SD_SD_SD_bbb,"axG",@progbits,_ZN9rocsparseL41csrgemm_numeric_fill_block_per_row_kernelILj1024ELj64ELj16384ELj137ELj32EllfEEvT5_PKS1_S3_NS_24const_host_device_scalarIT6_EEPKT4_S3_PKS5_S9_S3_SB_S6_S9_S3_SB_S9_S3_PS5_21rocsparse_index_base_SD_SD_SD_bbb,comdat
.Lfunc_end94:
	.size	_ZN9rocsparseL41csrgemm_numeric_fill_block_per_row_kernelILj1024ELj64ELj16384ELj137ELj32EllfEEvT5_PKS1_S3_NS_24const_host_device_scalarIT6_EEPKT4_S3_PKS5_S9_S3_SB_S6_S9_S3_SB_S9_S3_PS5_21rocsparse_index_base_SD_SD_SD_bbb, .Lfunc_end94-_ZN9rocsparseL41csrgemm_numeric_fill_block_per_row_kernelILj1024ELj64ELj16384ELj137ELj32EllfEEvT5_PKS1_S3_NS_24const_host_device_scalarIT6_EEPKT4_S3_PKS5_S9_S3_SB_S6_S9_S3_SB_S9_S3_PS5_21rocsparse_index_base_SD_SD_SD_bbb
                                        ; -- End function
	.set _ZN9rocsparseL41csrgemm_numeric_fill_block_per_row_kernelILj1024ELj64ELj16384ELj137ELj32EllfEEvT5_PKS1_S3_NS_24const_host_device_scalarIT6_EEPKT4_S3_PKS5_S9_S3_SB_S6_S9_S3_SB_S9_S3_PS5_21rocsparse_index_base_SD_SD_SD_bbb.num_vgpr, 23
	.set _ZN9rocsparseL41csrgemm_numeric_fill_block_per_row_kernelILj1024ELj64ELj16384ELj137ELj32EllfEEvT5_PKS1_S3_NS_24const_host_device_scalarIT6_EEPKT4_S3_PKS5_S9_S3_SB_S6_S9_S3_SB_S9_S3_PS5_21rocsparse_index_base_SD_SD_SD_bbb.num_agpr, 0
	.set _ZN9rocsparseL41csrgemm_numeric_fill_block_per_row_kernelILj1024ELj64ELj16384ELj137ELj32EllfEEvT5_PKS1_S3_NS_24const_host_device_scalarIT6_EEPKT4_S3_PKS5_S9_S3_SB_S6_S9_S3_SB_S9_S3_PS5_21rocsparse_index_base_SD_SD_SD_bbb.numbered_sgpr, 76
	.set _ZN9rocsparseL41csrgemm_numeric_fill_block_per_row_kernelILj1024ELj64ELj16384ELj137ELj32EllfEEvT5_PKS1_S3_NS_24const_host_device_scalarIT6_EEPKT4_S3_PKS5_S9_S3_SB_S6_S9_S3_SB_S9_S3_PS5_21rocsparse_index_base_SD_SD_SD_bbb.num_named_barrier, 0
	.set _ZN9rocsparseL41csrgemm_numeric_fill_block_per_row_kernelILj1024ELj64ELj16384ELj137ELj32EllfEEvT5_PKS1_S3_NS_24const_host_device_scalarIT6_EEPKT4_S3_PKS5_S9_S3_SB_S6_S9_S3_SB_S9_S3_PS5_21rocsparse_index_base_SD_SD_SD_bbb.private_seg_size, 0
	.set _ZN9rocsparseL41csrgemm_numeric_fill_block_per_row_kernelILj1024ELj64ELj16384ELj137ELj32EllfEEvT5_PKS1_S3_NS_24const_host_device_scalarIT6_EEPKT4_S3_PKS5_S9_S3_SB_S6_S9_S3_SB_S9_S3_PS5_21rocsparse_index_base_SD_SD_SD_bbb.uses_vcc, 1
	.set _ZN9rocsparseL41csrgemm_numeric_fill_block_per_row_kernelILj1024ELj64ELj16384ELj137ELj32EllfEEvT5_PKS1_S3_NS_24const_host_device_scalarIT6_EEPKT4_S3_PKS5_S9_S3_SB_S6_S9_S3_SB_S9_S3_PS5_21rocsparse_index_base_SD_SD_SD_bbb.uses_flat_scratch, 0
	.set _ZN9rocsparseL41csrgemm_numeric_fill_block_per_row_kernelILj1024ELj64ELj16384ELj137ELj32EllfEEvT5_PKS1_S3_NS_24const_host_device_scalarIT6_EEPKT4_S3_PKS5_S9_S3_SB_S6_S9_S3_SB_S9_S3_PS5_21rocsparse_index_base_SD_SD_SD_bbb.has_dyn_sized_stack, 0
	.set _ZN9rocsparseL41csrgemm_numeric_fill_block_per_row_kernelILj1024ELj64ELj16384ELj137ELj32EllfEEvT5_PKS1_S3_NS_24const_host_device_scalarIT6_EEPKT4_S3_PKS5_S9_S3_SB_S6_S9_S3_SB_S9_S3_PS5_21rocsparse_index_base_SD_SD_SD_bbb.has_recursion, 0
	.set _ZN9rocsparseL41csrgemm_numeric_fill_block_per_row_kernelILj1024ELj64ELj16384ELj137ELj32EllfEEvT5_PKS1_S3_NS_24const_host_device_scalarIT6_EEPKT4_S3_PKS5_S9_S3_SB_S6_S9_S3_SB_S9_S3_PS5_21rocsparse_index_base_SD_SD_SD_bbb.has_indirect_call, 0
	.section	.AMDGPU.csdata,"",@progbits
; Kernel info:
; codeLenInByte = 4580
; TotalNumSgprs: 78
; NumVgprs: 23
; ScratchSize: 0
; MemoryBound: 0
; FloatMode: 240
; IeeeMode: 1
; LDSByteSize: 0 bytes/workgroup (compile time only)
; SGPRBlocks: 0
; VGPRBlocks: 1
; NumSGPRsForWavesPerEU: 78
; NumVGPRsForWavesPerEU: 23
; NamedBarCnt: 0
; Occupancy: 16
; WaveLimiterHint : 1
; COMPUTE_PGM_RSRC2:SCRATCH_EN: 0
; COMPUTE_PGM_RSRC2:USER_SGPR: 2
; COMPUTE_PGM_RSRC2:TRAP_HANDLER: 0
; COMPUTE_PGM_RSRC2:TGID_X_EN: 1
; COMPUTE_PGM_RSRC2:TGID_Y_EN: 0
; COMPUTE_PGM_RSRC2:TGID_Z_EN: 0
; COMPUTE_PGM_RSRC2:TIDIG_COMP_CNT: 0
	.section	.text._ZN9rocsparseL41csrgemm_numeric_fill_block_per_row_kernelILj1024ELj64ELj16384ELj137ELj64EllfEEvT5_PKS1_S3_NS_24const_host_device_scalarIT6_EEPKT4_S3_PKS5_S9_S3_SB_S6_S9_S3_SB_S9_S3_PS5_21rocsparse_index_base_SD_SD_SD_bbb,"axG",@progbits,_ZN9rocsparseL41csrgemm_numeric_fill_block_per_row_kernelILj1024ELj64ELj16384ELj137ELj64EllfEEvT5_PKS1_S3_NS_24const_host_device_scalarIT6_EEPKT4_S3_PKS5_S9_S3_SB_S6_S9_S3_SB_S9_S3_PS5_21rocsparse_index_base_SD_SD_SD_bbb,comdat
	.globl	_ZN9rocsparseL41csrgemm_numeric_fill_block_per_row_kernelILj1024ELj64ELj16384ELj137ELj64EllfEEvT5_PKS1_S3_NS_24const_host_device_scalarIT6_EEPKT4_S3_PKS5_S9_S3_SB_S6_S9_S3_SB_S9_S3_PS5_21rocsparse_index_base_SD_SD_SD_bbb ; -- Begin function _ZN9rocsparseL41csrgemm_numeric_fill_block_per_row_kernelILj1024ELj64ELj16384ELj137ELj64EllfEEvT5_PKS1_S3_NS_24const_host_device_scalarIT6_EEPKT4_S3_PKS5_S9_S3_SB_S6_S9_S3_SB_S9_S3_PS5_21rocsparse_index_base_SD_SD_SD_bbb
	.p2align	8
	.type	_ZN9rocsparseL41csrgemm_numeric_fill_block_per_row_kernelILj1024ELj64ELj16384ELj137ELj64EllfEEvT5_PKS1_S3_NS_24const_host_device_scalarIT6_EEPKT4_S3_PKS5_S9_S3_SB_S6_S9_S3_SB_S9_S3_PS5_21rocsparse_index_base_SD_SD_SD_bbb,@function
_ZN9rocsparseL41csrgemm_numeric_fill_block_per_row_kernelILj1024ELj64ELj16384ELj137ELj64EllfEEvT5_PKS1_S3_NS_24const_host_device_scalarIT6_EEPKT4_S3_PKS5_S9_S3_SB_S6_S9_S3_SB_S9_S3_PS5_21rocsparse_index_base_SD_SD_SD_bbb: ; @_ZN9rocsparseL41csrgemm_numeric_fill_block_per_row_kernelILj1024ELj64ELj16384ELj137ELj64EllfEEvT5_PKS1_S3_NS_24const_host_device_scalarIT6_EEPKT4_S3_PKS5_S9_S3_SB_S6_S9_S3_SB_S9_S3_PS5_21rocsparse_index_base_SD_SD_SD_bbb
; %bb.0:
	s_clause 0x3
	s_load_b32 s6, s[0:1], 0x98
	s_load_b64 s[2:3], s[0:1], 0x18
	s_load_b128 s[20:23], s[0:1], 0x88
	s_load_b64 s[4:5], s[0:1], 0x50
	s_wait_kmcnt 0x0
	s_and_b32 s8, 1, s6
	s_bitcmp1_b32 s6, 16
	s_cselect_b32 s7, -1, 0
	s_cmp_eq_u32 s8, 1
	s_cselect_b32 s38, -1, 0
	s_delay_alu instid0(SALU_CYCLE_1) | instskip(SKIP_2) | instid1(SALU_CYCLE_1)
	s_and_b32 s8, s38, exec_lo
	s_cselect_b32 s36, s2, 0
	s_xor_b32 s8, s38, -1
	s_or_b32 s8, s7, s8
	s_delay_alu instid0(SALU_CYCLE_1)
	s_and_b32 vcc_lo, exec_lo, s8
	s_cbranch_vccnz .LBB95_2
; %bb.1:
	s_load_b32 s36, s[2:3], 0x0
.LBB95_2:
	s_wait_xcnt 0x0
	s_load_b64 s[2:3], s[0:1], 0x8
	s_bitcmp1_b32 s6, 8
	s_cselect_b32 s37, -1, 0
	s_delay_alu instid0(SALU_CYCLE_1) | instskip(SKIP_2) | instid1(SALU_CYCLE_1)
	s_and_b32 s6, s37, exec_lo
	s_cselect_b32 s33, s4, 0
	s_xor_b32 s6, s37, -1
	s_or_b32 s6, s7, s6
	s_delay_alu instid0(SALU_CYCLE_1)
	s_and_b32 vcc_lo, exec_lo, s6
	s_cbranch_vccnz .LBB95_4
; %bb.3:
	s_load_b32 s33, s[4:5], 0x0
.LBB95_4:
	s_clause 0x4
	s_load_b64 s[30:31], s[0:1], 0x0
	s_load_b64 s[34:35], s[0:1], 0x10
	;; [unrolled: 1-line block ×3, first 2 shown]
	s_load_b256 s[12:19], s[0:1], 0x58
	s_load_b128 s[24:27], s[0:1], 0x40
	s_wait_xcnt 0x0
	s_load_b256 s[4:11], s[0:1], 0x20
	v_lshl_add_u32 v20, v0, 3, 0
	v_lshlrev_b32_e32 v1, 2, v0
	v_or_b32_e32 v22, 0xfffffc00, v0
	s_wait_xcnt 0x0
	s_mov_b32 s0, 0
	v_mov_b32_e32 v4, v20
	v_add3_u32 v21, v1, 0, 0x20000
	v_dual_mov_b32 v1, 0 :: v_dual_mov_b32 v6, v22
	s_delay_alu instid0(VALU_DEP_2)
	v_mov_b32_e32 v5, v21
	s_wait_kmcnt 0x0
	v_mov_b64_e32 v[2:3], s[30:31]
.LBB95_5:                               ; =>This Inner Loop Header: Depth=1
	s_delay_alu instid0(VALU_DEP_3)
	v_add_nc_u32_e32 v6, 0x400, v6
	ds_store_b64 v4, v[2:3]
	ds_store_b32 v5, v1
	v_add_nc_u32_e32 v5, 0x1000, v5
	v_add_nc_u32_e32 v4, 0x2000, v4
	v_cmp_lt_u32_e32 vcc_lo, 0x3bff, v6
	s_or_b32 s0, vcc_lo, s0
	s_delay_alu instid0(SALU_CYCLE_1)
	s_and_not1_b32 exec_lo, exec_lo, s0
	s_cbranch_execnz .LBB95_5
; %bb.6:
	s_or_b32 exec_lo, exec_lo, s0
	s_wait_dscnt 0x0
	s_barrier_signal -1
	s_barrier_wait -1
	s_load_b64 s[0:1], s[2:3], 0x0
	s_wait_xcnt 0x0
	s_bfe_u32 s2, ttmp6, 0x4000c
	s_and_b32 s3, ttmp6, 15
	s_add_co_i32 s2, s2, 1
	s_getreg_b32 s39, hwreg(HW_REG_IB_STS2, 6, 4)
	s_mul_i32 s2, ttmp9, s2
	v_lshrrev_b32_e32 v2, 6, v0
	s_add_co_i32 s3, s3, s2
	s_wait_kmcnt 0x0
	s_lshl_b64 s[0:1], s[0:1], 3
	s_cmp_eq_u32 s39, 0
	s_add_nc_u64 s[0:1], s[34:35], s[0:1]
	s_cselect_b32 s2, ttmp9, s3
	s_and_b32 vcc_lo, exec_lo, s38
	s_load_b64 s[34:35], s[0:1], s2 offset:0x0 scale_offset
	s_wait_xcnt 0x0
	s_mov_b32 s1, 0
	s_cbranch_vccz .LBB95_26
; %bb.7:
	s_wait_kmcnt 0x0
	s_lshl_b64 s[2:3], s[34:35], 3
	v_mov_b32_e32 v3, 0
	s_add_nc_u64 s[2:3], s[4:5], s[2:3]
	s_mov_b32 s0, s20
	s_load_b128 s[40:43], s[2:3], 0x0
	s_mov_b32 s20, exec_lo
	v_sub_nc_u64_e64 v[4:5], v[2:3], s[0:1]
	s_wait_kmcnt 0x0
	s_delay_alu instid0(VALU_DEP_1)
	v_add_nc_u64_e32 v[4:5], s[40:41], v[4:5]
	s_sub_nc_u64 s[2:3], s[42:43], s[0:1]
	s_delay_alu instid0(VALU_DEP_1) | instid1(SALU_CYCLE_1)
	v_cmpx_gt_i64_e64 s[2:3], v[4:5]
	s_cbranch_execz .LBB95_25
; %bb.8:
	v_dual_mov_b32 v7, v3 :: v_dual_bitop2_b32 v6, 63, v0 bitop3:0x40
	s_mov_b32 s5, 0
	s_mov_b32 s4, s21
	;; [unrolled: 1-line block ×3, first 2 shown]
	s_delay_alu instid0(VALU_DEP_1)
	v_sub_nc_u64_e64 v[6:7], v[6:7], s[4:5]
	s_branch .LBB95_10
.LBB95_9:                               ;   in Loop: Header=BB95_10 Depth=1
	s_or_b32 exec_lo, exec_lo, s38
	v_add_nc_u64_e32 v[4:5], 16, v[4:5]
	s_delay_alu instid0(VALU_DEP_1) | instskip(SKIP_1) | instid1(SALU_CYCLE_1)
	v_cmp_le_i64_e32 vcc_lo, s[2:3], v[4:5]
	s_or_b32 s21, vcc_lo, s21
	s_and_not1_b32 exec_lo, exec_lo, s21
	s_cbranch_execz .LBB95_25
.LBB95_10:                              ; =>This Loop Header: Depth=1
                                        ;     Child Loop BB95_14 Depth 2
                                        ;       Child Loop BB95_17 Depth 3
	v_lshl_add_u64 v[8:9], v[4:5], 3, s[6:7]
	s_mov_b32 s38, exec_lo
	global_load_b64 v[8:9], v[8:9], off
	s_wait_loadcnt 0x0
	s_wait_xcnt 0x0
	v_sub_nc_u64_e64 v[8:9], v[8:9], s[0:1]
	s_delay_alu instid0(VALU_DEP_1)
	v_lshl_add_u64 v[8:9], v[8:9], 3, s[10:11]
	global_load_b128 v[10:13], v[8:9], off
	s_wait_loadcnt 0x0
	s_wait_xcnt 0x0
	v_sub_nc_u64_e64 v[8:9], v[12:13], s[4:5]
	v_add_nc_u64_e32 v[10:11], v[10:11], v[6:7]
	s_delay_alu instid0(VALU_DEP_1)
	v_cmpx_lt_i64_e64 v[10:11], v[8:9]
	s_cbranch_execz .LBB95_9
; %bb.11:                               ;   in Loop: Header=BB95_10 Depth=1
	v_lshl_add_u64 v[12:13], v[4:5], 2, s[8:9]
	s_mov_b32 s39, 0
	global_load_b32 v1, v[12:13], off
	s_wait_loadcnt 0x0
	v_mul_f32_e32 v1, s36, v1
	s_branch .LBB95_14
.LBB95_12:                              ;   in Loop: Header=BB95_14 Depth=2
	s_or_b32 exec_lo, exec_lo, s41
.LBB95_13:                              ;   in Loop: Header=BB95_14 Depth=2
	s_delay_alu instid0(SALU_CYCLE_1) | instskip(SKIP_3) | instid1(VALU_DEP_2)
	s_or_b32 exec_lo, exec_lo, s40
	s_wait_loadcnt 0x0
	v_dual_mul_f32 v3, v1, v3 :: v_dual_lshlrev_b32 v12, 2, v12
	v_add_nc_u64_e32 v[10:11], 64, v[10:11]
	v_add3_u32 v12, 0, v12, 0x20000
	s_delay_alu instid0(VALU_DEP_2) | instskip(SKIP_2) | instid1(SALU_CYCLE_1)
	v_cmp_ge_i64_e32 vcc_lo, v[10:11], v[8:9]
	ds_add_f32 v12, v3
	s_or_b32 s39, vcc_lo, s39
	s_and_not1_b32 exec_lo, exec_lo, s39
	s_cbranch_execz .LBB95_9
.LBB95_14:                              ;   Parent Loop BB95_10 Depth=1
                                        ; =>  This Loop Header: Depth=2
                                        ;       Child Loop BB95_17 Depth 3
	s_wait_xcnt 0x0
	v_lshl_add_u64 v[12:13], v[10:11], 3, s[24:25]
	v_lshl_add_u64 v[14:15], v[10:11], 2, s[26:27]
	s_mov_b32 s40, exec_lo
	global_load_b64 v[12:13], v[12:13], off
	global_load_b32 v3, v[14:15], off
	s_wait_loadcnt 0x1
	s_wait_xcnt 0x0
	v_sub_nc_u64_e64 v[14:15], v[12:13], s[4:5]
	s_delay_alu instid0(VALU_DEP_1) | instskip(NEXT) | instid1(VALU_DEP_1)
	v_mul_lo_u32 v12, 0x89, v14
	v_and_b32_e32 v12, 0x3fff, v12
	s_delay_alu instid0(VALU_DEP_1)
	v_lshl_add_u32 v23, v12, 3, 0
	ds_load_b64 v[18:19], v23
	s_wait_dscnt 0x0
	v_cmpx_ne_u64_e64 v[18:19], v[14:15]
	s_cbranch_execz .LBB95_13
; %bb.15:                               ;   in Loop: Header=BB95_14 Depth=2
	s_mov_b32 s41, 0
                                        ; implicit-def: $sgpr42
                                        ; implicit-def: $sgpr43
	s_branch .LBB95_17
.LBB95_16:                              ;   in Loop: Header=BB95_17 Depth=3
	s_or_b32 exec_lo, exec_lo, s46
	s_delay_alu instid0(SALU_CYCLE_1) | instskip(NEXT) | instid1(SALU_CYCLE_1)
	s_and_b32 s44, exec_lo, s45
	s_or_b32 s41, s44, s41
	s_and_not1_b32 s42, s42, exec_lo
	s_and_b32 s44, s43, exec_lo
	s_delay_alu instid0(SALU_CYCLE_1)
	s_or_b32 s42, s42, s44
	s_and_not1_b32 exec_lo, exec_lo, s41
	s_cbranch_execz .LBB95_23
.LBB95_17:                              ;   Parent Loop BB95_10 Depth=1
                                        ;     Parent Loop BB95_14 Depth=2
                                        ; =>    This Inner Loop Header: Depth=3
	v_mov_b64_e32 v[16:17], v[12:13]
	s_mov_b32 s44, 0
	s_mov_b32 s45, exec_lo
                                        ; implicit-def: $vgpr12_vgpr13
	v_cmpx_ne_u64_e64 s[30:31], v[18:19]
	s_xor_b32 s45, exec_lo, s45
; %bb.18:                               ;   in Loop: Header=BB95_17 Depth=3
	s_delay_alu instid0(VALU_DEP_2) | instskip(SKIP_1) | instid1(VALU_DEP_1)
	v_add_nc_u32_e32 v12, 1, v16
	s_mov_b32 s44, exec_lo
                                        ; implicit-def: $vgpr23
	v_and_b32_e32 v12, 0x3fff, v12
; %bb.19:                               ;   in Loop: Header=BB95_17 Depth=3
	s_and_not1_saveexec_b32 s45, s45
	s_cbranch_execz .LBB95_21
; %bb.20:                               ;   in Loop: Header=BB95_17 Depth=3
	v_mov_b64_e32 v[12:13], s[30:31]
	s_and_not1_b32 s44, s44, exec_lo
	ds_cmpstore_rtn_b64 v[12:13], v23, v[14:15], v[12:13]
	s_wait_dscnt 0x0
	v_cmp_ne_u64_e32 vcc_lo, s[30:31], v[12:13]
	v_mov_b64_e32 v[12:13], v[16:17]
	s_and_b32 s46, vcc_lo, exec_lo
	s_delay_alu instid0(SALU_CYCLE_1)
	s_or_b32 s44, s44, s46
.LBB95_21:                              ;   in Loop: Header=BB95_17 Depth=3
	s_or_b32 exec_lo, exec_lo, s45
	s_mov_b32 s45, -1
	s_or_b32 s43, s43, exec_lo
                                        ; implicit-def: $vgpr23
                                        ; implicit-def: $vgpr18_vgpr19
	s_and_saveexec_b32 s46, s44
	s_cbranch_execz .LBB95_16
; %bb.22:                               ;   in Loop: Header=BB95_17 Depth=3
	v_lshl_add_u32 v23, v12, 3, 0
	s_and_not1_b32 s43, s43, exec_lo
	ds_load_b64 v[18:19], v23
	s_wait_dscnt 0x0
	v_cmp_eq_u64_e32 vcc_lo, v[18:19], v[14:15]
	s_or_not1_b32 s45, vcc_lo, exec_lo
	s_branch .LBB95_16
.LBB95_23:                              ;   in Loop: Header=BB95_14 Depth=2
	s_or_b32 exec_lo, exec_lo, s41
	s_and_saveexec_b32 s41, s42
	s_delay_alu instid0(SALU_CYCLE_1)
	s_xor_b32 s41, exec_lo, s41
	s_cbranch_execz .LBB95_12
; %bb.24:                               ;   in Loop: Header=BB95_14 Depth=2
	v_mov_b32_e32 v12, v16
	s_branch .LBB95_12
.LBB95_25:
	s_or_b32 exec_lo, exec_lo, s20
.LBB95_26:
	s_delay_alu instid0(SALU_CYCLE_1)
	s_and_not1_b32 vcc_lo, exec_lo, s37
	s_cbranch_vccnz .LBB95_43
; %bb.27:
	s_wait_kmcnt 0x0
	s_lshl_b64 s[0:1], s[34:35], 3
	v_mov_b32_e32 v1, 0
	s_add_nc_u64 s[0:1], s[12:13], s[0:1]
	s_load_b128 s[4:7], s[0:1], 0x0
	s_wait_xcnt 0x0
	s_mov_b32 s1, 0
	s_mov_b32 s0, s23
	s_delay_alu instid0(SALU_CYCLE_1) | instskip(SKIP_1) | instid1(VALU_DEP_1)
	v_sub_nc_u64_e64 v[4:5], v[0:1], s[0:1]
	s_wait_kmcnt 0x0
	v_add_nc_u64_e32 v[4:5], s[4:5], v[4:5]
	s_sub_nc_u64 s[2:3], s[6:7], s[0:1]
	s_mov_b32 s4, exec_lo
	s_delay_alu instid0(VALU_DEP_1)
	v_cmpx_gt_i64_e64 s[2:3], v[4:5]
	s_cbranch_execz .LBB95_42
; %bb.28:
	s_mov_b32 s5, s1
	s_branch .LBB95_31
.LBB95_29:                              ;   in Loop: Header=BB95_31 Depth=1
	s_or_b32 exec_lo, exec_lo, s7
.LBB95_30:                              ;   in Loop: Header=BB95_31 Depth=1
	s_delay_alu instid0(SALU_CYCLE_1) | instskip(SKIP_3) | instid1(VALU_DEP_2)
	s_or_b32 exec_lo, exec_lo, s6
	s_wait_loadcnt 0x0
	v_dual_lshlrev_b32 v3, 2, v6 :: v_dual_mul_f32 v1, s33, v1
	v_add_nc_u64_e32 v[4:5], 0x400, v[4:5]
	v_add3_u32 v3, 0, v3, 0x20000
	s_delay_alu instid0(VALU_DEP_2) | instskip(SKIP_2) | instid1(SALU_CYCLE_1)
	v_cmp_le_i64_e32 vcc_lo, s[2:3], v[4:5]
	ds_add_f32 v3, v1
	s_or_b32 s5, vcc_lo, s5
	s_and_not1_b32 exec_lo, exec_lo, s5
	s_cbranch_execz .LBB95_42
.LBB95_31:                              ; =>This Loop Header: Depth=1
                                        ;     Child Loop BB95_34 Depth 2
	v_lshl_add_u64 v[6:7], v[4:5], 3, s[14:15]
	v_lshl_add_u64 v[8:9], v[4:5], 2, s[16:17]
	s_mov_b32 s6, exec_lo
	global_load_b64 v[6:7], v[6:7], off
	global_load_b32 v1, v[8:9], off
	s_wait_loadcnt 0x1
	s_wait_xcnt 0x0
	v_sub_nc_u64_e64 v[8:9], v[6:7], s[0:1]
	s_delay_alu instid0(VALU_DEP_1) | instskip(NEXT) | instid1(VALU_DEP_1)
	v_mul_lo_u32 v3, 0x89, v8
	v_and_b32_e32 v6, 0x3fff, v3
	s_delay_alu instid0(VALU_DEP_1)
	v_lshl_add_u32 v3, v6, 3, 0
	ds_load_b64 v[12:13], v3
	s_wait_dscnt 0x0
	v_cmpx_ne_u64_e64 v[12:13], v[8:9]
	s_cbranch_execz .LBB95_30
; %bb.32:                               ;   in Loop: Header=BB95_31 Depth=1
	s_mov_b32 s7, 0
                                        ; implicit-def: $sgpr8
                                        ; implicit-def: $sgpr9
	s_branch .LBB95_34
.LBB95_33:                              ;   in Loop: Header=BB95_34 Depth=2
	s_or_b32 exec_lo, exec_lo, s12
	s_delay_alu instid0(SALU_CYCLE_1) | instskip(NEXT) | instid1(SALU_CYCLE_1)
	s_and_b32 s10, exec_lo, s11
	s_or_b32 s7, s10, s7
	s_and_not1_b32 s8, s8, exec_lo
	s_and_b32 s10, s9, exec_lo
	s_delay_alu instid0(SALU_CYCLE_1)
	s_or_b32 s8, s8, s10
	s_and_not1_b32 exec_lo, exec_lo, s7
	s_cbranch_execz .LBB95_40
.LBB95_34:                              ;   Parent Loop BB95_31 Depth=1
                                        ; =>  This Inner Loop Header: Depth=2
	v_mov_b64_e32 v[10:11], v[6:7]
	s_mov_b32 s10, 0
	s_mov_b32 s11, exec_lo
                                        ; implicit-def: $vgpr6_vgpr7
	v_cmpx_ne_u64_e64 s[30:31], v[12:13]
	s_xor_b32 s11, exec_lo, s11
; %bb.35:                               ;   in Loop: Header=BB95_34 Depth=2
	s_delay_alu instid0(VALU_DEP_2) | instskip(SKIP_1) | instid1(VALU_DEP_1)
	v_add_nc_u32_e32 v3, 1, v10
	s_mov_b32 s10, exec_lo
	v_and_b32_e32 v6, 0x3fff, v3
                                        ; implicit-def: $vgpr3
; %bb.36:                               ;   in Loop: Header=BB95_34 Depth=2
	s_and_not1_saveexec_b32 s11, s11
	s_cbranch_execz .LBB95_38
; %bb.37:                               ;   in Loop: Header=BB95_34 Depth=2
	v_mov_b64_e32 v[6:7], s[30:31]
	s_and_not1_b32 s10, s10, exec_lo
	ds_cmpstore_rtn_b64 v[6:7], v3, v[8:9], v[6:7]
	s_wait_dscnt 0x0
	v_cmp_ne_u64_e32 vcc_lo, s[30:31], v[6:7]
	v_mov_b64_e32 v[6:7], v[10:11]
	s_and_b32 s12, vcc_lo, exec_lo
	s_delay_alu instid0(SALU_CYCLE_1)
	s_or_b32 s10, s10, s12
.LBB95_38:                              ;   in Loop: Header=BB95_34 Depth=2
	s_or_b32 exec_lo, exec_lo, s11
	s_mov_b32 s11, -1
	s_or_b32 s9, s9, exec_lo
                                        ; implicit-def: $vgpr3
                                        ; implicit-def: $vgpr12_vgpr13
	s_and_saveexec_b32 s12, s10
	s_cbranch_execz .LBB95_33
; %bb.39:                               ;   in Loop: Header=BB95_34 Depth=2
	v_lshl_add_u32 v3, v6, 3, 0
	s_and_not1_b32 s9, s9, exec_lo
	ds_load_b64 v[12:13], v3
	s_wait_dscnt 0x0
	v_cmp_eq_u64_e32 vcc_lo, v[12:13], v[8:9]
	s_or_not1_b32 s11, vcc_lo, exec_lo
	s_branch .LBB95_33
.LBB95_40:                              ;   in Loop: Header=BB95_31 Depth=1
	s_or_b32 exec_lo, exec_lo, s7
	s_and_saveexec_b32 s7, s8
	s_delay_alu instid0(SALU_CYCLE_1)
	s_xor_b32 s7, exec_lo, s7
	s_cbranch_execz .LBB95_29
; %bb.41:                               ;   in Loop: Header=BB95_31 Depth=1
	v_mov_b32_e32 v6, v10
	s_branch .LBB95_29
.LBB95_42:
	s_or_b32 exec_lo, exec_lo, s4
.LBB95_43:
	v_mbcnt_lo_u32_b32 v1, -1, 0
	v_lshlrev_b32_e32 v2, 3, v2
	v_mov_b64_e32 v[6:7], 0
	s_add_co_i32 s38, 0, 0x30078
	s_delay_alu instid0(SALU_CYCLE_1)
	v_dual_mov_b32 v3, 0 :: v_dual_mov_b32 v5, s38
	v_xor_b32_e32 v4, 31, v1
	v_add3_u32 v1, 0x30000, 0, v2
	v_cmp_lt_u32_e64 s0, 63, v0
	v_cmp_lt_u32_e64 s1, 0x7f, v0
	;; [unrolled: 1-line block ×3, first 2 shown]
	v_lshrrev_b32_e64 v4, v4, -1
	v_cmp_lt_u32_e64 s3, 0xff, v0
	v_cmp_lt_u32_e64 s4, 0x13f, v0
	;; [unrolled: 1-line block ×12, first 2 shown]
	s_mov_b32 s16, 0
	s_add_co_i32 s17, 0, 0x30000
	s_add_co_i32 s20, 0, 0x30008
	;; [unrolled: 1-line block ×15, first 2 shown]
	s_wait_dscnt 0x0
	s_barrier_signal -1
	s_barrier_wait -1
	v_cmp_eq_u32_e32 vcc_lo, 0x3ff, v0
	s_branch .LBB95_45
.LBB95_44:                              ;   in Loop: Header=BB95_45 Depth=1
	s_or_b32 exec_lo, exec_lo, s15
	s_wait_dscnt 0x0
	s_barrier_signal -1
	s_barrier_wait -1
	ds_load_b64 v[8:9], v5
	v_add_nc_u32_e32 v22, 0x400, v22
	v_add_nc_u32_e32 v21, 0x1000, v21
	;; [unrolled: 1-line block ×3, first 2 shown]
	s_delay_alu instid0(VALU_DEP_3)
	v_cmp_lt_u32_e64 s15, 0x3bff, v22
	s_or_b32 s16, s15, s16
	s_wait_dscnt 0x0
	v_add_nc_u64_e32 v[6:7], v[8:9], v[6:7]
	s_and_not1_b32 exec_lo, exec_lo, s16
	s_cbranch_execz .LBB95_79
.LBB95_45:                              ; =>This Inner Loop Header: Depth=1
	ds_load_b64 v[8:9], v20
	ds_load_b32 v12, v21
	s_wait_dscnt 0x0
	s_barrier_signal -1
	s_barrier_wait -1
	v_cmp_gt_i64_e64 s15, s[30:31], v[8:9]
	s_bcnt1_i32_b32 s43, s15
	s_delay_alu instid0(SALU_CYCLE_1) | instskip(NEXT) | instid1(VALU_DEP_1)
	v_dual_mov_b32 v2, s43 :: v_dual_bitop2_b32 v10, s15, v4 bitop3:0x40
	v_bcnt_u32_b32 v10, v10, 0
	ds_store_b64 v1, v[2:3]
	s_wait_dscnt 0x0
	s_barrier_signal -1
	s_barrier_wait -1
	s_and_saveexec_b32 s43, s0
	s_cbranch_execnz .LBB95_62
; %bb.46:                               ;   in Loop: Header=BB95_45 Depth=1
	s_or_b32 exec_lo, exec_lo, s43
	s_and_saveexec_b32 s43, s1
	s_cbranch_execnz .LBB95_63
.LBB95_47:                              ;   in Loop: Header=BB95_45 Depth=1
	s_or_b32 exec_lo, exec_lo, s43
	s_and_saveexec_b32 s43, s2
	s_cbranch_execnz .LBB95_64
.LBB95_48:                              ;   in Loop: Header=BB95_45 Depth=1
	s_or_b32 exec_lo, exec_lo, s43
	s_and_saveexec_b32 s43, s3
	s_cbranch_execnz .LBB95_65
.LBB95_49:                              ;   in Loop: Header=BB95_45 Depth=1
	s_or_b32 exec_lo, exec_lo, s43
	s_and_saveexec_b32 s43, s4
	s_cbranch_execnz .LBB95_66
.LBB95_50:                              ;   in Loop: Header=BB95_45 Depth=1
	s_or_b32 exec_lo, exec_lo, s43
	s_and_saveexec_b32 s43, s5
	s_cbranch_execnz .LBB95_67
.LBB95_51:                              ;   in Loop: Header=BB95_45 Depth=1
	s_or_b32 exec_lo, exec_lo, s43
	s_and_saveexec_b32 s43, s6
	s_cbranch_execnz .LBB95_68
.LBB95_52:                              ;   in Loop: Header=BB95_45 Depth=1
	s_or_b32 exec_lo, exec_lo, s43
	s_and_saveexec_b32 s43, s7
	s_cbranch_execnz .LBB95_69
.LBB95_53:                              ;   in Loop: Header=BB95_45 Depth=1
	s_or_b32 exec_lo, exec_lo, s43
	s_and_saveexec_b32 s43, s8
	s_cbranch_execnz .LBB95_70
.LBB95_54:                              ;   in Loop: Header=BB95_45 Depth=1
	s_or_b32 exec_lo, exec_lo, s43
	s_and_saveexec_b32 s43, s9
	s_cbranch_execnz .LBB95_71
.LBB95_55:                              ;   in Loop: Header=BB95_45 Depth=1
	s_or_b32 exec_lo, exec_lo, s43
	s_and_saveexec_b32 s43, s10
	s_cbranch_execnz .LBB95_72
.LBB95_56:                              ;   in Loop: Header=BB95_45 Depth=1
	s_or_b32 exec_lo, exec_lo, s43
	s_and_saveexec_b32 s43, s11
	s_cbranch_execnz .LBB95_73
.LBB95_57:                              ;   in Loop: Header=BB95_45 Depth=1
	s_or_b32 exec_lo, exec_lo, s43
	s_and_saveexec_b32 s43, s12
	s_cbranch_execnz .LBB95_74
.LBB95_58:                              ;   in Loop: Header=BB95_45 Depth=1
	s_or_b32 exec_lo, exec_lo, s43
	s_and_saveexec_b32 s43, s13
	s_cbranch_execnz .LBB95_75
.LBB95_59:                              ;   in Loop: Header=BB95_45 Depth=1
	s_or_b32 exec_lo, exec_lo, s43
	s_and_saveexec_b32 s43, s14
	s_cbranch_execnz .LBB95_76
.LBB95_60:                              ;   in Loop: Header=BB95_45 Depth=1
	s_or_b32 exec_lo, exec_lo, s43
	v_ashrrev_i32_e32 v11, 31, v10
	s_and_saveexec_b32 s43, s15
	s_cbranch_execnz .LBB95_77
.LBB95_61:                              ;   in Loop: Header=BB95_45 Depth=1
	s_or_b32 exec_lo, exec_lo, s43
	s_and_saveexec_b32 s15, vcc_lo
	s_cbranch_execz .LBB95_44
	s_branch .LBB95_78
.LBB95_62:                              ;   in Loop: Header=BB95_45 Depth=1
	v_mov_b32_e32 v2, s17
	ds_load_b32 v2, v2
	s_wait_dscnt 0x0
	v_add_nc_u32_e32 v10, v2, v10
	s_or_b32 exec_lo, exec_lo, s43
	s_and_saveexec_b32 s43, s1
	s_cbranch_execz .LBB95_47
.LBB95_63:                              ;   in Loop: Header=BB95_45 Depth=1
	v_mov_b32_e32 v2, s20
	ds_load_b32 v2, v2
	s_wait_dscnt 0x0
	v_add_nc_u32_e32 v10, v10, v2
	s_or_b32 exec_lo, exec_lo, s43
	s_and_saveexec_b32 s43, s2
	s_cbranch_execz .LBB95_48
.LBB95_64:                              ;   in Loop: Header=BB95_45 Depth=1
	v_mov_b32_e32 v2, s21
	ds_load_b32 v2, v2
	s_wait_dscnt 0x0
	v_add_nc_u32_e32 v10, v10, v2
	s_or_b32 exec_lo, exec_lo, s43
	s_and_saveexec_b32 s43, s3
	s_cbranch_execz .LBB95_49
.LBB95_65:                              ;   in Loop: Header=BB95_45 Depth=1
	v_mov_b32_e32 v2, s23
	ds_load_b32 v2, v2
	s_wait_dscnt 0x0
	v_add_nc_u32_e32 v10, v10, v2
	s_or_b32 exec_lo, exec_lo, s43
	s_and_saveexec_b32 s43, s4
	s_cbranch_execz .LBB95_50
.LBB95_66:                              ;   in Loop: Header=BB95_45 Depth=1
	v_mov_b32_e32 v2, s24
	ds_load_b32 v2, v2
	s_wait_dscnt 0x0
	v_add_nc_u32_e32 v10, v10, v2
	s_or_b32 exec_lo, exec_lo, s43
	s_and_saveexec_b32 s43, s5
	s_cbranch_execz .LBB95_51
.LBB95_67:                              ;   in Loop: Header=BB95_45 Depth=1
	v_mov_b32_e32 v2, s25
	ds_load_b32 v2, v2
	s_wait_dscnt 0x0
	v_add_nc_u32_e32 v10, v10, v2
	s_or_b32 exec_lo, exec_lo, s43
	s_and_saveexec_b32 s43, s6
	s_cbranch_execz .LBB95_52
.LBB95_68:                              ;   in Loop: Header=BB95_45 Depth=1
	v_mov_b32_e32 v2, s26
	ds_load_b32 v2, v2
	s_wait_dscnt 0x0
	v_add_nc_u32_e32 v10, v10, v2
	s_or_b32 exec_lo, exec_lo, s43
	s_and_saveexec_b32 s43, s7
	s_cbranch_execz .LBB95_53
.LBB95_69:                              ;   in Loop: Header=BB95_45 Depth=1
	v_mov_b32_e32 v2, s27
	ds_load_b32 v2, v2
	s_wait_dscnt 0x0
	v_add_nc_u32_e32 v10, v10, v2
	s_or_b32 exec_lo, exec_lo, s43
	s_and_saveexec_b32 s43, s8
	s_cbranch_execz .LBB95_54
.LBB95_70:                              ;   in Loop: Header=BB95_45 Depth=1
	v_mov_b32_e32 v2, s33
	ds_load_b32 v2, v2
	s_wait_dscnt 0x0
	v_add_nc_u32_e32 v10, v10, v2
	s_or_b32 exec_lo, exec_lo, s43
	s_and_saveexec_b32 s43, s9
	s_cbranch_execz .LBB95_55
.LBB95_71:                              ;   in Loop: Header=BB95_45 Depth=1
	v_mov_b32_e32 v2, s36
	ds_load_b32 v2, v2
	s_wait_dscnt 0x0
	v_add_nc_u32_e32 v10, v10, v2
	s_or_b32 exec_lo, exec_lo, s43
	s_and_saveexec_b32 s43, s10
	s_cbranch_execz .LBB95_56
.LBB95_72:                              ;   in Loop: Header=BB95_45 Depth=1
	v_mov_b32_e32 v2, s37
	ds_load_b32 v2, v2
	s_wait_dscnt 0x0
	v_add_nc_u32_e32 v10, v10, v2
	s_or_b32 exec_lo, exec_lo, s43
	s_and_saveexec_b32 s43, s11
	s_cbranch_execz .LBB95_57
.LBB95_73:                              ;   in Loop: Header=BB95_45 Depth=1
	v_mov_b32_e32 v2, s39
	ds_load_b32 v2, v2
	s_wait_dscnt 0x0
	v_add_nc_u32_e32 v10, v10, v2
	s_or_b32 exec_lo, exec_lo, s43
	s_and_saveexec_b32 s43, s12
	s_cbranch_execz .LBB95_58
.LBB95_74:                              ;   in Loop: Header=BB95_45 Depth=1
	v_mov_b32_e32 v2, s40
	ds_load_b32 v2, v2
	s_wait_dscnt 0x0
	v_add_nc_u32_e32 v10, v10, v2
	s_or_b32 exec_lo, exec_lo, s43
	s_and_saveexec_b32 s43, s13
	s_cbranch_execz .LBB95_59
.LBB95_75:                              ;   in Loop: Header=BB95_45 Depth=1
	v_mov_b32_e32 v2, s41
	ds_load_b32 v2, v2
	s_wait_dscnt 0x0
	v_add_nc_u32_e32 v10, v10, v2
	s_or_b32 exec_lo, exec_lo, s43
	s_and_saveexec_b32 s43, s14
	s_cbranch_execz .LBB95_60
.LBB95_76:                              ;   in Loop: Header=BB95_45 Depth=1
	v_mov_b32_e32 v2, s42
	ds_load_b32 v2, v2
	s_wait_dscnt 0x0
	v_add_nc_u32_e32 v10, v10, v2
	s_or_b32 exec_lo, exec_lo, s43
	s_delay_alu instid0(VALU_DEP_1)
	v_ashrrev_i32_e32 v11, 31, v10
	s_and_saveexec_b32 s43, s15
	s_cbranch_execz .LBB95_61
.LBB95_77:                              ;   in Loop: Header=BB95_45 Depth=1
	v_add3_u32 v2, v6, -1, v10
	s_delay_alu instid0(VALU_DEP_1) | instskip(SKIP_1) | instid1(VALU_DEP_2)
	v_lshlrev_b32_e32 v13, 2, v2
	v_lshl_add_u32 v2, v2, 3, 0
	v_add3_u32 v13, 0, v13, 0x20000
	ds_store_b64 v2, v[8:9]
	ds_store_b32 v13, v12
	s_or_b32 exec_lo, exec_lo, s43
	s_and_saveexec_b32 s15, vcc_lo
	s_cbranch_execz .LBB95_44
.LBB95_78:                              ;   in Loop: Header=BB95_45 Depth=1
	v_mov_b32_e32 v2, s38
	ds_store_b64 v2, v[10:11]
	s_branch .LBB95_44
.LBB95_79:
	s_or_b32 exec_lo, exec_lo, s16
	s_wait_kmcnt 0x0
	s_lshl_b64 s[0:1], s[34:35], 3
	v_mov_b32_e32 v1, 0
	s_add_nc_u64 s[4:5], s[18:19], s[0:1]
	s_mov_b32 s6, exec_lo
	s_load_b128 s[0:3], s[4:5], 0x0
	s_wait_kmcnt 0x0
	s_sub_nc_u64 s[4:5], s[2:3], s[0:1]
	s_delay_alu instid0(SALU_CYCLE_1)
	v_cmpx_gt_i64_e64 s[4:5], v[0:1]
	s_cbranch_execz .LBB95_89
; %bb.80:
	s_sub_nc_u64 s[8:9], s[0:1], s[2:3]
	s_and_b64 s[6:7], s[4:5], 7
	v_cmp_lt_u64_e64 s10, s[8:9], -7
	s_and_b64 s[2:3], s[4:5], -8
	s_mov_b32 s23, 0
	s_cmp_lg_u64 s[6:7], 0
	s_sub_nc_u64 s[0:1], s[0:1], s[22:23]
	s_cselect_b32 s11, -1, 0
	s_mov_b32 s12, 0
	s_branch .LBB95_82
.LBB95_81:                              ;   in Loop: Header=BB95_82 Depth=1
	v_add_nc_u64_e32 v[0:1], 0x400, v[0:1]
	s_wait_dscnt 0x1
	s_delay_alu instid0(VALU_DEP_2)
	v_lshl_add_u64 v[2:3], v[4:5], 2, s[28:29]
	s_wait_dscnt 0x0
	global_store_b32 v[2:3], v6, off
	v_cmp_le_i64_e32 vcc_lo, s[4:5], v[0:1]
	s_or_b32 s12, vcc_lo, s12
	s_wait_xcnt 0x0
	s_and_not1_b32 exec_lo, exec_lo, s12
	s_cbranch_execz .LBB95_89
.LBB95_82:                              ; =>This Loop Header: Depth=1
                                        ;     Child Loop BB95_84 Depth 2
                                        ;     Child Loop BB95_88 Depth 2
	v_lshlrev_b32_e32 v2, 2, v0
	v_lshl_add_u32 v3, v0, 3, 0
	s_and_not1_b32 vcc_lo, exec_lo, s10
	s_mov_b64 s[8:9], 0
	s_delay_alu instid0(VALU_DEP_2)
	v_add3_u32 v4, 0, v2, 0x20000
	ds_load_b64 v[2:3], v3
	ds_load_b32 v6, v4
	v_mov_b64_e32 v[4:5], s[0:1]
	s_cbranch_vccnz .LBB95_86
; %bb.83:                               ;   in Loop: Header=BB95_82 Depth=1
	v_mov_b64_e32 v[4:5], s[0:1]
	s_mov_b32 s13, 0
.LBB95_84:                              ;   Parent Loop BB95_82 Depth=1
                                        ; =>  This Inner Loop Header: Depth=2
	s_delay_alu instid0(SALU_CYCLE_1)
	v_dual_mov_b32 v7, s13 :: v_dual_mov_b32 v17, s23
	s_add_nc_u64 s[8:9], s[8:9], 8
	s_add_co_i32 s13, s13, 64
	s_cmp_eq_u64 s[2:3], s[8:9]
	ds_load_2addr_b64 v[8:11], v7 offset1:1
	ds_load_2addr_b64 v[12:15], v7 offset0:2 offset1:3
	s_wait_dscnt 0x1
	v_cmp_gt_i64_e32 vcc_lo, v[2:3], v[8:9]
	v_cndmask_b32_e64 v16, 0, 1, vcc_lo
	v_cmp_gt_i64_e32 vcc_lo, v[2:3], v[10:11]
	ds_load_2addr_b64 v[8:11], v7 offset0:4 offset1:5
	v_add_nc_u64_e32 v[4:5], v[4:5], v[16:17]
	v_cndmask_b32_e64 v18, 0, 1, vcc_lo
	s_wait_dscnt 0x1
	v_cmp_gt_i64_e32 vcc_lo, v[2:3], v[12:13]
	v_cndmask_b32_e64 v16, 0, 1, vcc_lo
	v_cmp_gt_i64_e32 vcc_lo, v[2:3], v[14:15]
	ds_load_2addr_b64 v[12:15], v7 offset0:6 offset1:7
	v_mov_b32_e32 v19, s23
	s_delay_alu instid0(VALU_DEP_1) | instskip(SKIP_4) | instid1(VALU_DEP_4)
	v_add_nc_u64_e32 v[4:5], v[4:5], v[18:19]
	v_cndmask_b32_e64 v18, 0, 1, vcc_lo
	s_wait_dscnt 0x1
	v_cmp_gt_i64_e32 vcc_lo, v[2:3], v[8:9]
	v_mov_b32_e32 v9, s23
	v_add_nc_u64_e32 v[4:5], v[4:5], v[16:17]
	v_cndmask_b32_e64 v16, 0, 1, vcc_lo
	v_cmp_gt_i64_e32 vcc_lo, v[2:3], v[10:11]
	v_mov_b32_e32 v11, s23
	s_delay_alu instid0(VALU_DEP_4) | instskip(SKIP_3) | instid1(VALU_DEP_3)
	v_add_nc_u64_e32 v[4:5], v[4:5], v[18:19]
	v_cndmask_b32_e64 v8, 0, 1, vcc_lo
	s_wait_dscnt 0x0
	v_cmp_gt_i64_e32 vcc_lo, v[2:3], v[12:13]
	v_add_nc_u64_e32 v[4:5], v[4:5], v[16:17]
	v_cndmask_b32_e64 v10, 0, 1, vcc_lo
	v_cmp_gt_i64_e32 vcc_lo, v[2:3], v[14:15]
	s_delay_alu instid0(VALU_DEP_3) | instskip(SKIP_1) | instid1(VALU_DEP_2)
	v_add_nc_u64_e32 v[4:5], v[4:5], v[8:9]
	v_cndmask_b32_e64 v8, 0, 1, vcc_lo
	v_add_nc_u64_e32 v[4:5], v[4:5], v[10:11]
	s_delay_alu instid0(VALU_DEP_1)
	v_add_nc_u64_e32 v[4:5], v[4:5], v[8:9]
	s_cbranch_scc0 .LBB95_84
; %bb.85:                               ;   in Loop: Header=BB95_82 Depth=1
	s_mov_b64 s[8:9], s[2:3]
.LBB95_86:                              ;   in Loop: Header=BB95_82 Depth=1
	s_and_not1_b32 vcc_lo, exec_lo, s11
	s_cbranch_vccnz .LBB95_81
; %bb.87:                               ;   in Loop: Header=BB95_82 Depth=1
	s_lshl_b32 s8, s8, 3
	s_delay_alu instid0(SALU_CYCLE_1)
	s_add_co_i32 s13, s8, 0
	s_mov_b64 s[8:9], s[6:7]
.LBB95_88:                              ;   Parent Loop BB95_82 Depth=1
                                        ; =>  This Inner Loop Header: Depth=2
	v_dual_mov_b32 v7, s13 :: v_dual_mov_b32 v11, s23
	s_add_nc_u64 s[8:9], s[8:9], -1
	s_add_co_i32 s13, s13, 8
	s_cmp_lg_u64 s[8:9], 0
	ds_load_b64 v[8:9], v7
	s_wait_dscnt 0x0
	v_cmp_gt_i64_e32 vcc_lo, v[2:3], v[8:9]
	v_cndmask_b32_e64 v10, 0, 1, vcc_lo
	s_delay_alu instid0(VALU_DEP_1)
	v_add_nc_u64_e32 v[4:5], v[4:5], v[10:11]
	s_cbranch_scc1 .LBB95_88
	s_branch .LBB95_81
.LBB95_89:
	s_endpgm
	.section	.rodata,"a",@progbits
	.p2align	6, 0x0
	.amdhsa_kernel _ZN9rocsparseL41csrgemm_numeric_fill_block_per_row_kernelILj1024ELj64ELj16384ELj137ELj64EllfEEvT5_PKS1_S3_NS_24const_host_device_scalarIT6_EEPKT4_S3_PKS5_S9_S3_SB_S6_S9_S3_SB_S9_S3_PS5_21rocsparse_index_base_SD_SD_SD_bbb
		.amdhsa_group_segment_fixed_size 0
		.amdhsa_private_segment_fixed_size 0
		.amdhsa_kernarg_size 156
		.amdhsa_user_sgpr_count 2
		.amdhsa_user_sgpr_dispatch_ptr 0
		.amdhsa_user_sgpr_queue_ptr 0
		.amdhsa_user_sgpr_kernarg_segment_ptr 1
		.amdhsa_user_sgpr_dispatch_id 0
		.amdhsa_user_sgpr_kernarg_preload_length 0
		.amdhsa_user_sgpr_kernarg_preload_offset 0
		.amdhsa_user_sgpr_private_segment_size 0
		.amdhsa_wavefront_size32 1
		.amdhsa_uses_dynamic_stack 0
		.amdhsa_enable_private_segment 0
		.amdhsa_system_sgpr_workgroup_id_x 1
		.amdhsa_system_sgpr_workgroup_id_y 0
		.amdhsa_system_sgpr_workgroup_id_z 0
		.amdhsa_system_sgpr_workgroup_info 0
		.amdhsa_system_vgpr_workitem_id 0
		.amdhsa_next_free_vgpr 24
		.amdhsa_next_free_sgpr 47
		.amdhsa_named_barrier_count 0
		.amdhsa_reserve_vcc 1
		.amdhsa_float_round_mode_32 0
		.amdhsa_float_round_mode_16_64 0
		.amdhsa_float_denorm_mode_32 3
		.amdhsa_float_denorm_mode_16_64 3
		.amdhsa_fp16_overflow 0
		.amdhsa_memory_ordered 1
		.amdhsa_forward_progress 1
		.amdhsa_inst_pref_size 28
		.amdhsa_round_robin_scheduling 0
		.amdhsa_exception_fp_ieee_invalid_op 0
		.amdhsa_exception_fp_denorm_src 0
		.amdhsa_exception_fp_ieee_div_zero 0
		.amdhsa_exception_fp_ieee_overflow 0
		.amdhsa_exception_fp_ieee_underflow 0
		.amdhsa_exception_fp_ieee_inexact 0
		.amdhsa_exception_int_div_zero 0
	.end_amdhsa_kernel
	.section	.text._ZN9rocsparseL41csrgemm_numeric_fill_block_per_row_kernelILj1024ELj64ELj16384ELj137ELj64EllfEEvT5_PKS1_S3_NS_24const_host_device_scalarIT6_EEPKT4_S3_PKS5_S9_S3_SB_S6_S9_S3_SB_S9_S3_PS5_21rocsparse_index_base_SD_SD_SD_bbb,"axG",@progbits,_ZN9rocsparseL41csrgemm_numeric_fill_block_per_row_kernelILj1024ELj64ELj16384ELj137ELj64EllfEEvT5_PKS1_S3_NS_24const_host_device_scalarIT6_EEPKT4_S3_PKS5_S9_S3_SB_S6_S9_S3_SB_S9_S3_PS5_21rocsparse_index_base_SD_SD_SD_bbb,comdat
.Lfunc_end95:
	.size	_ZN9rocsparseL41csrgemm_numeric_fill_block_per_row_kernelILj1024ELj64ELj16384ELj137ELj64EllfEEvT5_PKS1_S3_NS_24const_host_device_scalarIT6_EEPKT4_S3_PKS5_S9_S3_SB_S6_S9_S3_SB_S9_S3_PS5_21rocsparse_index_base_SD_SD_SD_bbb, .Lfunc_end95-_ZN9rocsparseL41csrgemm_numeric_fill_block_per_row_kernelILj1024ELj64ELj16384ELj137ELj64EllfEEvT5_PKS1_S3_NS_24const_host_device_scalarIT6_EEPKT4_S3_PKS5_S9_S3_SB_S6_S9_S3_SB_S9_S3_PS5_21rocsparse_index_base_SD_SD_SD_bbb
                                        ; -- End function
	.set _ZN9rocsparseL41csrgemm_numeric_fill_block_per_row_kernelILj1024ELj64ELj16384ELj137ELj64EllfEEvT5_PKS1_S3_NS_24const_host_device_scalarIT6_EEPKT4_S3_PKS5_S9_S3_SB_S6_S9_S3_SB_S9_S3_PS5_21rocsparse_index_base_SD_SD_SD_bbb.num_vgpr, 24
	.set _ZN9rocsparseL41csrgemm_numeric_fill_block_per_row_kernelILj1024ELj64ELj16384ELj137ELj64EllfEEvT5_PKS1_S3_NS_24const_host_device_scalarIT6_EEPKT4_S3_PKS5_S9_S3_SB_S6_S9_S3_SB_S9_S3_PS5_21rocsparse_index_base_SD_SD_SD_bbb.num_agpr, 0
	.set _ZN9rocsparseL41csrgemm_numeric_fill_block_per_row_kernelILj1024ELj64ELj16384ELj137ELj64EllfEEvT5_PKS1_S3_NS_24const_host_device_scalarIT6_EEPKT4_S3_PKS5_S9_S3_SB_S6_S9_S3_SB_S9_S3_PS5_21rocsparse_index_base_SD_SD_SD_bbb.numbered_sgpr, 47
	.set _ZN9rocsparseL41csrgemm_numeric_fill_block_per_row_kernelILj1024ELj64ELj16384ELj137ELj64EllfEEvT5_PKS1_S3_NS_24const_host_device_scalarIT6_EEPKT4_S3_PKS5_S9_S3_SB_S6_S9_S3_SB_S9_S3_PS5_21rocsparse_index_base_SD_SD_SD_bbb.num_named_barrier, 0
	.set _ZN9rocsparseL41csrgemm_numeric_fill_block_per_row_kernelILj1024ELj64ELj16384ELj137ELj64EllfEEvT5_PKS1_S3_NS_24const_host_device_scalarIT6_EEPKT4_S3_PKS5_S9_S3_SB_S6_S9_S3_SB_S9_S3_PS5_21rocsparse_index_base_SD_SD_SD_bbb.private_seg_size, 0
	.set _ZN9rocsparseL41csrgemm_numeric_fill_block_per_row_kernelILj1024ELj64ELj16384ELj137ELj64EllfEEvT5_PKS1_S3_NS_24const_host_device_scalarIT6_EEPKT4_S3_PKS5_S9_S3_SB_S6_S9_S3_SB_S9_S3_PS5_21rocsparse_index_base_SD_SD_SD_bbb.uses_vcc, 1
	.set _ZN9rocsparseL41csrgemm_numeric_fill_block_per_row_kernelILj1024ELj64ELj16384ELj137ELj64EllfEEvT5_PKS1_S3_NS_24const_host_device_scalarIT6_EEPKT4_S3_PKS5_S9_S3_SB_S6_S9_S3_SB_S9_S3_PS5_21rocsparse_index_base_SD_SD_SD_bbb.uses_flat_scratch, 0
	.set _ZN9rocsparseL41csrgemm_numeric_fill_block_per_row_kernelILj1024ELj64ELj16384ELj137ELj64EllfEEvT5_PKS1_S3_NS_24const_host_device_scalarIT6_EEPKT4_S3_PKS5_S9_S3_SB_S6_S9_S3_SB_S9_S3_PS5_21rocsparse_index_base_SD_SD_SD_bbb.has_dyn_sized_stack, 0
	.set _ZN9rocsparseL41csrgemm_numeric_fill_block_per_row_kernelILj1024ELj64ELj16384ELj137ELj64EllfEEvT5_PKS1_S3_NS_24const_host_device_scalarIT6_EEPKT4_S3_PKS5_S9_S3_SB_S6_S9_S3_SB_S9_S3_PS5_21rocsparse_index_base_SD_SD_SD_bbb.has_recursion, 0
	.set _ZN9rocsparseL41csrgemm_numeric_fill_block_per_row_kernelILj1024ELj64ELj16384ELj137ELj64EllfEEvT5_PKS1_S3_NS_24const_host_device_scalarIT6_EEPKT4_S3_PKS5_S9_S3_SB_S6_S9_S3_SB_S9_S3_PS5_21rocsparse_index_base_SD_SD_SD_bbb.has_indirect_call, 0
	.section	.AMDGPU.csdata,"",@progbits
; Kernel info:
; codeLenInByte = 3568
; TotalNumSgprs: 49
; NumVgprs: 24
; ScratchSize: 0
; MemoryBound: 0
; FloatMode: 240
; IeeeMode: 1
; LDSByteSize: 0 bytes/workgroup (compile time only)
; SGPRBlocks: 0
; VGPRBlocks: 1
; NumSGPRsForWavesPerEU: 49
; NumVGPRsForWavesPerEU: 24
; NamedBarCnt: 0
; Occupancy: 16
; WaveLimiterHint : 1
; COMPUTE_PGM_RSRC2:SCRATCH_EN: 0
; COMPUTE_PGM_RSRC2:USER_SGPR: 2
; COMPUTE_PGM_RSRC2:TRAP_HANDLER: 0
; COMPUTE_PGM_RSRC2:TGID_X_EN: 1
; COMPUTE_PGM_RSRC2:TGID_Y_EN: 0
; COMPUTE_PGM_RSRC2:TGID_Z_EN: 0
; COMPUTE_PGM_RSRC2:TIDIG_COMP_CNT: 0
	.section	.text._ZN9rocsparseL41csrgemm_numeric_fill_block_per_row_kernelILj1024ELj64ELj32768ELj137ELj32EllfEEvT5_PKS1_S3_NS_24const_host_device_scalarIT6_EEPKT4_S3_PKS5_S9_S3_SB_S6_S9_S3_SB_S9_S3_PS5_21rocsparse_index_base_SD_SD_SD_bbb,"axG",@progbits,_ZN9rocsparseL41csrgemm_numeric_fill_block_per_row_kernelILj1024ELj64ELj32768ELj137ELj32EllfEEvT5_PKS1_S3_NS_24const_host_device_scalarIT6_EEPKT4_S3_PKS5_S9_S3_SB_S6_S9_S3_SB_S9_S3_PS5_21rocsparse_index_base_SD_SD_SD_bbb,comdat
	.globl	_ZN9rocsparseL41csrgemm_numeric_fill_block_per_row_kernelILj1024ELj64ELj32768ELj137ELj32EllfEEvT5_PKS1_S3_NS_24const_host_device_scalarIT6_EEPKT4_S3_PKS5_S9_S3_SB_S6_S9_S3_SB_S9_S3_PS5_21rocsparse_index_base_SD_SD_SD_bbb ; -- Begin function _ZN9rocsparseL41csrgemm_numeric_fill_block_per_row_kernelILj1024ELj64ELj32768ELj137ELj32EllfEEvT5_PKS1_S3_NS_24const_host_device_scalarIT6_EEPKT4_S3_PKS5_S9_S3_SB_S6_S9_S3_SB_S9_S3_PS5_21rocsparse_index_base_SD_SD_SD_bbb
	.p2align	8
	.type	_ZN9rocsparseL41csrgemm_numeric_fill_block_per_row_kernelILj1024ELj64ELj32768ELj137ELj32EllfEEvT5_PKS1_S3_NS_24const_host_device_scalarIT6_EEPKT4_S3_PKS5_S9_S3_SB_S6_S9_S3_SB_S9_S3_PS5_21rocsparse_index_base_SD_SD_SD_bbb,@function
_ZN9rocsparseL41csrgemm_numeric_fill_block_per_row_kernelILj1024ELj64ELj32768ELj137ELj32EllfEEvT5_PKS1_S3_NS_24const_host_device_scalarIT6_EEPKT4_S3_PKS5_S9_S3_SB_S6_S9_S3_SB_S9_S3_PS5_21rocsparse_index_base_SD_SD_SD_bbb: ; @_ZN9rocsparseL41csrgemm_numeric_fill_block_per_row_kernelILj1024ELj64ELj32768ELj137ELj32EllfEEvT5_PKS1_S3_NS_24const_host_device_scalarIT6_EEPKT4_S3_PKS5_S9_S3_SB_S6_S9_S3_SB_S9_S3_PS5_21rocsparse_index_base_SD_SD_SD_bbb
; %bb.0:
	s_clause 0x3
	s_load_b32 s6, s[0:1], 0x98
	s_load_b64 s[2:3], s[0:1], 0x18
	s_load_b128 s[44:47], s[0:1], 0x88
	s_load_b64 s[4:5], s[0:1], 0x50
	s_wait_kmcnt 0x0
	s_and_b32 s8, 1, s6
	s_bitcmp1_b32 s6, 16
	s_cselect_b32 s7, -1, 0
	s_cmp_eq_u32 s8, 1
	s_cselect_b32 s21, -1, 0
	s_delay_alu instid0(SALU_CYCLE_1) | instskip(SKIP_2) | instid1(SALU_CYCLE_1)
	s_and_b32 s8, s21, exec_lo
	s_cselect_b32 s19, s2, 0
	s_xor_b32 s8, s21, -1
	s_or_b32 s8, s7, s8
	s_delay_alu instid0(SALU_CYCLE_1)
	s_and_b32 vcc_lo, exec_lo, s8
	s_cbranch_vccnz .LBB96_2
; %bb.1:
	s_load_b32 s19, s[2:3], 0x0
.LBB96_2:
	s_wait_xcnt 0x0
	s_load_b64 s[2:3], s[0:1], 0x8
	s_bitcmp1_b32 s6, 8
	s_cselect_b32 s20, -1, 0
	s_delay_alu instid0(SALU_CYCLE_1) | instskip(SKIP_2) | instid1(SALU_CYCLE_1)
	s_and_b32 s6, s20, exec_lo
	s_cselect_b32 s18, s4, 0
	s_xor_b32 s6, s20, -1
	s_or_b32 s6, s7, s6
	s_delay_alu instid0(SALU_CYCLE_1)
	s_and_b32 vcc_lo, exec_lo, s6
	s_cbranch_vccnz .LBB96_4
; %bb.3:
	s_load_b32 s18, s[4:5], 0x0
.LBB96_4:
	s_clause 0x4
	s_load_b64 s[48:49], s[0:1], 0x0
	s_load_b64 s[16:17], s[0:1], 0x10
	;; [unrolled: 1-line block ×3, first 2 shown]
	s_load_b256 s[36:43], s[0:1], 0x58
	s_load_b128 s[12:15], s[0:1], 0x40
	s_wait_xcnt 0x0
	s_load_b256 s[4:11], s[0:1], 0x20
	v_lshl_add_u32 v18, v0, 3, 0
	v_lshlrev_b32_e32 v1, 2, v0
	v_or_b32_e32 v20, 0xfffffc00, v0
	s_wait_xcnt 0x0
	s_mov_b32 s0, 0
	v_mov_b32_e32 v4, v18
	v_add3_u32 v19, v1, 0, 0x40000
	v_dual_mov_b32 v1, 0 :: v_dual_mov_b32 v6, v20
	s_delay_alu instid0(VALU_DEP_2)
	v_mov_b32_e32 v5, v19
	s_wait_kmcnt 0x0
	v_mov_b64_e32 v[2:3], s[48:49]
.LBB96_5:                               ; =>This Inner Loop Header: Depth=1
	s_delay_alu instid0(VALU_DEP_3)
	v_add_nc_u32_e32 v6, 0x400, v6
	ds_store_b64 v4, v[2:3]
	ds_store_b32 v5, v1
	v_add_nc_u32_e32 v5, 0x1000, v5
	v_add_nc_u32_e32 v4, 0x2000, v4
	v_cmp_lt_u32_e32 vcc_lo, 0x7bff, v6
	s_or_b32 s0, vcc_lo, s0
	s_delay_alu instid0(SALU_CYCLE_1)
	s_and_not1_b32 exec_lo, exec_lo, s0
	s_cbranch_execnz .LBB96_5
; %bb.6:
	s_or_b32 exec_lo, exec_lo, s0
	s_wait_dscnt 0x0
	s_barrier_signal -1
	s_barrier_wait -1
	s_load_b64 s[0:1], s[2:3], 0x0
	s_wait_xcnt 0x0
	s_bfe_u32 s2, ttmp6, 0x4000c
	s_and_b32 s3, ttmp6, 15
	s_add_co_i32 s2, s2, 1
	s_getreg_b32 s22, hwreg(HW_REG_IB_STS2, 6, 4)
	s_mul_i32 s2, ttmp9, s2
	s_delay_alu instid0(SALU_CYCLE_1)
	s_add_co_i32 s3, s3, s2
	s_wait_kmcnt 0x0
	s_lshl_b64 s[0:1], s[0:1], 3
	s_cmp_eq_u32 s22, 0
	s_add_nc_u64 s[0:1], s[16:17], s[0:1]
	s_cselect_b32 s2, ttmp9, s3
	s_and_b32 vcc_lo, exec_lo, s21
	s_load_b64 s[50:51], s[0:1], s2 offset:0x0 scale_offset
	s_wait_xcnt 0x0
	s_mov_b32 s1, 0
	s_cbranch_vccz .LBB96_26
; %bb.7:
	s_wait_kmcnt 0x0
	s_lshl_b64 s[2:3], s[50:51], 3
	v_dual_mov_b32 v5, 0 :: v_dual_lshrrev_b32 v4, 6, v0
	s_add_nc_u64 s[2:3], s[4:5], s[2:3]
	s_mov_b32 s0, s44
	s_load_b128 s[24:27], s[2:3], 0x0
	s_mov_b32 s16, exec_lo
	v_sub_nc_u64_e64 v[2:3], v[4:5], s[0:1]
	s_wait_kmcnt 0x0
	s_delay_alu instid0(VALU_DEP_1)
	v_add_nc_u64_e32 v[2:3], s[24:25], v[2:3]
	s_sub_nc_u64 s[2:3], s[26:27], s[0:1]
	s_delay_alu instid0(VALU_DEP_1) | instid1(SALU_CYCLE_1)
	v_cmpx_gt_i64_e64 s[2:3], v[2:3]
	s_cbranch_execz .LBB96_25
; %bb.8:
	v_and_b32_e32 v4, 63, v0
	s_mov_b32 s5, 0
	s_mov_b32 s4, s45
	;; [unrolled: 1-line block ×3, first 2 shown]
	s_delay_alu instid0(VALU_DEP_1)
	v_sub_nc_u64_e64 v[4:5], v[4:5], s[4:5]
	s_branch .LBB96_10
.LBB96_9:                               ;   in Loop: Header=BB96_10 Depth=1
	s_or_b32 exec_lo, exec_lo, s21
	v_add_nc_u64_e32 v[2:3], 16, v[2:3]
	s_delay_alu instid0(VALU_DEP_1) | instskip(SKIP_1) | instid1(SALU_CYCLE_1)
	v_cmp_le_i64_e32 vcc_lo, s[2:3], v[2:3]
	s_or_b32 s17, vcc_lo, s17
	s_and_not1_b32 exec_lo, exec_lo, s17
	s_cbranch_execz .LBB96_25
.LBB96_10:                              ; =>This Loop Header: Depth=1
                                        ;     Child Loop BB96_14 Depth 2
                                        ;       Child Loop BB96_17 Depth 3
	v_lshl_add_u64 v[6:7], v[2:3], 3, s[6:7]
	s_mov_b32 s21, exec_lo
	global_load_b64 v[6:7], v[6:7], off
	s_wait_loadcnt 0x0
	s_wait_xcnt 0x0
	v_sub_nc_u64_e64 v[6:7], v[6:7], s[0:1]
	s_delay_alu instid0(VALU_DEP_1)
	v_lshl_add_u64 v[6:7], v[6:7], 3, s[10:11]
	global_load_b128 v[8:11], v[6:7], off
	s_wait_loadcnt 0x0
	s_wait_xcnt 0x0
	v_sub_nc_u64_e64 v[6:7], v[10:11], s[4:5]
	v_add_nc_u64_e32 v[8:9], v[8:9], v[4:5]
	s_delay_alu instid0(VALU_DEP_1)
	v_cmpx_lt_i64_e64 v[8:9], v[6:7]
	s_cbranch_execz .LBB96_9
; %bb.11:                               ;   in Loop: Header=BB96_10 Depth=1
	v_lshl_add_u64 v[10:11], v[2:3], 2, s[8:9]
	s_mov_b32 s22, 0
	global_load_b32 v1, v[10:11], off
	s_wait_loadcnt 0x0
	v_mul_f32_e32 v1, s19, v1
	s_branch .LBB96_14
.LBB96_12:                              ;   in Loop: Header=BB96_14 Depth=2
	s_or_b32 exec_lo, exec_lo, s24
.LBB96_13:                              ;   in Loop: Header=BB96_14 Depth=2
	s_delay_alu instid0(SALU_CYCLE_1) | instskip(SKIP_3) | instid1(VALU_DEP_2)
	s_or_b32 exec_lo, exec_lo, s23
	s_wait_loadcnt 0x0
	v_dual_mul_f32 v11, v1, v21 :: v_dual_lshlrev_b32 v10, 2, v10
	v_add_nc_u64_e32 v[8:9], 64, v[8:9]
	v_add3_u32 v10, 0, v10, 0x40000
	s_delay_alu instid0(VALU_DEP_2) | instskip(SKIP_2) | instid1(SALU_CYCLE_1)
	v_cmp_ge_i64_e32 vcc_lo, v[8:9], v[6:7]
	ds_add_f32 v10, v11
	s_or_b32 s22, vcc_lo, s22
	s_and_not1_b32 exec_lo, exec_lo, s22
	s_cbranch_execz .LBB96_9
.LBB96_14:                              ;   Parent Loop BB96_10 Depth=1
                                        ; =>  This Loop Header: Depth=2
                                        ;       Child Loop BB96_17 Depth 3
	s_wait_xcnt 0x0
	v_lshl_add_u64 v[10:11], v[8:9], 3, s[12:13]
	v_lshl_add_u64 v[12:13], v[8:9], 2, s[14:15]
	s_mov_b32 s23, exec_lo
	global_load_b64 v[10:11], v[10:11], off
	global_load_b32 v21, v[12:13], off
	s_wait_loadcnt 0x1
	s_wait_xcnt 0x0
	v_sub_nc_u64_e64 v[12:13], v[10:11], s[4:5]
	s_delay_alu instid0(VALU_DEP_1) | instskip(NEXT) | instid1(VALU_DEP_1)
	v_mul_lo_u32 v10, 0x89, v12
	v_and_b32_e32 v10, 0x7fff, v10
	s_delay_alu instid0(VALU_DEP_1)
	v_lshl_add_u32 v22, v10, 3, 0
	ds_load_b64 v[16:17], v22
	s_wait_dscnt 0x0
	v_cmpx_ne_u64_e64 v[16:17], v[12:13]
	s_cbranch_execz .LBB96_13
; %bb.15:                               ;   in Loop: Header=BB96_14 Depth=2
	s_mov_b32 s24, 0
                                        ; implicit-def: $sgpr25
                                        ; implicit-def: $sgpr26
	s_branch .LBB96_17
.LBB96_16:                              ;   in Loop: Header=BB96_17 Depth=3
	s_or_b32 exec_lo, exec_lo, s29
	s_delay_alu instid0(SALU_CYCLE_1) | instskip(NEXT) | instid1(SALU_CYCLE_1)
	s_and_b32 s27, exec_lo, s28
	s_or_b32 s24, s27, s24
	s_and_not1_b32 s25, s25, exec_lo
	s_and_b32 s27, s26, exec_lo
	s_delay_alu instid0(SALU_CYCLE_1)
	s_or_b32 s25, s25, s27
	s_and_not1_b32 exec_lo, exec_lo, s24
	s_cbranch_execz .LBB96_23
.LBB96_17:                              ;   Parent Loop BB96_10 Depth=1
                                        ;     Parent Loop BB96_14 Depth=2
                                        ; =>    This Inner Loop Header: Depth=3
	v_mov_b64_e32 v[14:15], v[10:11]
	s_mov_b32 s27, 0
	s_mov_b32 s28, exec_lo
                                        ; implicit-def: $vgpr10_vgpr11
	v_cmpx_ne_u64_e64 s[48:49], v[16:17]
	s_xor_b32 s28, exec_lo, s28
; %bb.18:                               ;   in Loop: Header=BB96_17 Depth=3
	s_delay_alu instid0(VALU_DEP_2) | instskip(SKIP_1) | instid1(VALU_DEP_1)
	v_add_nc_u32_e32 v10, 1, v14
	s_mov_b32 s27, exec_lo
                                        ; implicit-def: $vgpr22
	v_and_b32_e32 v10, 0x7fff, v10
; %bb.19:                               ;   in Loop: Header=BB96_17 Depth=3
	s_and_not1_saveexec_b32 s28, s28
	s_cbranch_execz .LBB96_21
; %bb.20:                               ;   in Loop: Header=BB96_17 Depth=3
	v_mov_b64_e32 v[10:11], s[48:49]
	s_and_not1_b32 s27, s27, exec_lo
	ds_cmpstore_rtn_b64 v[10:11], v22, v[12:13], v[10:11]
	s_wait_dscnt 0x0
	v_cmp_ne_u64_e32 vcc_lo, s[48:49], v[10:11]
	v_mov_b64_e32 v[10:11], v[14:15]
	s_and_b32 s29, vcc_lo, exec_lo
	s_delay_alu instid0(SALU_CYCLE_1)
	s_or_b32 s27, s27, s29
.LBB96_21:                              ;   in Loop: Header=BB96_17 Depth=3
	s_or_b32 exec_lo, exec_lo, s28
	s_mov_b32 s28, -1
	s_or_b32 s26, s26, exec_lo
                                        ; implicit-def: $vgpr22
                                        ; implicit-def: $vgpr16_vgpr17
	s_and_saveexec_b32 s29, s27
	s_cbranch_execz .LBB96_16
; %bb.22:                               ;   in Loop: Header=BB96_17 Depth=3
	v_lshl_add_u32 v22, v10, 3, 0
	s_and_not1_b32 s26, s26, exec_lo
	ds_load_b64 v[16:17], v22
	s_wait_dscnt 0x0
	v_cmp_eq_u64_e32 vcc_lo, v[16:17], v[12:13]
	s_or_not1_b32 s28, vcc_lo, exec_lo
	s_branch .LBB96_16
.LBB96_23:                              ;   in Loop: Header=BB96_14 Depth=2
	s_or_b32 exec_lo, exec_lo, s24
	s_and_saveexec_b32 s24, s25
	s_delay_alu instid0(SALU_CYCLE_1)
	s_xor_b32 s24, exec_lo, s24
	s_cbranch_execz .LBB96_12
; %bb.24:                               ;   in Loop: Header=BB96_14 Depth=2
	v_mov_b32_e32 v10, v14
	s_branch .LBB96_12
.LBB96_25:
	s_or_b32 exec_lo, exec_lo, s16
.LBB96_26:
	s_delay_alu instid0(SALU_CYCLE_1)
	s_and_not1_b32 vcc_lo, exec_lo, s20
	s_cbranch_vccnz .LBB96_43
; %bb.27:
	s_wait_kmcnt 0x0
	s_lshl_b64 s[0:1], s[50:51], 3
	v_mov_b32_e32 v1, 0
	s_add_nc_u64 s[0:1], s[36:37], s[0:1]
	s_load_b128 s[4:7], s[0:1], 0x0
	s_wait_xcnt 0x0
	s_mov_b32 s1, 0
	s_mov_b32 s0, s47
	s_delay_alu instid0(SALU_CYCLE_1) | instskip(SKIP_1) | instid1(VALU_DEP_1)
	v_sub_nc_u64_e64 v[2:3], v[0:1], s[0:1]
	s_wait_kmcnt 0x0
	v_add_nc_u64_e32 v[2:3], s[4:5], v[2:3]
	s_sub_nc_u64 s[2:3], s[6:7], s[0:1]
	s_mov_b32 s4, exec_lo
	s_delay_alu instid0(VALU_DEP_1)
	v_cmpx_gt_i64_e64 s[2:3], v[2:3]
	s_cbranch_execz .LBB96_42
; %bb.28:
	s_mov_b32 s5, s1
	s_branch .LBB96_31
.LBB96_29:                              ;   in Loop: Header=BB96_31 Depth=1
	s_or_b32 exec_lo, exec_lo, s7
.LBB96_30:                              ;   in Loop: Header=BB96_31 Depth=1
	s_delay_alu instid0(SALU_CYCLE_1) | instskip(SKIP_3) | instid1(VALU_DEP_2)
	s_or_b32 exec_lo, exec_lo, s6
	s_wait_loadcnt 0x0
	v_dual_mul_f32 v1, s18, v1 :: v_dual_lshlrev_b32 v4, 2, v4
	v_add_nc_u64_e32 v[2:3], 0x400, v[2:3]
	v_add3_u32 v4, 0, v4, 0x40000
	s_delay_alu instid0(VALU_DEP_2) | instskip(SKIP_2) | instid1(SALU_CYCLE_1)
	v_cmp_le_i64_e32 vcc_lo, s[2:3], v[2:3]
	ds_add_f32 v4, v1
	s_or_b32 s5, vcc_lo, s5
	s_and_not1_b32 exec_lo, exec_lo, s5
	s_cbranch_execz .LBB96_42
.LBB96_31:                              ; =>This Loop Header: Depth=1
                                        ;     Child Loop BB96_34 Depth 2
	v_lshl_add_u64 v[4:5], v[2:3], 3, s[38:39]
	v_lshl_add_u64 v[6:7], v[2:3], 2, s[40:41]
	s_mov_b32 s6, exec_lo
	global_load_b64 v[4:5], v[4:5], off
	global_load_b32 v1, v[6:7], off
	s_wait_loadcnt 0x1
	s_wait_xcnt 0x0
	v_sub_nc_u64_e64 v[6:7], v[4:5], s[0:1]
	s_delay_alu instid0(VALU_DEP_1) | instskip(NEXT) | instid1(VALU_DEP_1)
	v_mul_lo_u32 v4, 0x89, v6
	v_and_b32_e32 v4, 0x7fff, v4
	s_delay_alu instid0(VALU_DEP_1)
	v_lshl_add_u32 v12, v4, 3, 0
	ds_load_b64 v[10:11], v12
	s_wait_dscnt 0x0
	v_cmpx_ne_u64_e64 v[10:11], v[6:7]
	s_cbranch_execz .LBB96_30
; %bb.32:                               ;   in Loop: Header=BB96_31 Depth=1
	s_mov_b32 s7, 0
                                        ; implicit-def: $sgpr8
                                        ; implicit-def: $sgpr9
	s_branch .LBB96_34
.LBB96_33:                              ;   in Loop: Header=BB96_34 Depth=2
	s_or_b32 exec_lo, exec_lo, s12
	s_delay_alu instid0(SALU_CYCLE_1) | instskip(NEXT) | instid1(SALU_CYCLE_1)
	s_and_b32 s10, exec_lo, s11
	s_or_b32 s7, s10, s7
	s_and_not1_b32 s8, s8, exec_lo
	s_and_b32 s10, s9, exec_lo
	s_delay_alu instid0(SALU_CYCLE_1)
	s_or_b32 s8, s8, s10
	s_and_not1_b32 exec_lo, exec_lo, s7
	s_cbranch_execz .LBB96_40
.LBB96_34:                              ;   Parent Loop BB96_31 Depth=1
                                        ; =>  This Inner Loop Header: Depth=2
	v_mov_b64_e32 v[8:9], v[4:5]
	s_mov_b32 s10, 0
	s_mov_b32 s11, exec_lo
                                        ; implicit-def: $vgpr4_vgpr5
	v_cmpx_ne_u64_e64 s[48:49], v[10:11]
	s_xor_b32 s11, exec_lo, s11
; %bb.35:                               ;   in Loop: Header=BB96_34 Depth=2
	s_delay_alu instid0(VALU_DEP_2) | instskip(SKIP_1) | instid1(VALU_DEP_1)
	v_add_nc_u32_e32 v4, 1, v8
	s_mov_b32 s10, exec_lo
                                        ; implicit-def: $vgpr12
	v_and_b32_e32 v4, 0x7fff, v4
; %bb.36:                               ;   in Loop: Header=BB96_34 Depth=2
	s_and_not1_saveexec_b32 s11, s11
	s_cbranch_execz .LBB96_38
; %bb.37:                               ;   in Loop: Header=BB96_34 Depth=2
	v_mov_b64_e32 v[4:5], s[48:49]
	s_and_not1_b32 s10, s10, exec_lo
	ds_cmpstore_rtn_b64 v[4:5], v12, v[6:7], v[4:5]
	s_wait_dscnt 0x0
	v_cmp_ne_u64_e32 vcc_lo, s[48:49], v[4:5]
	v_mov_b64_e32 v[4:5], v[8:9]
	s_and_b32 s12, vcc_lo, exec_lo
	s_delay_alu instid0(SALU_CYCLE_1)
	s_or_b32 s10, s10, s12
.LBB96_38:                              ;   in Loop: Header=BB96_34 Depth=2
	s_or_b32 exec_lo, exec_lo, s11
	s_mov_b32 s11, -1
	s_or_b32 s9, s9, exec_lo
                                        ; implicit-def: $vgpr12
                                        ; implicit-def: $vgpr10_vgpr11
	s_and_saveexec_b32 s12, s10
	s_cbranch_execz .LBB96_33
; %bb.39:                               ;   in Loop: Header=BB96_34 Depth=2
	v_lshl_add_u32 v12, v4, 3, 0
	s_and_not1_b32 s9, s9, exec_lo
	ds_load_b64 v[10:11], v12
	s_wait_dscnt 0x0
	v_cmp_eq_u64_e32 vcc_lo, v[10:11], v[6:7]
	s_or_not1_b32 s11, vcc_lo, exec_lo
	s_branch .LBB96_33
.LBB96_40:                              ;   in Loop: Header=BB96_31 Depth=1
	s_or_b32 exec_lo, exec_lo, s7
	s_and_saveexec_b32 s7, s8
	s_delay_alu instid0(SALU_CYCLE_1)
	s_xor_b32 s7, exec_lo, s7
	s_cbranch_execz .LBB96_29
; %bb.41:                               ;   in Loop: Header=BB96_31 Depth=1
	v_mov_b32_e32 v4, v8
	s_branch .LBB96_29
.LBB96_42:
	s_or_b32 exec_lo, exec_lo, s4
.LBB96_43:
	v_mbcnt_lo_u32_b32 v1, -1, 0
	v_lshrrev_b32_e32 v2, 2, v0
	v_mov_b64_e32 v[6:7], 0
	v_mov_b32_e32 v3, 0
	v_cmp_lt_u32_e64 s0, 31, v0
	v_xor_b32_e32 v1, 31, v1
	v_and_b32_e32 v2, 0xf8, v2
	v_cmp_lt_u32_e64 s1, 63, v0
	v_cmp_lt_u32_e64 s2, 0x5f, v0
	;; [unrolled: 1-line block ×3, first 2 shown]
	v_lshrrev_b32_e64 v4, v1, -1
	v_add3_u32 v1, 0x60000, 0, v2
	v_cmp_lt_u32_e64 s4, 0x9f, v0
	v_cmp_lt_u32_e64 s5, 0xbf, v0
	;; [unrolled: 1-line block ×27, first 2 shown]
	s_mov_b32 s33, 0
	s_add_co_i32 s36, 0, 0x60000
	s_add_co_i32 s37, 0, 0x60008
	;; [unrolled: 1-line block ×32, first 2 shown]
	s_wait_dscnt 0x0
	s_barrier_signal -1
	s_barrier_wait -1
	v_cmp_eq_u32_e32 vcc_lo, 0x3ff, v0
	s_branch .LBB96_45
.LBB96_44:                              ;   in Loop: Header=BB96_45 Depth=1
	s_or_b32 exec_lo, exec_lo, s31
	v_dual_mov_b32 v2, s74 :: v_dual_add_nc_u32 v19, 0x1000, v19
	s_wait_dscnt 0x0
	s_barrier_signal -1
	s_barrier_wait -1
	ds_load_b64 v[8:9], v2
	v_add_nc_u32_e32 v20, 0x400, v20
	v_add_nc_u32_e32 v18, 0x2000, v18
	s_delay_alu instid0(VALU_DEP_2)
	v_cmp_lt_u32_e64 s31, 0x7bff, v20
	s_or_b32 s33, s31, s33
	s_wait_dscnt 0x0
	v_add_nc_u64_e32 v[6:7], v[8:9], v[6:7]
	s_and_not1_b32 exec_lo, exec_lo, s33
	s_cbranch_execz .LBB96_111
.LBB96_45:                              ; =>This Inner Loop Header: Depth=1
	ds_load_b64 v[8:9], v18
	ds_load_b32 v5, v19
	s_wait_dscnt 0x0
	s_barrier_signal -1
	s_barrier_wait -1
	v_cmp_gt_i64_e64 s31, s[48:49], v[8:9]
	s_bcnt1_i32_b32 s75, s31
	s_delay_alu instid0(SALU_CYCLE_1) | instskip(NEXT) | instid1(VALU_DEP_1)
	v_dual_mov_b32 v2, s75 :: v_dual_bitop2_b32 v10, s31, v4 bitop3:0x40
	v_bcnt_u32_b32 v10, v10, 0
	ds_store_b64 v1, v[2:3]
	s_wait_dscnt 0x0
	s_barrier_signal -1
	s_barrier_wait -1
	s_and_saveexec_b32 s75, s0
	s_cbranch_execnz .LBB96_78
; %bb.46:                               ;   in Loop: Header=BB96_45 Depth=1
	s_or_b32 exec_lo, exec_lo, s75
	s_and_saveexec_b32 s75, s1
	s_cbranch_execnz .LBB96_79
.LBB96_47:                              ;   in Loop: Header=BB96_45 Depth=1
	s_or_b32 exec_lo, exec_lo, s75
	s_and_saveexec_b32 s75, s2
	s_cbranch_execnz .LBB96_80
.LBB96_48:                              ;   in Loop: Header=BB96_45 Depth=1
	s_or_b32 exec_lo, exec_lo, s75
	s_and_saveexec_b32 s75, s3
	s_cbranch_execnz .LBB96_81
.LBB96_49:                              ;   in Loop: Header=BB96_45 Depth=1
	s_or_b32 exec_lo, exec_lo, s75
	s_and_saveexec_b32 s75, s4
	s_cbranch_execnz .LBB96_82
.LBB96_50:                              ;   in Loop: Header=BB96_45 Depth=1
	s_or_b32 exec_lo, exec_lo, s75
	s_and_saveexec_b32 s75, s5
	s_cbranch_execnz .LBB96_83
.LBB96_51:                              ;   in Loop: Header=BB96_45 Depth=1
	s_or_b32 exec_lo, exec_lo, s75
	s_and_saveexec_b32 s75, s6
	s_cbranch_execnz .LBB96_84
.LBB96_52:                              ;   in Loop: Header=BB96_45 Depth=1
	s_or_b32 exec_lo, exec_lo, s75
	s_and_saveexec_b32 s75, s7
	s_cbranch_execnz .LBB96_85
.LBB96_53:                              ;   in Loop: Header=BB96_45 Depth=1
	s_or_b32 exec_lo, exec_lo, s75
	s_and_saveexec_b32 s75, s8
	s_cbranch_execnz .LBB96_86
.LBB96_54:                              ;   in Loop: Header=BB96_45 Depth=1
	s_or_b32 exec_lo, exec_lo, s75
	s_and_saveexec_b32 s75, s9
	s_cbranch_execnz .LBB96_87
.LBB96_55:                              ;   in Loop: Header=BB96_45 Depth=1
	s_or_b32 exec_lo, exec_lo, s75
	s_and_saveexec_b32 s75, s10
	s_cbranch_execnz .LBB96_88
.LBB96_56:                              ;   in Loop: Header=BB96_45 Depth=1
	s_or_b32 exec_lo, exec_lo, s75
	s_and_saveexec_b32 s75, s11
	s_cbranch_execnz .LBB96_89
.LBB96_57:                              ;   in Loop: Header=BB96_45 Depth=1
	s_or_b32 exec_lo, exec_lo, s75
	s_and_saveexec_b32 s75, s12
	s_cbranch_execnz .LBB96_90
.LBB96_58:                              ;   in Loop: Header=BB96_45 Depth=1
	s_or_b32 exec_lo, exec_lo, s75
	s_and_saveexec_b32 s75, s13
	s_cbranch_execnz .LBB96_91
.LBB96_59:                              ;   in Loop: Header=BB96_45 Depth=1
	s_or_b32 exec_lo, exec_lo, s75
	s_and_saveexec_b32 s75, s14
	s_cbranch_execnz .LBB96_92
.LBB96_60:                              ;   in Loop: Header=BB96_45 Depth=1
	s_or_b32 exec_lo, exec_lo, s75
	s_and_saveexec_b32 s75, s15
	s_cbranch_execnz .LBB96_93
.LBB96_61:                              ;   in Loop: Header=BB96_45 Depth=1
	s_or_b32 exec_lo, exec_lo, s75
	s_and_saveexec_b32 s75, s16
	s_cbranch_execnz .LBB96_94
.LBB96_62:                              ;   in Loop: Header=BB96_45 Depth=1
	s_or_b32 exec_lo, exec_lo, s75
	s_and_saveexec_b32 s75, s17
	s_cbranch_execnz .LBB96_95
.LBB96_63:                              ;   in Loop: Header=BB96_45 Depth=1
	s_or_b32 exec_lo, exec_lo, s75
	s_and_saveexec_b32 s75, s18
	s_cbranch_execnz .LBB96_96
.LBB96_64:                              ;   in Loop: Header=BB96_45 Depth=1
	s_or_b32 exec_lo, exec_lo, s75
	s_and_saveexec_b32 s75, s19
	s_cbranch_execnz .LBB96_97
.LBB96_65:                              ;   in Loop: Header=BB96_45 Depth=1
	s_or_b32 exec_lo, exec_lo, s75
	s_and_saveexec_b32 s75, s20
	s_cbranch_execnz .LBB96_98
.LBB96_66:                              ;   in Loop: Header=BB96_45 Depth=1
	s_or_b32 exec_lo, exec_lo, s75
	s_and_saveexec_b32 s75, s21
	s_cbranch_execnz .LBB96_99
.LBB96_67:                              ;   in Loop: Header=BB96_45 Depth=1
	s_or_b32 exec_lo, exec_lo, s75
	s_and_saveexec_b32 s75, s22
	s_cbranch_execnz .LBB96_100
.LBB96_68:                              ;   in Loop: Header=BB96_45 Depth=1
	s_or_b32 exec_lo, exec_lo, s75
	s_and_saveexec_b32 s75, s23
	s_cbranch_execnz .LBB96_101
.LBB96_69:                              ;   in Loop: Header=BB96_45 Depth=1
	s_or_b32 exec_lo, exec_lo, s75
	s_and_saveexec_b32 s75, s24
	s_cbranch_execnz .LBB96_102
.LBB96_70:                              ;   in Loop: Header=BB96_45 Depth=1
	s_or_b32 exec_lo, exec_lo, s75
	s_and_saveexec_b32 s75, s25
	s_cbranch_execnz .LBB96_103
.LBB96_71:                              ;   in Loop: Header=BB96_45 Depth=1
	s_or_b32 exec_lo, exec_lo, s75
	s_and_saveexec_b32 s75, s26
	s_cbranch_execnz .LBB96_104
.LBB96_72:                              ;   in Loop: Header=BB96_45 Depth=1
	s_or_b32 exec_lo, exec_lo, s75
	s_and_saveexec_b32 s75, s27
	s_cbranch_execnz .LBB96_105
.LBB96_73:                              ;   in Loop: Header=BB96_45 Depth=1
	s_or_b32 exec_lo, exec_lo, s75
	s_and_saveexec_b32 s75, s28
	s_cbranch_execnz .LBB96_106
.LBB96_74:                              ;   in Loop: Header=BB96_45 Depth=1
	s_or_b32 exec_lo, exec_lo, s75
	s_and_saveexec_b32 s75, s29
	s_cbranch_execnz .LBB96_107
.LBB96_75:                              ;   in Loop: Header=BB96_45 Depth=1
	s_or_b32 exec_lo, exec_lo, s75
	s_and_saveexec_b32 s75, s30
	s_cbranch_execnz .LBB96_108
.LBB96_76:                              ;   in Loop: Header=BB96_45 Depth=1
	s_or_b32 exec_lo, exec_lo, s75
	v_ashrrev_i32_e32 v11, 31, v10
	s_and_saveexec_b32 s75, s31
	s_cbranch_execnz .LBB96_109
.LBB96_77:                              ;   in Loop: Header=BB96_45 Depth=1
	s_or_b32 exec_lo, exec_lo, s75
	s_and_saveexec_b32 s31, vcc_lo
	s_cbranch_execz .LBB96_44
	s_branch .LBB96_110
.LBB96_78:                              ;   in Loop: Header=BB96_45 Depth=1
	v_mov_b32_e32 v2, s36
	ds_load_b32 v2, v2
	s_wait_dscnt 0x0
	v_add_nc_u32_e32 v10, v2, v10
	s_or_b32 exec_lo, exec_lo, s75
	s_and_saveexec_b32 s75, s1
	s_cbranch_execz .LBB96_47
.LBB96_79:                              ;   in Loop: Header=BB96_45 Depth=1
	v_mov_b32_e32 v2, s37
	ds_load_b32 v2, v2
	s_wait_dscnt 0x0
	v_add_nc_u32_e32 v10, v10, v2
	s_or_b32 exec_lo, exec_lo, s75
	s_and_saveexec_b32 s75, s2
	s_cbranch_execz .LBB96_48
.LBB96_80:                              ;   in Loop: Header=BB96_45 Depth=1
	v_mov_b32_e32 v2, s38
	ds_load_b32 v2, v2
	s_wait_dscnt 0x0
	v_add_nc_u32_e32 v10, v10, v2
	s_or_b32 exec_lo, exec_lo, s75
	s_and_saveexec_b32 s75, s3
	s_cbranch_execz .LBB96_49
.LBB96_81:                              ;   in Loop: Header=BB96_45 Depth=1
	v_mov_b32_e32 v2, s39
	ds_load_b32 v2, v2
	s_wait_dscnt 0x0
	v_add_nc_u32_e32 v10, v10, v2
	s_or_b32 exec_lo, exec_lo, s75
	s_and_saveexec_b32 s75, s4
	s_cbranch_execz .LBB96_50
.LBB96_82:                              ;   in Loop: Header=BB96_45 Depth=1
	v_mov_b32_e32 v2, s40
	ds_load_b32 v2, v2
	s_wait_dscnt 0x0
	v_add_nc_u32_e32 v10, v10, v2
	s_or_b32 exec_lo, exec_lo, s75
	s_and_saveexec_b32 s75, s5
	s_cbranch_execz .LBB96_51
.LBB96_83:                              ;   in Loop: Header=BB96_45 Depth=1
	v_mov_b32_e32 v2, s41
	ds_load_b32 v2, v2
	s_wait_dscnt 0x0
	v_add_nc_u32_e32 v10, v10, v2
	s_or_b32 exec_lo, exec_lo, s75
	s_and_saveexec_b32 s75, s6
	s_cbranch_execz .LBB96_52
.LBB96_84:                              ;   in Loop: Header=BB96_45 Depth=1
	v_mov_b32_e32 v2, s44
	ds_load_b32 v2, v2
	s_wait_dscnt 0x0
	v_add_nc_u32_e32 v10, v10, v2
	s_or_b32 exec_lo, exec_lo, s75
	s_and_saveexec_b32 s75, s7
	s_cbranch_execz .LBB96_53
.LBB96_85:                              ;   in Loop: Header=BB96_45 Depth=1
	v_mov_b32_e32 v2, s45
	ds_load_b32 v2, v2
	s_wait_dscnt 0x0
	v_add_nc_u32_e32 v10, v10, v2
	s_or_b32 exec_lo, exec_lo, s75
	s_and_saveexec_b32 s75, s8
	s_cbranch_execz .LBB96_54
.LBB96_86:                              ;   in Loop: Header=BB96_45 Depth=1
	v_mov_b32_e32 v2, s47
	ds_load_b32 v2, v2
	s_wait_dscnt 0x0
	v_add_nc_u32_e32 v10, v10, v2
	s_or_b32 exec_lo, exec_lo, s75
	s_and_saveexec_b32 s75, s9
	s_cbranch_execz .LBB96_55
.LBB96_87:                              ;   in Loop: Header=BB96_45 Depth=1
	v_mov_b32_e32 v2, s52
	ds_load_b32 v2, v2
	s_wait_dscnt 0x0
	v_add_nc_u32_e32 v10, v10, v2
	s_or_b32 exec_lo, exec_lo, s75
	s_and_saveexec_b32 s75, s10
	s_cbranch_execz .LBB96_56
.LBB96_88:                              ;   in Loop: Header=BB96_45 Depth=1
	v_mov_b32_e32 v2, s53
	ds_load_b32 v2, v2
	s_wait_dscnt 0x0
	v_add_nc_u32_e32 v10, v10, v2
	s_or_b32 exec_lo, exec_lo, s75
	s_and_saveexec_b32 s75, s11
	s_cbranch_execz .LBB96_57
.LBB96_89:                              ;   in Loop: Header=BB96_45 Depth=1
	v_mov_b32_e32 v2, s54
	ds_load_b32 v2, v2
	s_wait_dscnt 0x0
	v_add_nc_u32_e32 v10, v10, v2
	s_or_b32 exec_lo, exec_lo, s75
	s_and_saveexec_b32 s75, s12
	s_cbranch_execz .LBB96_58
.LBB96_90:                              ;   in Loop: Header=BB96_45 Depth=1
	v_mov_b32_e32 v2, s55
	ds_load_b32 v2, v2
	s_wait_dscnt 0x0
	v_add_nc_u32_e32 v10, v10, v2
	s_or_b32 exec_lo, exec_lo, s75
	s_and_saveexec_b32 s75, s13
	s_cbranch_execz .LBB96_59
.LBB96_91:                              ;   in Loop: Header=BB96_45 Depth=1
	v_mov_b32_e32 v2, s56
	ds_load_b32 v2, v2
	s_wait_dscnt 0x0
	v_add_nc_u32_e32 v10, v10, v2
	s_or_b32 exec_lo, exec_lo, s75
	s_and_saveexec_b32 s75, s14
	s_cbranch_execz .LBB96_60
.LBB96_92:                              ;   in Loop: Header=BB96_45 Depth=1
	v_mov_b32_e32 v2, s57
	ds_load_b32 v2, v2
	s_wait_dscnt 0x0
	v_add_nc_u32_e32 v10, v10, v2
	s_or_b32 exec_lo, exec_lo, s75
	s_and_saveexec_b32 s75, s15
	s_cbranch_execz .LBB96_61
.LBB96_93:                              ;   in Loop: Header=BB96_45 Depth=1
	v_mov_b32_e32 v2, s58
	ds_load_b32 v2, v2
	s_wait_dscnt 0x0
	v_add_nc_u32_e32 v10, v10, v2
	s_or_b32 exec_lo, exec_lo, s75
	s_and_saveexec_b32 s75, s16
	s_cbranch_execz .LBB96_62
.LBB96_94:                              ;   in Loop: Header=BB96_45 Depth=1
	v_mov_b32_e32 v2, s59
	ds_load_b32 v2, v2
	s_wait_dscnt 0x0
	v_add_nc_u32_e32 v10, v10, v2
	s_or_b32 exec_lo, exec_lo, s75
	s_and_saveexec_b32 s75, s17
	s_cbranch_execz .LBB96_63
.LBB96_95:                              ;   in Loop: Header=BB96_45 Depth=1
	v_mov_b32_e32 v2, s60
	ds_load_b32 v2, v2
	s_wait_dscnt 0x0
	v_add_nc_u32_e32 v10, v10, v2
	s_or_b32 exec_lo, exec_lo, s75
	s_and_saveexec_b32 s75, s18
	s_cbranch_execz .LBB96_64
.LBB96_96:                              ;   in Loop: Header=BB96_45 Depth=1
	v_mov_b32_e32 v2, s61
	ds_load_b32 v2, v2
	s_wait_dscnt 0x0
	v_add_nc_u32_e32 v10, v10, v2
	s_or_b32 exec_lo, exec_lo, s75
	s_and_saveexec_b32 s75, s19
	s_cbranch_execz .LBB96_65
.LBB96_97:                              ;   in Loop: Header=BB96_45 Depth=1
	v_mov_b32_e32 v2, s62
	ds_load_b32 v2, v2
	s_wait_dscnt 0x0
	v_add_nc_u32_e32 v10, v10, v2
	s_or_b32 exec_lo, exec_lo, s75
	s_and_saveexec_b32 s75, s20
	s_cbranch_execz .LBB96_66
.LBB96_98:                              ;   in Loop: Header=BB96_45 Depth=1
	v_mov_b32_e32 v2, s63
	ds_load_b32 v2, v2
	s_wait_dscnt 0x0
	v_add_nc_u32_e32 v10, v10, v2
	s_or_b32 exec_lo, exec_lo, s75
	s_and_saveexec_b32 s75, s21
	s_cbranch_execz .LBB96_67
.LBB96_99:                              ;   in Loop: Header=BB96_45 Depth=1
	v_mov_b32_e32 v2, s64
	ds_load_b32 v2, v2
	s_wait_dscnt 0x0
	v_add_nc_u32_e32 v10, v10, v2
	s_or_b32 exec_lo, exec_lo, s75
	s_and_saveexec_b32 s75, s22
	s_cbranch_execz .LBB96_68
.LBB96_100:                             ;   in Loop: Header=BB96_45 Depth=1
	v_mov_b32_e32 v2, s65
	ds_load_b32 v2, v2
	s_wait_dscnt 0x0
	v_add_nc_u32_e32 v10, v10, v2
	s_or_b32 exec_lo, exec_lo, s75
	s_and_saveexec_b32 s75, s23
	s_cbranch_execz .LBB96_69
.LBB96_101:                             ;   in Loop: Header=BB96_45 Depth=1
	v_mov_b32_e32 v2, s66
	ds_load_b32 v2, v2
	s_wait_dscnt 0x0
	v_add_nc_u32_e32 v10, v10, v2
	s_or_b32 exec_lo, exec_lo, s75
	s_and_saveexec_b32 s75, s24
	s_cbranch_execz .LBB96_70
.LBB96_102:                             ;   in Loop: Header=BB96_45 Depth=1
	v_mov_b32_e32 v2, s67
	ds_load_b32 v2, v2
	s_wait_dscnt 0x0
	v_add_nc_u32_e32 v10, v10, v2
	s_or_b32 exec_lo, exec_lo, s75
	s_and_saveexec_b32 s75, s25
	s_cbranch_execz .LBB96_71
.LBB96_103:                             ;   in Loop: Header=BB96_45 Depth=1
	v_mov_b32_e32 v2, s68
	ds_load_b32 v2, v2
	s_wait_dscnt 0x0
	v_add_nc_u32_e32 v10, v10, v2
	s_or_b32 exec_lo, exec_lo, s75
	s_and_saveexec_b32 s75, s26
	s_cbranch_execz .LBB96_72
.LBB96_104:                             ;   in Loop: Header=BB96_45 Depth=1
	v_mov_b32_e32 v2, s69
	ds_load_b32 v2, v2
	s_wait_dscnt 0x0
	v_add_nc_u32_e32 v10, v10, v2
	s_or_b32 exec_lo, exec_lo, s75
	s_and_saveexec_b32 s75, s27
	s_cbranch_execz .LBB96_73
.LBB96_105:                             ;   in Loop: Header=BB96_45 Depth=1
	v_mov_b32_e32 v2, s70
	ds_load_b32 v2, v2
	s_wait_dscnt 0x0
	v_add_nc_u32_e32 v10, v10, v2
	s_or_b32 exec_lo, exec_lo, s75
	s_and_saveexec_b32 s75, s28
	s_cbranch_execz .LBB96_74
.LBB96_106:                             ;   in Loop: Header=BB96_45 Depth=1
	v_mov_b32_e32 v2, s71
	ds_load_b32 v2, v2
	s_wait_dscnt 0x0
	v_add_nc_u32_e32 v10, v10, v2
	s_or_b32 exec_lo, exec_lo, s75
	s_and_saveexec_b32 s75, s29
	s_cbranch_execz .LBB96_75
.LBB96_107:                             ;   in Loop: Header=BB96_45 Depth=1
	v_mov_b32_e32 v2, s72
	ds_load_b32 v2, v2
	s_wait_dscnt 0x0
	v_add_nc_u32_e32 v10, v10, v2
	s_or_b32 exec_lo, exec_lo, s75
	s_and_saveexec_b32 s75, s30
	s_cbranch_execz .LBB96_76
.LBB96_108:                             ;   in Loop: Header=BB96_45 Depth=1
	v_mov_b32_e32 v2, s73
	ds_load_b32 v2, v2
	s_wait_dscnt 0x0
	v_add_nc_u32_e32 v10, v10, v2
	s_or_b32 exec_lo, exec_lo, s75
	s_delay_alu instid0(VALU_DEP_1)
	v_ashrrev_i32_e32 v11, 31, v10
	s_and_saveexec_b32 s75, s31
	s_cbranch_execz .LBB96_77
.LBB96_109:                             ;   in Loop: Header=BB96_45 Depth=1
	v_add3_u32 v2, v6, -1, v10
	s_delay_alu instid0(VALU_DEP_1) | instskip(SKIP_1) | instid1(VALU_DEP_2)
	v_lshlrev_b32_e32 v12, 2, v2
	v_lshl_add_u32 v2, v2, 3, 0
	v_add3_u32 v12, 0, v12, 0x40000
	ds_store_b64 v2, v[8:9]
	ds_store_b32 v12, v5
	s_or_b32 exec_lo, exec_lo, s75
	s_and_saveexec_b32 s31, vcc_lo
	s_cbranch_execz .LBB96_44
.LBB96_110:                             ;   in Loop: Header=BB96_45 Depth=1
	v_mov_b32_e32 v2, s74
	ds_store_b64 v2, v[10:11]
	s_branch .LBB96_44
.LBB96_111:
	s_or_b32 exec_lo, exec_lo, s33
	s_wait_kmcnt 0x0
	s_lshl_b64 s[0:1], s[50:51], 3
	v_mov_b32_e32 v1, 0
	s_add_nc_u64 s[4:5], s[42:43], s[0:1]
	s_mov_b32 s6, exec_lo
	s_load_b128 s[0:3], s[4:5], 0x0
	s_wait_kmcnt 0x0
	s_sub_nc_u64 s[4:5], s[2:3], s[0:1]
	s_delay_alu instid0(SALU_CYCLE_1)
	v_cmpx_gt_i64_e64 s[4:5], v[0:1]
	s_cbranch_execz .LBB96_121
; %bb.112:
	s_sub_nc_u64 s[8:9], s[0:1], s[2:3]
	s_and_b64 s[6:7], s[4:5], 7
	v_cmp_lt_u64_e64 s10, s[8:9], -7
	s_and_b64 s[2:3], s[4:5], -8
	s_mov_b32 s47, 0
	s_cmp_lg_u64 s[6:7], 0
	s_sub_nc_u64 s[0:1], s[0:1], s[46:47]
	s_cselect_b32 s11, -1, 0
	s_mov_b32 s12, 0
	s_branch .LBB96_114
.LBB96_113:                             ;   in Loop: Header=BB96_114 Depth=1
	v_add_nc_u64_e32 v[0:1], 0x400, v[0:1]
	s_wait_dscnt 0x1
	s_delay_alu instid0(VALU_DEP_2)
	v_lshl_add_u64 v[2:3], v[4:5], 2, s[34:35]
	s_wait_dscnt 0x0
	global_store_b32 v[2:3], v6, off
	v_cmp_le_i64_e32 vcc_lo, s[4:5], v[0:1]
	s_or_b32 s12, vcc_lo, s12
	s_wait_xcnt 0x0
	s_and_not1_b32 exec_lo, exec_lo, s12
	s_cbranch_execz .LBB96_121
.LBB96_114:                             ; =>This Loop Header: Depth=1
                                        ;     Child Loop BB96_116 Depth 2
                                        ;     Child Loop BB96_120 Depth 2
	v_lshlrev_b32_e32 v2, 2, v0
	v_lshl_add_u32 v3, v0, 3, 0
	s_and_not1_b32 vcc_lo, exec_lo, s10
	s_mov_b64 s[8:9], 0
	s_delay_alu instid0(VALU_DEP_2)
	v_add3_u32 v4, 0, v2, 0x40000
	ds_load_b64 v[2:3], v3
	ds_load_b32 v6, v4
	v_mov_b64_e32 v[4:5], s[0:1]
	s_cbranch_vccnz .LBB96_118
; %bb.115:                              ;   in Loop: Header=BB96_114 Depth=1
	v_mov_b64_e32 v[4:5], s[0:1]
	s_mov_b32 s13, 0
.LBB96_116:                             ;   Parent Loop BB96_114 Depth=1
                                        ; =>  This Inner Loop Header: Depth=2
	s_delay_alu instid0(SALU_CYCLE_1)
	v_dual_mov_b32 v7, s13 :: v_dual_mov_b32 v17, s47
	s_add_nc_u64 s[8:9], s[8:9], 8
	s_add_co_i32 s13, s13, 64
	s_cmp_eq_u64 s[2:3], s[8:9]
	ds_load_2addr_b64 v[8:11], v7 offset1:1
	ds_load_2addr_b64 v[12:15], v7 offset0:2 offset1:3
	s_wait_dscnt 0x1
	v_cmp_gt_i64_e32 vcc_lo, v[2:3], v[8:9]
	v_cndmask_b32_e64 v16, 0, 1, vcc_lo
	v_cmp_gt_i64_e32 vcc_lo, v[2:3], v[10:11]
	ds_load_2addr_b64 v[8:11], v7 offset0:4 offset1:5
	v_add_nc_u64_e32 v[4:5], v[4:5], v[16:17]
	v_cndmask_b32_e64 v18, 0, 1, vcc_lo
	s_wait_dscnt 0x1
	v_cmp_gt_i64_e32 vcc_lo, v[2:3], v[12:13]
	v_cndmask_b32_e64 v16, 0, 1, vcc_lo
	v_cmp_gt_i64_e32 vcc_lo, v[2:3], v[14:15]
	ds_load_2addr_b64 v[12:15], v7 offset0:6 offset1:7
	v_mov_b32_e32 v19, s47
	s_delay_alu instid0(VALU_DEP_1) | instskip(SKIP_4) | instid1(VALU_DEP_4)
	v_add_nc_u64_e32 v[4:5], v[4:5], v[18:19]
	v_cndmask_b32_e64 v18, 0, 1, vcc_lo
	s_wait_dscnt 0x1
	v_cmp_gt_i64_e32 vcc_lo, v[2:3], v[8:9]
	v_mov_b32_e32 v9, s47
	v_add_nc_u64_e32 v[4:5], v[4:5], v[16:17]
	v_cndmask_b32_e64 v16, 0, 1, vcc_lo
	v_cmp_gt_i64_e32 vcc_lo, v[2:3], v[10:11]
	v_mov_b32_e32 v11, s47
	s_delay_alu instid0(VALU_DEP_4) | instskip(SKIP_3) | instid1(VALU_DEP_3)
	v_add_nc_u64_e32 v[4:5], v[4:5], v[18:19]
	v_cndmask_b32_e64 v8, 0, 1, vcc_lo
	s_wait_dscnt 0x0
	v_cmp_gt_i64_e32 vcc_lo, v[2:3], v[12:13]
	v_add_nc_u64_e32 v[4:5], v[4:5], v[16:17]
	v_cndmask_b32_e64 v10, 0, 1, vcc_lo
	v_cmp_gt_i64_e32 vcc_lo, v[2:3], v[14:15]
	s_delay_alu instid0(VALU_DEP_3) | instskip(SKIP_1) | instid1(VALU_DEP_2)
	v_add_nc_u64_e32 v[4:5], v[4:5], v[8:9]
	v_cndmask_b32_e64 v8, 0, 1, vcc_lo
	v_add_nc_u64_e32 v[4:5], v[4:5], v[10:11]
	s_delay_alu instid0(VALU_DEP_1)
	v_add_nc_u64_e32 v[4:5], v[4:5], v[8:9]
	s_cbranch_scc0 .LBB96_116
; %bb.117:                              ;   in Loop: Header=BB96_114 Depth=1
	s_mov_b64 s[8:9], s[2:3]
.LBB96_118:                             ;   in Loop: Header=BB96_114 Depth=1
	s_and_not1_b32 vcc_lo, exec_lo, s11
	s_cbranch_vccnz .LBB96_113
; %bb.119:                              ;   in Loop: Header=BB96_114 Depth=1
	s_lshl_b32 s8, s8, 3
	s_delay_alu instid0(SALU_CYCLE_1)
	s_add_co_i32 s13, s8, 0
	s_mov_b64 s[8:9], s[6:7]
.LBB96_120:                             ;   Parent Loop BB96_114 Depth=1
                                        ; =>  This Inner Loop Header: Depth=2
	v_dual_mov_b32 v7, s13 :: v_dual_mov_b32 v11, s47
	s_add_nc_u64 s[8:9], s[8:9], -1
	s_add_co_i32 s13, s13, 8
	s_cmp_lg_u64 s[8:9], 0
	ds_load_b64 v[8:9], v7
	s_wait_dscnt 0x0
	v_cmp_gt_i64_e32 vcc_lo, v[2:3], v[8:9]
	v_cndmask_b32_e64 v10, 0, 1, vcc_lo
	s_delay_alu instid0(VALU_DEP_1)
	v_add_nc_u64_e32 v[4:5], v[4:5], v[10:11]
	s_cbranch_scc1 .LBB96_120
	s_branch .LBB96_113
.LBB96_121:
	s_endpgm
	.section	.rodata,"a",@progbits
	.p2align	6, 0x0
	.amdhsa_kernel _ZN9rocsparseL41csrgemm_numeric_fill_block_per_row_kernelILj1024ELj64ELj32768ELj137ELj32EllfEEvT5_PKS1_S3_NS_24const_host_device_scalarIT6_EEPKT4_S3_PKS5_S9_S3_SB_S6_S9_S3_SB_S9_S3_PS5_21rocsparse_index_base_SD_SD_SD_bbb
		.amdhsa_group_segment_fixed_size 0
		.amdhsa_private_segment_fixed_size 0
		.amdhsa_kernarg_size 156
		.amdhsa_user_sgpr_count 2
		.amdhsa_user_sgpr_dispatch_ptr 0
		.amdhsa_user_sgpr_queue_ptr 0
		.amdhsa_user_sgpr_kernarg_segment_ptr 1
		.amdhsa_user_sgpr_dispatch_id 0
		.amdhsa_user_sgpr_kernarg_preload_length 0
		.amdhsa_user_sgpr_kernarg_preload_offset 0
		.amdhsa_user_sgpr_private_segment_size 0
		.amdhsa_wavefront_size32 1
		.amdhsa_uses_dynamic_stack 0
		.amdhsa_enable_private_segment 0
		.amdhsa_system_sgpr_workgroup_id_x 1
		.amdhsa_system_sgpr_workgroup_id_y 0
		.amdhsa_system_sgpr_workgroup_id_z 0
		.amdhsa_system_sgpr_workgroup_info 0
		.amdhsa_system_vgpr_workitem_id 0
		.amdhsa_next_free_vgpr 23
		.amdhsa_next_free_sgpr 76
		.amdhsa_named_barrier_count 0
		.amdhsa_reserve_vcc 1
		.amdhsa_float_round_mode_32 0
		.amdhsa_float_round_mode_16_64 0
		.amdhsa_float_denorm_mode_32 3
		.amdhsa_float_denorm_mode_16_64 3
		.amdhsa_fp16_overflow 0
		.amdhsa_memory_ordered 1
		.amdhsa_forward_progress 1
		.amdhsa_inst_pref_size 36
		.amdhsa_round_robin_scheduling 0
		.amdhsa_exception_fp_ieee_invalid_op 0
		.amdhsa_exception_fp_denorm_src 0
		.amdhsa_exception_fp_ieee_div_zero 0
		.amdhsa_exception_fp_ieee_overflow 0
		.amdhsa_exception_fp_ieee_underflow 0
		.amdhsa_exception_fp_ieee_inexact 0
		.amdhsa_exception_int_div_zero 0
	.end_amdhsa_kernel
	.section	.text._ZN9rocsparseL41csrgemm_numeric_fill_block_per_row_kernelILj1024ELj64ELj32768ELj137ELj32EllfEEvT5_PKS1_S3_NS_24const_host_device_scalarIT6_EEPKT4_S3_PKS5_S9_S3_SB_S6_S9_S3_SB_S9_S3_PS5_21rocsparse_index_base_SD_SD_SD_bbb,"axG",@progbits,_ZN9rocsparseL41csrgemm_numeric_fill_block_per_row_kernelILj1024ELj64ELj32768ELj137ELj32EllfEEvT5_PKS1_S3_NS_24const_host_device_scalarIT6_EEPKT4_S3_PKS5_S9_S3_SB_S6_S9_S3_SB_S9_S3_PS5_21rocsparse_index_base_SD_SD_SD_bbb,comdat
.Lfunc_end96:
	.size	_ZN9rocsparseL41csrgemm_numeric_fill_block_per_row_kernelILj1024ELj64ELj32768ELj137ELj32EllfEEvT5_PKS1_S3_NS_24const_host_device_scalarIT6_EEPKT4_S3_PKS5_S9_S3_SB_S6_S9_S3_SB_S9_S3_PS5_21rocsparse_index_base_SD_SD_SD_bbb, .Lfunc_end96-_ZN9rocsparseL41csrgemm_numeric_fill_block_per_row_kernelILj1024ELj64ELj32768ELj137ELj32EllfEEvT5_PKS1_S3_NS_24const_host_device_scalarIT6_EEPKT4_S3_PKS5_S9_S3_SB_S6_S9_S3_SB_S9_S3_PS5_21rocsparse_index_base_SD_SD_SD_bbb
                                        ; -- End function
	.set _ZN9rocsparseL41csrgemm_numeric_fill_block_per_row_kernelILj1024ELj64ELj32768ELj137ELj32EllfEEvT5_PKS1_S3_NS_24const_host_device_scalarIT6_EEPKT4_S3_PKS5_S9_S3_SB_S6_S9_S3_SB_S9_S3_PS5_21rocsparse_index_base_SD_SD_SD_bbb.num_vgpr, 23
	.set _ZN9rocsparseL41csrgemm_numeric_fill_block_per_row_kernelILj1024ELj64ELj32768ELj137ELj32EllfEEvT5_PKS1_S3_NS_24const_host_device_scalarIT6_EEPKT4_S3_PKS5_S9_S3_SB_S6_S9_S3_SB_S9_S3_PS5_21rocsparse_index_base_SD_SD_SD_bbb.num_agpr, 0
	.set _ZN9rocsparseL41csrgemm_numeric_fill_block_per_row_kernelILj1024ELj64ELj32768ELj137ELj32EllfEEvT5_PKS1_S3_NS_24const_host_device_scalarIT6_EEPKT4_S3_PKS5_S9_S3_SB_S6_S9_S3_SB_S9_S3_PS5_21rocsparse_index_base_SD_SD_SD_bbb.numbered_sgpr, 76
	.set _ZN9rocsparseL41csrgemm_numeric_fill_block_per_row_kernelILj1024ELj64ELj32768ELj137ELj32EllfEEvT5_PKS1_S3_NS_24const_host_device_scalarIT6_EEPKT4_S3_PKS5_S9_S3_SB_S6_S9_S3_SB_S9_S3_PS5_21rocsparse_index_base_SD_SD_SD_bbb.num_named_barrier, 0
	.set _ZN9rocsparseL41csrgemm_numeric_fill_block_per_row_kernelILj1024ELj64ELj32768ELj137ELj32EllfEEvT5_PKS1_S3_NS_24const_host_device_scalarIT6_EEPKT4_S3_PKS5_S9_S3_SB_S6_S9_S3_SB_S9_S3_PS5_21rocsparse_index_base_SD_SD_SD_bbb.private_seg_size, 0
	.set _ZN9rocsparseL41csrgemm_numeric_fill_block_per_row_kernelILj1024ELj64ELj32768ELj137ELj32EllfEEvT5_PKS1_S3_NS_24const_host_device_scalarIT6_EEPKT4_S3_PKS5_S9_S3_SB_S6_S9_S3_SB_S9_S3_PS5_21rocsparse_index_base_SD_SD_SD_bbb.uses_vcc, 1
	.set _ZN9rocsparseL41csrgemm_numeric_fill_block_per_row_kernelILj1024ELj64ELj32768ELj137ELj32EllfEEvT5_PKS1_S3_NS_24const_host_device_scalarIT6_EEPKT4_S3_PKS5_S9_S3_SB_S6_S9_S3_SB_S9_S3_PS5_21rocsparse_index_base_SD_SD_SD_bbb.uses_flat_scratch, 0
	.set _ZN9rocsparseL41csrgemm_numeric_fill_block_per_row_kernelILj1024ELj64ELj32768ELj137ELj32EllfEEvT5_PKS1_S3_NS_24const_host_device_scalarIT6_EEPKT4_S3_PKS5_S9_S3_SB_S6_S9_S3_SB_S9_S3_PS5_21rocsparse_index_base_SD_SD_SD_bbb.has_dyn_sized_stack, 0
	.set _ZN9rocsparseL41csrgemm_numeric_fill_block_per_row_kernelILj1024ELj64ELj32768ELj137ELj32EllfEEvT5_PKS1_S3_NS_24const_host_device_scalarIT6_EEPKT4_S3_PKS5_S9_S3_SB_S6_S9_S3_SB_S9_S3_PS5_21rocsparse_index_base_SD_SD_SD_bbb.has_recursion, 0
	.set _ZN9rocsparseL41csrgemm_numeric_fill_block_per_row_kernelILj1024ELj64ELj32768ELj137ELj32EllfEEvT5_PKS1_S3_NS_24const_host_device_scalarIT6_EEPKT4_S3_PKS5_S9_S3_SB_S6_S9_S3_SB_S9_S3_PS5_21rocsparse_index_base_SD_SD_SD_bbb.has_indirect_call, 0
	.section	.AMDGPU.csdata,"",@progbits
; Kernel info:
; codeLenInByte = 4580
; TotalNumSgprs: 78
; NumVgprs: 23
; ScratchSize: 0
; MemoryBound: 0
; FloatMode: 240
; IeeeMode: 1
; LDSByteSize: 0 bytes/workgroup (compile time only)
; SGPRBlocks: 0
; VGPRBlocks: 1
; NumSGPRsForWavesPerEU: 78
; NumVGPRsForWavesPerEU: 23
; NamedBarCnt: 0
; Occupancy: 16
; WaveLimiterHint : 1
; COMPUTE_PGM_RSRC2:SCRATCH_EN: 0
; COMPUTE_PGM_RSRC2:USER_SGPR: 2
; COMPUTE_PGM_RSRC2:TRAP_HANDLER: 0
; COMPUTE_PGM_RSRC2:TGID_X_EN: 1
; COMPUTE_PGM_RSRC2:TGID_Y_EN: 0
; COMPUTE_PGM_RSRC2:TGID_Z_EN: 0
; COMPUTE_PGM_RSRC2:TIDIG_COMP_CNT: 0
	.section	.text._ZN9rocsparseL41csrgemm_numeric_fill_block_per_row_kernelILj1024ELj64ELj32768ELj137ELj64EllfEEvT5_PKS1_S3_NS_24const_host_device_scalarIT6_EEPKT4_S3_PKS5_S9_S3_SB_S6_S9_S3_SB_S9_S3_PS5_21rocsparse_index_base_SD_SD_SD_bbb,"axG",@progbits,_ZN9rocsparseL41csrgemm_numeric_fill_block_per_row_kernelILj1024ELj64ELj32768ELj137ELj64EllfEEvT5_PKS1_S3_NS_24const_host_device_scalarIT6_EEPKT4_S3_PKS5_S9_S3_SB_S6_S9_S3_SB_S9_S3_PS5_21rocsparse_index_base_SD_SD_SD_bbb,comdat
	.globl	_ZN9rocsparseL41csrgemm_numeric_fill_block_per_row_kernelILj1024ELj64ELj32768ELj137ELj64EllfEEvT5_PKS1_S3_NS_24const_host_device_scalarIT6_EEPKT4_S3_PKS5_S9_S3_SB_S6_S9_S3_SB_S9_S3_PS5_21rocsparse_index_base_SD_SD_SD_bbb ; -- Begin function _ZN9rocsparseL41csrgemm_numeric_fill_block_per_row_kernelILj1024ELj64ELj32768ELj137ELj64EllfEEvT5_PKS1_S3_NS_24const_host_device_scalarIT6_EEPKT4_S3_PKS5_S9_S3_SB_S6_S9_S3_SB_S9_S3_PS5_21rocsparse_index_base_SD_SD_SD_bbb
	.p2align	8
	.type	_ZN9rocsparseL41csrgemm_numeric_fill_block_per_row_kernelILj1024ELj64ELj32768ELj137ELj64EllfEEvT5_PKS1_S3_NS_24const_host_device_scalarIT6_EEPKT4_S3_PKS5_S9_S3_SB_S6_S9_S3_SB_S9_S3_PS5_21rocsparse_index_base_SD_SD_SD_bbb,@function
_ZN9rocsparseL41csrgemm_numeric_fill_block_per_row_kernelILj1024ELj64ELj32768ELj137ELj64EllfEEvT5_PKS1_S3_NS_24const_host_device_scalarIT6_EEPKT4_S3_PKS5_S9_S3_SB_S6_S9_S3_SB_S9_S3_PS5_21rocsparse_index_base_SD_SD_SD_bbb: ; @_ZN9rocsparseL41csrgemm_numeric_fill_block_per_row_kernelILj1024ELj64ELj32768ELj137ELj64EllfEEvT5_PKS1_S3_NS_24const_host_device_scalarIT6_EEPKT4_S3_PKS5_S9_S3_SB_S6_S9_S3_SB_S9_S3_PS5_21rocsparse_index_base_SD_SD_SD_bbb
; %bb.0:
	s_clause 0x3
	s_load_b32 s6, s[0:1], 0x98
	s_load_b64 s[2:3], s[0:1], 0x18
	s_load_b128 s[20:23], s[0:1], 0x88
	s_load_b64 s[4:5], s[0:1], 0x50
	s_wait_kmcnt 0x0
	s_and_b32 s8, 1, s6
	s_bitcmp1_b32 s6, 16
	s_cselect_b32 s7, -1, 0
	s_cmp_eq_u32 s8, 1
	s_cselect_b32 s38, -1, 0
	s_delay_alu instid0(SALU_CYCLE_1) | instskip(SKIP_2) | instid1(SALU_CYCLE_1)
	s_and_b32 s8, s38, exec_lo
	s_cselect_b32 s36, s2, 0
	s_xor_b32 s8, s38, -1
	s_or_b32 s8, s7, s8
	s_delay_alu instid0(SALU_CYCLE_1)
	s_and_b32 vcc_lo, exec_lo, s8
	s_cbranch_vccnz .LBB97_2
; %bb.1:
	s_load_b32 s36, s[2:3], 0x0
.LBB97_2:
	s_wait_xcnt 0x0
	s_load_b64 s[2:3], s[0:1], 0x8
	s_bitcmp1_b32 s6, 8
	s_cselect_b32 s37, -1, 0
	s_delay_alu instid0(SALU_CYCLE_1) | instskip(SKIP_2) | instid1(SALU_CYCLE_1)
	s_and_b32 s6, s37, exec_lo
	s_cselect_b32 s33, s4, 0
	s_xor_b32 s6, s37, -1
	s_or_b32 s6, s7, s6
	s_delay_alu instid0(SALU_CYCLE_1)
	s_and_b32 vcc_lo, exec_lo, s6
	s_cbranch_vccnz .LBB97_4
; %bb.3:
	s_load_b32 s33, s[4:5], 0x0
.LBB97_4:
	s_clause 0x4
	s_load_b64 s[30:31], s[0:1], 0x0
	s_load_b64 s[34:35], s[0:1], 0x10
	;; [unrolled: 1-line block ×3, first 2 shown]
	s_load_b256 s[12:19], s[0:1], 0x58
	s_load_b128 s[24:27], s[0:1], 0x40
	s_wait_xcnt 0x0
	s_load_b256 s[4:11], s[0:1], 0x20
	v_lshl_add_u32 v20, v0, 3, 0
	v_lshlrev_b32_e32 v1, 2, v0
	v_or_b32_e32 v22, 0xfffffc00, v0
	s_wait_xcnt 0x0
	s_mov_b32 s0, 0
	v_mov_b32_e32 v4, v20
	v_add3_u32 v21, v1, 0, 0x40000
	v_dual_mov_b32 v1, 0 :: v_dual_mov_b32 v6, v22
	s_delay_alu instid0(VALU_DEP_2)
	v_mov_b32_e32 v5, v21
	s_wait_kmcnt 0x0
	v_mov_b64_e32 v[2:3], s[30:31]
.LBB97_5:                               ; =>This Inner Loop Header: Depth=1
	s_delay_alu instid0(VALU_DEP_3)
	v_add_nc_u32_e32 v6, 0x400, v6
	ds_store_b64 v4, v[2:3]
	ds_store_b32 v5, v1
	v_add_nc_u32_e32 v5, 0x1000, v5
	v_add_nc_u32_e32 v4, 0x2000, v4
	v_cmp_lt_u32_e32 vcc_lo, 0x7bff, v6
	s_or_b32 s0, vcc_lo, s0
	s_delay_alu instid0(SALU_CYCLE_1)
	s_and_not1_b32 exec_lo, exec_lo, s0
	s_cbranch_execnz .LBB97_5
; %bb.6:
	s_or_b32 exec_lo, exec_lo, s0
	s_wait_dscnt 0x0
	s_barrier_signal -1
	s_barrier_wait -1
	s_load_b64 s[0:1], s[2:3], 0x0
	s_wait_xcnt 0x0
	s_bfe_u32 s2, ttmp6, 0x4000c
	s_and_b32 s3, ttmp6, 15
	s_add_co_i32 s2, s2, 1
	s_getreg_b32 s39, hwreg(HW_REG_IB_STS2, 6, 4)
	s_mul_i32 s2, ttmp9, s2
	v_lshrrev_b32_e32 v2, 6, v0
	s_add_co_i32 s3, s3, s2
	s_wait_kmcnt 0x0
	s_lshl_b64 s[0:1], s[0:1], 3
	s_cmp_eq_u32 s39, 0
	s_add_nc_u64 s[0:1], s[34:35], s[0:1]
	s_cselect_b32 s2, ttmp9, s3
	s_and_b32 vcc_lo, exec_lo, s38
	s_load_b64 s[34:35], s[0:1], s2 offset:0x0 scale_offset
	s_wait_xcnt 0x0
	s_mov_b32 s1, 0
	s_cbranch_vccz .LBB97_26
; %bb.7:
	s_wait_kmcnt 0x0
	s_lshl_b64 s[2:3], s[34:35], 3
	v_mov_b32_e32 v3, 0
	s_add_nc_u64 s[2:3], s[4:5], s[2:3]
	s_mov_b32 s0, s20
	s_load_b128 s[40:43], s[2:3], 0x0
	s_mov_b32 s20, exec_lo
	v_sub_nc_u64_e64 v[4:5], v[2:3], s[0:1]
	s_wait_kmcnt 0x0
	s_delay_alu instid0(VALU_DEP_1)
	v_add_nc_u64_e32 v[4:5], s[40:41], v[4:5]
	s_sub_nc_u64 s[2:3], s[42:43], s[0:1]
	s_delay_alu instid0(VALU_DEP_1) | instid1(SALU_CYCLE_1)
	v_cmpx_gt_i64_e64 s[2:3], v[4:5]
	s_cbranch_execz .LBB97_25
; %bb.8:
	v_dual_mov_b32 v7, v3 :: v_dual_bitop2_b32 v6, 63, v0 bitop3:0x40
	s_mov_b32 s5, 0
	s_mov_b32 s4, s21
	;; [unrolled: 1-line block ×3, first 2 shown]
	s_delay_alu instid0(VALU_DEP_1)
	v_sub_nc_u64_e64 v[6:7], v[6:7], s[4:5]
	s_branch .LBB97_10
.LBB97_9:                               ;   in Loop: Header=BB97_10 Depth=1
	s_or_b32 exec_lo, exec_lo, s38
	v_add_nc_u64_e32 v[4:5], 16, v[4:5]
	s_delay_alu instid0(VALU_DEP_1) | instskip(SKIP_1) | instid1(SALU_CYCLE_1)
	v_cmp_le_i64_e32 vcc_lo, s[2:3], v[4:5]
	s_or_b32 s21, vcc_lo, s21
	s_and_not1_b32 exec_lo, exec_lo, s21
	s_cbranch_execz .LBB97_25
.LBB97_10:                              ; =>This Loop Header: Depth=1
                                        ;     Child Loop BB97_14 Depth 2
                                        ;       Child Loop BB97_17 Depth 3
	v_lshl_add_u64 v[8:9], v[4:5], 3, s[6:7]
	s_mov_b32 s38, exec_lo
	global_load_b64 v[8:9], v[8:9], off
	s_wait_loadcnt 0x0
	s_wait_xcnt 0x0
	v_sub_nc_u64_e64 v[8:9], v[8:9], s[0:1]
	s_delay_alu instid0(VALU_DEP_1)
	v_lshl_add_u64 v[8:9], v[8:9], 3, s[10:11]
	global_load_b128 v[10:13], v[8:9], off
	s_wait_loadcnt 0x0
	s_wait_xcnt 0x0
	v_sub_nc_u64_e64 v[8:9], v[12:13], s[4:5]
	v_add_nc_u64_e32 v[10:11], v[10:11], v[6:7]
	s_delay_alu instid0(VALU_DEP_1)
	v_cmpx_lt_i64_e64 v[10:11], v[8:9]
	s_cbranch_execz .LBB97_9
; %bb.11:                               ;   in Loop: Header=BB97_10 Depth=1
	v_lshl_add_u64 v[12:13], v[4:5], 2, s[8:9]
	s_mov_b32 s39, 0
	global_load_b32 v1, v[12:13], off
	s_wait_loadcnt 0x0
	v_mul_f32_e32 v1, s36, v1
	s_branch .LBB97_14
.LBB97_12:                              ;   in Loop: Header=BB97_14 Depth=2
	s_or_b32 exec_lo, exec_lo, s41
.LBB97_13:                              ;   in Loop: Header=BB97_14 Depth=2
	s_delay_alu instid0(SALU_CYCLE_1) | instskip(SKIP_3) | instid1(VALU_DEP_2)
	s_or_b32 exec_lo, exec_lo, s40
	s_wait_loadcnt 0x0
	v_dual_mul_f32 v3, v1, v3 :: v_dual_lshlrev_b32 v12, 2, v12
	v_add_nc_u64_e32 v[10:11], 64, v[10:11]
	v_add3_u32 v12, 0, v12, 0x40000
	s_delay_alu instid0(VALU_DEP_2) | instskip(SKIP_2) | instid1(SALU_CYCLE_1)
	v_cmp_ge_i64_e32 vcc_lo, v[10:11], v[8:9]
	ds_add_f32 v12, v3
	s_or_b32 s39, vcc_lo, s39
	s_and_not1_b32 exec_lo, exec_lo, s39
	s_cbranch_execz .LBB97_9
.LBB97_14:                              ;   Parent Loop BB97_10 Depth=1
                                        ; =>  This Loop Header: Depth=2
                                        ;       Child Loop BB97_17 Depth 3
	s_wait_xcnt 0x0
	v_lshl_add_u64 v[12:13], v[10:11], 3, s[24:25]
	v_lshl_add_u64 v[14:15], v[10:11], 2, s[26:27]
	s_mov_b32 s40, exec_lo
	global_load_b64 v[12:13], v[12:13], off
	global_load_b32 v3, v[14:15], off
	s_wait_loadcnt 0x1
	s_wait_xcnt 0x0
	v_sub_nc_u64_e64 v[14:15], v[12:13], s[4:5]
	s_delay_alu instid0(VALU_DEP_1) | instskip(NEXT) | instid1(VALU_DEP_1)
	v_mul_lo_u32 v12, 0x89, v14
	v_and_b32_e32 v12, 0x7fff, v12
	s_delay_alu instid0(VALU_DEP_1)
	v_lshl_add_u32 v23, v12, 3, 0
	ds_load_b64 v[18:19], v23
	s_wait_dscnt 0x0
	v_cmpx_ne_u64_e64 v[18:19], v[14:15]
	s_cbranch_execz .LBB97_13
; %bb.15:                               ;   in Loop: Header=BB97_14 Depth=2
	s_mov_b32 s41, 0
                                        ; implicit-def: $sgpr42
                                        ; implicit-def: $sgpr43
	s_branch .LBB97_17
.LBB97_16:                              ;   in Loop: Header=BB97_17 Depth=3
	s_or_b32 exec_lo, exec_lo, s46
	s_delay_alu instid0(SALU_CYCLE_1) | instskip(NEXT) | instid1(SALU_CYCLE_1)
	s_and_b32 s44, exec_lo, s45
	s_or_b32 s41, s44, s41
	s_and_not1_b32 s42, s42, exec_lo
	s_and_b32 s44, s43, exec_lo
	s_delay_alu instid0(SALU_CYCLE_1)
	s_or_b32 s42, s42, s44
	s_and_not1_b32 exec_lo, exec_lo, s41
	s_cbranch_execz .LBB97_23
.LBB97_17:                              ;   Parent Loop BB97_10 Depth=1
                                        ;     Parent Loop BB97_14 Depth=2
                                        ; =>    This Inner Loop Header: Depth=3
	v_mov_b64_e32 v[16:17], v[12:13]
	s_mov_b32 s44, 0
	s_mov_b32 s45, exec_lo
                                        ; implicit-def: $vgpr12_vgpr13
	v_cmpx_ne_u64_e64 s[30:31], v[18:19]
	s_xor_b32 s45, exec_lo, s45
; %bb.18:                               ;   in Loop: Header=BB97_17 Depth=3
	s_delay_alu instid0(VALU_DEP_2) | instskip(SKIP_1) | instid1(VALU_DEP_1)
	v_add_nc_u32_e32 v12, 1, v16
	s_mov_b32 s44, exec_lo
                                        ; implicit-def: $vgpr23
	v_and_b32_e32 v12, 0x7fff, v12
; %bb.19:                               ;   in Loop: Header=BB97_17 Depth=3
	s_and_not1_saveexec_b32 s45, s45
	s_cbranch_execz .LBB97_21
; %bb.20:                               ;   in Loop: Header=BB97_17 Depth=3
	v_mov_b64_e32 v[12:13], s[30:31]
	s_and_not1_b32 s44, s44, exec_lo
	ds_cmpstore_rtn_b64 v[12:13], v23, v[14:15], v[12:13]
	s_wait_dscnt 0x0
	v_cmp_ne_u64_e32 vcc_lo, s[30:31], v[12:13]
	v_mov_b64_e32 v[12:13], v[16:17]
	s_and_b32 s46, vcc_lo, exec_lo
	s_delay_alu instid0(SALU_CYCLE_1)
	s_or_b32 s44, s44, s46
.LBB97_21:                              ;   in Loop: Header=BB97_17 Depth=3
	s_or_b32 exec_lo, exec_lo, s45
	s_mov_b32 s45, -1
	s_or_b32 s43, s43, exec_lo
                                        ; implicit-def: $vgpr23
                                        ; implicit-def: $vgpr18_vgpr19
	s_and_saveexec_b32 s46, s44
	s_cbranch_execz .LBB97_16
; %bb.22:                               ;   in Loop: Header=BB97_17 Depth=3
	v_lshl_add_u32 v23, v12, 3, 0
	s_and_not1_b32 s43, s43, exec_lo
	ds_load_b64 v[18:19], v23
	s_wait_dscnt 0x0
	v_cmp_eq_u64_e32 vcc_lo, v[18:19], v[14:15]
	s_or_not1_b32 s45, vcc_lo, exec_lo
	s_branch .LBB97_16
.LBB97_23:                              ;   in Loop: Header=BB97_14 Depth=2
	s_or_b32 exec_lo, exec_lo, s41
	s_and_saveexec_b32 s41, s42
	s_delay_alu instid0(SALU_CYCLE_1)
	s_xor_b32 s41, exec_lo, s41
	s_cbranch_execz .LBB97_12
; %bb.24:                               ;   in Loop: Header=BB97_14 Depth=2
	v_mov_b32_e32 v12, v16
	s_branch .LBB97_12
.LBB97_25:
	s_or_b32 exec_lo, exec_lo, s20
.LBB97_26:
	s_delay_alu instid0(SALU_CYCLE_1)
	s_and_not1_b32 vcc_lo, exec_lo, s37
	s_cbranch_vccnz .LBB97_43
; %bb.27:
	s_wait_kmcnt 0x0
	s_lshl_b64 s[0:1], s[34:35], 3
	v_mov_b32_e32 v1, 0
	s_add_nc_u64 s[0:1], s[12:13], s[0:1]
	s_load_b128 s[4:7], s[0:1], 0x0
	s_wait_xcnt 0x0
	s_mov_b32 s1, 0
	s_mov_b32 s0, s23
	s_delay_alu instid0(SALU_CYCLE_1) | instskip(SKIP_1) | instid1(VALU_DEP_1)
	v_sub_nc_u64_e64 v[4:5], v[0:1], s[0:1]
	s_wait_kmcnt 0x0
	v_add_nc_u64_e32 v[4:5], s[4:5], v[4:5]
	s_sub_nc_u64 s[2:3], s[6:7], s[0:1]
	s_mov_b32 s4, exec_lo
	s_delay_alu instid0(VALU_DEP_1)
	v_cmpx_gt_i64_e64 s[2:3], v[4:5]
	s_cbranch_execz .LBB97_42
; %bb.28:
	s_mov_b32 s5, s1
	s_branch .LBB97_31
.LBB97_29:                              ;   in Loop: Header=BB97_31 Depth=1
	s_or_b32 exec_lo, exec_lo, s7
.LBB97_30:                              ;   in Loop: Header=BB97_31 Depth=1
	s_delay_alu instid0(SALU_CYCLE_1) | instskip(SKIP_3) | instid1(VALU_DEP_2)
	s_or_b32 exec_lo, exec_lo, s6
	s_wait_loadcnt 0x0
	v_dual_lshlrev_b32 v3, 2, v6 :: v_dual_mul_f32 v1, s33, v1
	v_add_nc_u64_e32 v[4:5], 0x400, v[4:5]
	v_add3_u32 v3, 0, v3, 0x40000
	s_delay_alu instid0(VALU_DEP_2) | instskip(SKIP_2) | instid1(SALU_CYCLE_1)
	v_cmp_le_i64_e32 vcc_lo, s[2:3], v[4:5]
	ds_add_f32 v3, v1
	s_or_b32 s5, vcc_lo, s5
	s_and_not1_b32 exec_lo, exec_lo, s5
	s_cbranch_execz .LBB97_42
.LBB97_31:                              ; =>This Loop Header: Depth=1
                                        ;     Child Loop BB97_34 Depth 2
	v_lshl_add_u64 v[6:7], v[4:5], 3, s[14:15]
	v_lshl_add_u64 v[8:9], v[4:5], 2, s[16:17]
	s_mov_b32 s6, exec_lo
	global_load_b64 v[6:7], v[6:7], off
	global_load_b32 v1, v[8:9], off
	s_wait_loadcnt 0x1
	s_wait_xcnt 0x0
	v_sub_nc_u64_e64 v[8:9], v[6:7], s[0:1]
	s_delay_alu instid0(VALU_DEP_1) | instskip(NEXT) | instid1(VALU_DEP_1)
	v_mul_lo_u32 v3, 0x89, v8
	v_and_b32_e32 v6, 0x7fff, v3
	s_delay_alu instid0(VALU_DEP_1)
	v_lshl_add_u32 v3, v6, 3, 0
	ds_load_b64 v[12:13], v3
	s_wait_dscnt 0x0
	v_cmpx_ne_u64_e64 v[12:13], v[8:9]
	s_cbranch_execz .LBB97_30
; %bb.32:                               ;   in Loop: Header=BB97_31 Depth=1
	s_mov_b32 s7, 0
                                        ; implicit-def: $sgpr8
                                        ; implicit-def: $sgpr9
	s_branch .LBB97_34
.LBB97_33:                              ;   in Loop: Header=BB97_34 Depth=2
	s_or_b32 exec_lo, exec_lo, s12
	s_delay_alu instid0(SALU_CYCLE_1) | instskip(NEXT) | instid1(SALU_CYCLE_1)
	s_and_b32 s10, exec_lo, s11
	s_or_b32 s7, s10, s7
	s_and_not1_b32 s8, s8, exec_lo
	s_and_b32 s10, s9, exec_lo
	s_delay_alu instid0(SALU_CYCLE_1)
	s_or_b32 s8, s8, s10
	s_and_not1_b32 exec_lo, exec_lo, s7
	s_cbranch_execz .LBB97_40
.LBB97_34:                              ;   Parent Loop BB97_31 Depth=1
                                        ; =>  This Inner Loop Header: Depth=2
	v_mov_b64_e32 v[10:11], v[6:7]
	s_mov_b32 s10, 0
	s_mov_b32 s11, exec_lo
                                        ; implicit-def: $vgpr6_vgpr7
	v_cmpx_ne_u64_e64 s[30:31], v[12:13]
	s_xor_b32 s11, exec_lo, s11
; %bb.35:                               ;   in Loop: Header=BB97_34 Depth=2
	s_delay_alu instid0(VALU_DEP_2) | instskip(SKIP_1) | instid1(VALU_DEP_1)
	v_add_nc_u32_e32 v3, 1, v10
	s_mov_b32 s10, exec_lo
	v_and_b32_e32 v6, 0x7fff, v3
                                        ; implicit-def: $vgpr3
; %bb.36:                               ;   in Loop: Header=BB97_34 Depth=2
	s_and_not1_saveexec_b32 s11, s11
	s_cbranch_execz .LBB97_38
; %bb.37:                               ;   in Loop: Header=BB97_34 Depth=2
	v_mov_b64_e32 v[6:7], s[30:31]
	s_and_not1_b32 s10, s10, exec_lo
	ds_cmpstore_rtn_b64 v[6:7], v3, v[8:9], v[6:7]
	s_wait_dscnt 0x0
	v_cmp_ne_u64_e32 vcc_lo, s[30:31], v[6:7]
	v_mov_b64_e32 v[6:7], v[10:11]
	s_and_b32 s12, vcc_lo, exec_lo
	s_delay_alu instid0(SALU_CYCLE_1)
	s_or_b32 s10, s10, s12
.LBB97_38:                              ;   in Loop: Header=BB97_34 Depth=2
	s_or_b32 exec_lo, exec_lo, s11
	s_mov_b32 s11, -1
	s_or_b32 s9, s9, exec_lo
                                        ; implicit-def: $vgpr3
                                        ; implicit-def: $vgpr12_vgpr13
	s_and_saveexec_b32 s12, s10
	s_cbranch_execz .LBB97_33
; %bb.39:                               ;   in Loop: Header=BB97_34 Depth=2
	v_lshl_add_u32 v3, v6, 3, 0
	s_and_not1_b32 s9, s9, exec_lo
	ds_load_b64 v[12:13], v3
	s_wait_dscnt 0x0
	v_cmp_eq_u64_e32 vcc_lo, v[12:13], v[8:9]
	s_or_not1_b32 s11, vcc_lo, exec_lo
	s_branch .LBB97_33
.LBB97_40:                              ;   in Loop: Header=BB97_31 Depth=1
	s_or_b32 exec_lo, exec_lo, s7
	s_and_saveexec_b32 s7, s8
	s_delay_alu instid0(SALU_CYCLE_1)
	s_xor_b32 s7, exec_lo, s7
	s_cbranch_execz .LBB97_29
; %bb.41:                               ;   in Loop: Header=BB97_31 Depth=1
	v_mov_b32_e32 v6, v10
	s_branch .LBB97_29
.LBB97_42:
	s_or_b32 exec_lo, exec_lo, s4
.LBB97_43:
	v_mbcnt_lo_u32_b32 v1, -1, 0
	v_lshlrev_b32_e32 v2, 3, v2
	v_mov_b64_e32 v[6:7], 0
	s_add_co_i32 s38, 0, 0x60078
	s_delay_alu instid0(SALU_CYCLE_1)
	v_dual_mov_b32 v3, 0 :: v_dual_mov_b32 v5, s38
	v_xor_b32_e32 v4, 31, v1
	v_add3_u32 v1, 0x60000, 0, v2
	v_cmp_lt_u32_e64 s0, 63, v0
	v_cmp_lt_u32_e64 s1, 0x7f, v0
	;; [unrolled: 1-line block ×3, first 2 shown]
	v_lshrrev_b32_e64 v4, v4, -1
	v_cmp_lt_u32_e64 s3, 0xff, v0
	v_cmp_lt_u32_e64 s4, 0x13f, v0
	v_cmp_lt_u32_e64 s5, 0x17f, v0
	v_cmp_lt_u32_e64 s6, 0x1bf, v0
	v_cmp_lt_u32_e64 s7, 0x1ff, v0
	v_cmp_lt_u32_e64 s8, 0x23f, v0
	v_cmp_lt_u32_e64 s9, 0x27f, v0
	v_cmp_lt_u32_e64 s10, 0x2bf, v0
	v_cmp_lt_u32_e64 s11, 0x2ff, v0
	v_cmp_lt_u32_e64 s12, 0x33f, v0
	v_cmp_lt_u32_e64 s13, 0x37f, v0
	v_cmp_lt_u32_e64 s14, 0x3bf, v0
	s_mov_b32 s16, 0
	s_add_co_i32 s17, 0, 0x60000
	s_add_co_i32 s20, 0, 0x60008
	;; [unrolled: 1-line block ×15, first 2 shown]
	s_wait_dscnt 0x0
	s_barrier_signal -1
	s_barrier_wait -1
	v_cmp_eq_u32_e32 vcc_lo, 0x3ff, v0
	s_branch .LBB97_45
.LBB97_44:                              ;   in Loop: Header=BB97_45 Depth=1
	s_or_b32 exec_lo, exec_lo, s15
	s_wait_dscnt 0x0
	s_barrier_signal -1
	s_barrier_wait -1
	ds_load_b64 v[8:9], v5
	v_add_nc_u32_e32 v22, 0x400, v22
	v_add_nc_u32_e32 v21, 0x1000, v21
	;; [unrolled: 1-line block ×3, first 2 shown]
	s_delay_alu instid0(VALU_DEP_3)
	v_cmp_lt_u32_e64 s15, 0x7bff, v22
	s_or_b32 s16, s15, s16
	s_wait_dscnt 0x0
	v_add_nc_u64_e32 v[6:7], v[8:9], v[6:7]
	s_and_not1_b32 exec_lo, exec_lo, s16
	s_cbranch_execz .LBB97_79
.LBB97_45:                              ; =>This Inner Loop Header: Depth=1
	ds_load_b64 v[8:9], v20
	ds_load_b32 v12, v21
	s_wait_dscnt 0x0
	s_barrier_signal -1
	s_barrier_wait -1
	v_cmp_gt_i64_e64 s15, s[30:31], v[8:9]
	s_bcnt1_i32_b32 s43, s15
	s_delay_alu instid0(SALU_CYCLE_1) | instskip(NEXT) | instid1(VALU_DEP_1)
	v_dual_mov_b32 v2, s43 :: v_dual_bitop2_b32 v10, s15, v4 bitop3:0x40
	v_bcnt_u32_b32 v10, v10, 0
	ds_store_b64 v1, v[2:3]
	s_wait_dscnt 0x0
	s_barrier_signal -1
	s_barrier_wait -1
	s_and_saveexec_b32 s43, s0
	s_cbranch_execnz .LBB97_62
; %bb.46:                               ;   in Loop: Header=BB97_45 Depth=1
	s_or_b32 exec_lo, exec_lo, s43
	s_and_saveexec_b32 s43, s1
	s_cbranch_execnz .LBB97_63
.LBB97_47:                              ;   in Loop: Header=BB97_45 Depth=1
	s_or_b32 exec_lo, exec_lo, s43
	s_and_saveexec_b32 s43, s2
	s_cbranch_execnz .LBB97_64
.LBB97_48:                              ;   in Loop: Header=BB97_45 Depth=1
	s_or_b32 exec_lo, exec_lo, s43
	s_and_saveexec_b32 s43, s3
	s_cbranch_execnz .LBB97_65
.LBB97_49:                              ;   in Loop: Header=BB97_45 Depth=1
	s_or_b32 exec_lo, exec_lo, s43
	s_and_saveexec_b32 s43, s4
	s_cbranch_execnz .LBB97_66
.LBB97_50:                              ;   in Loop: Header=BB97_45 Depth=1
	s_or_b32 exec_lo, exec_lo, s43
	s_and_saveexec_b32 s43, s5
	s_cbranch_execnz .LBB97_67
.LBB97_51:                              ;   in Loop: Header=BB97_45 Depth=1
	s_or_b32 exec_lo, exec_lo, s43
	s_and_saveexec_b32 s43, s6
	s_cbranch_execnz .LBB97_68
.LBB97_52:                              ;   in Loop: Header=BB97_45 Depth=1
	s_or_b32 exec_lo, exec_lo, s43
	s_and_saveexec_b32 s43, s7
	s_cbranch_execnz .LBB97_69
.LBB97_53:                              ;   in Loop: Header=BB97_45 Depth=1
	s_or_b32 exec_lo, exec_lo, s43
	s_and_saveexec_b32 s43, s8
	s_cbranch_execnz .LBB97_70
.LBB97_54:                              ;   in Loop: Header=BB97_45 Depth=1
	s_or_b32 exec_lo, exec_lo, s43
	s_and_saveexec_b32 s43, s9
	s_cbranch_execnz .LBB97_71
.LBB97_55:                              ;   in Loop: Header=BB97_45 Depth=1
	s_or_b32 exec_lo, exec_lo, s43
	s_and_saveexec_b32 s43, s10
	s_cbranch_execnz .LBB97_72
.LBB97_56:                              ;   in Loop: Header=BB97_45 Depth=1
	s_or_b32 exec_lo, exec_lo, s43
	s_and_saveexec_b32 s43, s11
	s_cbranch_execnz .LBB97_73
.LBB97_57:                              ;   in Loop: Header=BB97_45 Depth=1
	s_or_b32 exec_lo, exec_lo, s43
	s_and_saveexec_b32 s43, s12
	s_cbranch_execnz .LBB97_74
.LBB97_58:                              ;   in Loop: Header=BB97_45 Depth=1
	s_or_b32 exec_lo, exec_lo, s43
	s_and_saveexec_b32 s43, s13
	s_cbranch_execnz .LBB97_75
.LBB97_59:                              ;   in Loop: Header=BB97_45 Depth=1
	s_or_b32 exec_lo, exec_lo, s43
	s_and_saveexec_b32 s43, s14
	s_cbranch_execnz .LBB97_76
.LBB97_60:                              ;   in Loop: Header=BB97_45 Depth=1
	s_or_b32 exec_lo, exec_lo, s43
	v_ashrrev_i32_e32 v11, 31, v10
	s_and_saveexec_b32 s43, s15
	s_cbranch_execnz .LBB97_77
.LBB97_61:                              ;   in Loop: Header=BB97_45 Depth=1
	s_or_b32 exec_lo, exec_lo, s43
	s_and_saveexec_b32 s15, vcc_lo
	s_cbranch_execz .LBB97_44
	s_branch .LBB97_78
.LBB97_62:                              ;   in Loop: Header=BB97_45 Depth=1
	v_mov_b32_e32 v2, s17
	ds_load_b32 v2, v2
	s_wait_dscnt 0x0
	v_add_nc_u32_e32 v10, v2, v10
	s_or_b32 exec_lo, exec_lo, s43
	s_and_saveexec_b32 s43, s1
	s_cbranch_execz .LBB97_47
.LBB97_63:                              ;   in Loop: Header=BB97_45 Depth=1
	v_mov_b32_e32 v2, s20
	ds_load_b32 v2, v2
	s_wait_dscnt 0x0
	v_add_nc_u32_e32 v10, v10, v2
	s_or_b32 exec_lo, exec_lo, s43
	s_and_saveexec_b32 s43, s2
	s_cbranch_execz .LBB97_48
.LBB97_64:                              ;   in Loop: Header=BB97_45 Depth=1
	v_mov_b32_e32 v2, s21
	ds_load_b32 v2, v2
	s_wait_dscnt 0x0
	v_add_nc_u32_e32 v10, v10, v2
	s_or_b32 exec_lo, exec_lo, s43
	s_and_saveexec_b32 s43, s3
	s_cbranch_execz .LBB97_49
.LBB97_65:                              ;   in Loop: Header=BB97_45 Depth=1
	v_mov_b32_e32 v2, s23
	ds_load_b32 v2, v2
	s_wait_dscnt 0x0
	v_add_nc_u32_e32 v10, v10, v2
	s_or_b32 exec_lo, exec_lo, s43
	s_and_saveexec_b32 s43, s4
	s_cbranch_execz .LBB97_50
.LBB97_66:                              ;   in Loop: Header=BB97_45 Depth=1
	v_mov_b32_e32 v2, s24
	ds_load_b32 v2, v2
	s_wait_dscnt 0x0
	v_add_nc_u32_e32 v10, v10, v2
	s_or_b32 exec_lo, exec_lo, s43
	s_and_saveexec_b32 s43, s5
	s_cbranch_execz .LBB97_51
.LBB97_67:                              ;   in Loop: Header=BB97_45 Depth=1
	v_mov_b32_e32 v2, s25
	ds_load_b32 v2, v2
	s_wait_dscnt 0x0
	v_add_nc_u32_e32 v10, v10, v2
	s_or_b32 exec_lo, exec_lo, s43
	s_and_saveexec_b32 s43, s6
	s_cbranch_execz .LBB97_52
.LBB97_68:                              ;   in Loop: Header=BB97_45 Depth=1
	v_mov_b32_e32 v2, s26
	ds_load_b32 v2, v2
	s_wait_dscnt 0x0
	v_add_nc_u32_e32 v10, v10, v2
	s_or_b32 exec_lo, exec_lo, s43
	s_and_saveexec_b32 s43, s7
	s_cbranch_execz .LBB97_53
.LBB97_69:                              ;   in Loop: Header=BB97_45 Depth=1
	v_mov_b32_e32 v2, s27
	ds_load_b32 v2, v2
	s_wait_dscnt 0x0
	v_add_nc_u32_e32 v10, v10, v2
	s_or_b32 exec_lo, exec_lo, s43
	s_and_saveexec_b32 s43, s8
	s_cbranch_execz .LBB97_54
.LBB97_70:                              ;   in Loop: Header=BB97_45 Depth=1
	v_mov_b32_e32 v2, s33
	ds_load_b32 v2, v2
	s_wait_dscnt 0x0
	v_add_nc_u32_e32 v10, v10, v2
	s_or_b32 exec_lo, exec_lo, s43
	s_and_saveexec_b32 s43, s9
	s_cbranch_execz .LBB97_55
.LBB97_71:                              ;   in Loop: Header=BB97_45 Depth=1
	v_mov_b32_e32 v2, s36
	ds_load_b32 v2, v2
	s_wait_dscnt 0x0
	v_add_nc_u32_e32 v10, v10, v2
	s_or_b32 exec_lo, exec_lo, s43
	s_and_saveexec_b32 s43, s10
	s_cbranch_execz .LBB97_56
.LBB97_72:                              ;   in Loop: Header=BB97_45 Depth=1
	v_mov_b32_e32 v2, s37
	ds_load_b32 v2, v2
	s_wait_dscnt 0x0
	v_add_nc_u32_e32 v10, v10, v2
	s_or_b32 exec_lo, exec_lo, s43
	s_and_saveexec_b32 s43, s11
	s_cbranch_execz .LBB97_57
.LBB97_73:                              ;   in Loop: Header=BB97_45 Depth=1
	v_mov_b32_e32 v2, s39
	ds_load_b32 v2, v2
	s_wait_dscnt 0x0
	v_add_nc_u32_e32 v10, v10, v2
	s_or_b32 exec_lo, exec_lo, s43
	s_and_saveexec_b32 s43, s12
	s_cbranch_execz .LBB97_58
.LBB97_74:                              ;   in Loop: Header=BB97_45 Depth=1
	v_mov_b32_e32 v2, s40
	ds_load_b32 v2, v2
	s_wait_dscnt 0x0
	v_add_nc_u32_e32 v10, v10, v2
	s_or_b32 exec_lo, exec_lo, s43
	s_and_saveexec_b32 s43, s13
	s_cbranch_execz .LBB97_59
.LBB97_75:                              ;   in Loop: Header=BB97_45 Depth=1
	v_mov_b32_e32 v2, s41
	ds_load_b32 v2, v2
	s_wait_dscnt 0x0
	v_add_nc_u32_e32 v10, v10, v2
	s_or_b32 exec_lo, exec_lo, s43
	s_and_saveexec_b32 s43, s14
	s_cbranch_execz .LBB97_60
.LBB97_76:                              ;   in Loop: Header=BB97_45 Depth=1
	v_mov_b32_e32 v2, s42
	ds_load_b32 v2, v2
	s_wait_dscnt 0x0
	v_add_nc_u32_e32 v10, v10, v2
	s_or_b32 exec_lo, exec_lo, s43
	s_delay_alu instid0(VALU_DEP_1)
	v_ashrrev_i32_e32 v11, 31, v10
	s_and_saveexec_b32 s43, s15
	s_cbranch_execz .LBB97_61
.LBB97_77:                              ;   in Loop: Header=BB97_45 Depth=1
	v_add3_u32 v2, v6, -1, v10
	s_delay_alu instid0(VALU_DEP_1) | instskip(SKIP_1) | instid1(VALU_DEP_2)
	v_lshlrev_b32_e32 v13, 2, v2
	v_lshl_add_u32 v2, v2, 3, 0
	v_add3_u32 v13, 0, v13, 0x40000
	ds_store_b64 v2, v[8:9]
	ds_store_b32 v13, v12
	s_or_b32 exec_lo, exec_lo, s43
	s_and_saveexec_b32 s15, vcc_lo
	s_cbranch_execz .LBB97_44
.LBB97_78:                              ;   in Loop: Header=BB97_45 Depth=1
	v_mov_b32_e32 v2, s38
	ds_store_b64 v2, v[10:11]
	s_branch .LBB97_44
.LBB97_79:
	s_or_b32 exec_lo, exec_lo, s16
	s_wait_kmcnt 0x0
	s_lshl_b64 s[0:1], s[34:35], 3
	v_mov_b32_e32 v1, 0
	s_add_nc_u64 s[4:5], s[18:19], s[0:1]
	s_mov_b32 s6, exec_lo
	s_load_b128 s[0:3], s[4:5], 0x0
	s_wait_kmcnt 0x0
	s_sub_nc_u64 s[4:5], s[2:3], s[0:1]
	s_delay_alu instid0(SALU_CYCLE_1)
	v_cmpx_gt_i64_e64 s[4:5], v[0:1]
	s_cbranch_execz .LBB97_89
; %bb.80:
	s_sub_nc_u64 s[8:9], s[0:1], s[2:3]
	s_and_b64 s[6:7], s[4:5], 7
	v_cmp_lt_u64_e64 s10, s[8:9], -7
	s_and_b64 s[2:3], s[4:5], -8
	s_mov_b32 s23, 0
	s_cmp_lg_u64 s[6:7], 0
	s_sub_nc_u64 s[0:1], s[0:1], s[22:23]
	s_cselect_b32 s11, -1, 0
	s_mov_b32 s12, 0
	s_branch .LBB97_82
.LBB97_81:                              ;   in Loop: Header=BB97_82 Depth=1
	v_add_nc_u64_e32 v[0:1], 0x400, v[0:1]
	s_wait_dscnt 0x1
	s_delay_alu instid0(VALU_DEP_2)
	v_lshl_add_u64 v[2:3], v[4:5], 2, s[28:29]
	s_wait_dscnt 0x0
	global_store_b32 v[2:3], v6, off
	v_cmp_le_i64_e32 vcc_lo, s[4:5], v[0:1]
	s_or_b32 s12, vcc_lo, s12
	s_wait_xcnt 0x0
	s_and_not1_b32 exec_lo, exec_lo, s12
	s_cbranch_execz .LBB97_89
.LBB97_82:                              ; =>This Loop Header: Depth=1
                                        ;     Child Loop BB97_84 Depth 2
                                        ;     Child Loop BB97_88 Depth 2
	v_lshlrev_b32_e32 v2, 2, v0
	v_lshl_add_u32 v3, v0, 3, 0
	s_and_not1_b32 vcc_lo, exec_lo, s10
	s_mov_b64 s[8:9], 0
	s_delay_alu instid0(VALU_DEP_2)
	v_add3_u32 v4, 0, v2, 0x40000
	ds_load_b64 v[2:3], v3
	ds_load_b32 v6, v4
	v_mov_b64_e32 v[4:5], s[0:1]
	s_cbranch_vccnz .LBB97_86
; %bb.83:                               ;   in Loop: Header=BB97_82 Depth=1
	v_mov_b64_e32 v[4:5], s[0:1]
	s_mov_b32 s13, 0
.LBB97_84:                              ;   Parent Loop BB97_82 Depth=1
                                        ; =>  This Inner Loop Header: Depth=2
	s_delay_alu instid0(SALU_CYCLE_1)
	v_dual_mov_b32 v7, s13 :: v_dual_mov_b32 v17, s23
	s_add_nc_u64 s[8:9], s[8:9], 8
	s_add_co_i32 s13, s13, 64
	s_cmp_eq_u64 s[2:3], s[8:9]
	ds_load_2addr_b64 v[8:11], v7 offset1:1
	ds_load_2addr_b64 v[12:15], v7 offset0:2 offset1:3
	s_wait_dscnt 0x1
	v_cmp_gt_i64_e32 vcc_lo, v[2:3], v[8:9]
	v_cndmask_b32_e64 v16, 0, 1, vcc_lo
	v_cmp_gt_i64_e32 vcc_lo, v[2:3], v[10:11]
	ds_load_2addr_b64 v[8:11], v7 offset0:4 offset1:5
	v_add_nc_u64_e32 v[4:5], v[4:5], v[16:17]
	v_cndmask_b32_e64 v18, 0, 1, vcc_lo
	s_wait_dscnt 0x1
	v_cmp_gt_i64_e32 vcc_lo, v[2:3], v[12:13]
	v_cndmask_b32_e64 v16, 0, 1, vcc_lo
	v_cmp_gt_i64_e32 vcc_lo, v[2:3], v[14:15]
	ds_load_2addr_b64 v[12:15], v7 offset0:6 offset1:7
	v_mov_b32_e32 v19, s23
	s_delay_alu instid0(VALU_DEP_1) | instskip(SKIP_4) | instid1(VALU_DEP_4)
	v_add_nc_u64_e32 v[4:5], v[4:5], v[18:19]
	v_cndmask_b32_e64 v18, 0, 1, vcc_lo
	s_wait_dscnt 0x1
	v_cmp_gt_i64_e32 vcc_lo, v[2:3], v[8:9]
	v_mov_b32_e32 v9, s23
	v_add_nc_u64_e32 v[4:5], v[4:5], v[16:17]
	v_cndmask_b32_e64 v16, 0, 1, vcc_lo
	v_cmp_gt_i64_e32 vcc_lo, v[2:3], v[10:11]
	v_mov_b32_e32 v11, s23
	s_delay_alu instid0(VALU_DEP_4) | instskip(SKIP_3) | instid1(VALU_DEP_3)
	v_add_nc_u64_e32 v[4:5], v[4:5], v[18:19]
	v_cndmask_b32_e64 v8, 0, 1, vcc_lo
	s_wait_dscnt 0x0
	v_cmp_gt_i64_e32 vcc_lo, v[2:3], v[12:13]
	v_add_nc_u64_e32 v[4:5], v[4:5], v[16:17]
	v_cndmask_b32_e64 v10, 0, 1, vcc_lo
	v_cmp_gt_i64_e32 vcc_lo, v[2:3], v[14:15]
	s_delay_alu instid0(VALU_DEP_3) | instskip(SKIP_1) | instid1(VALU_DEP_2)
	v_add_nc_u64_e32 v[4:5], v[4:5], v[8:9]
	v_cndmask_b32_e64 v8, 0, 1, vcc_lo
	v_add_nc_u64_e32 v[4:5], v[4:5], v[10:11]
	s_delay_alu instid0(VALU_DEP_1)
	v_add_nc_u64_e32 v[4:5], v[4:5], v[8:9]
	s_cbranch_scc0 .LBB97_84
; %bb.85:                               ;   in Loop: Header=BB97_82 Depth=1
	s_mov_b64 s[8:9], s[2:3]
.LBB97_86:                              ;   in Loop: Header=BB97_82 Depth=1
	s_and_not1_b32 vcc_lo, exec_lo, s11
	s_cbranch_vccnz .LBB97_81
; %bb.87:                               ;   in Loop: Header=BB97_82 Depth=1
	s_lshl_b32 s8, s8, 3
	s_delay_alu instid0(SALU_CYCLE_1)
	s_add_co_i32 s13, s8, 0
	s_mov_b64 s[8:9], s[6:7]
.LBB97_88:                              ;   Parent Loop BB97_82 Depth=1
                                        ; =>  This Inner Loop Header: Depth=2
	v_dual_mov_b32 v7, s13 :: v_dual_mov_b32 v11, s23
	s_add_nc_u64 s[8:9], s[8:9], -1
	s_add_co_i32 s13, s13, 8
	s_cmp_lg_u64 s[8:9], 0
	ds_load_b64 v[8:9], v7
	s_wait_dscnt 0x0
	v_cmp_gt_i64_e32 vcc_lo, v[2:3], v[8:9]
	v_cndmask_b32_e64 v10, 0, 1, vcc_lo
	s_delay_alu instid0(VALU_DEP_1)
	v_add_nc_u64_e32 v[4:5], v[4:5], v[10:11]
	s_cbranch_scc1 .LBB97_88
	s_branch .LBB97_81
.LBB97_89:
	s_endpgm
	.section	.rodata,"a",@progbits
	.p2align	6, 0x0
	.amdhsa_kernel _ZN9rocsparseL41csrgemm_numeric_fill_block_per_row_kernelILj1024ELj64ELj32768ELj137ELj64EllfEEvT5_PKS1_S3_NS_24const_host_device_scalarIT6_EEPKT4_S3_PKS5_S9_S3_SB_S6_S9_S3_SB_S9_S3_PS5_21rocsparse_index_base_SD_SD_SD_bbb
		.amdhsa_group_segment_fixed_size 0
		.amdhsa_private_segment_fixed_size 0
		.amdhsa_kernarg_size 156
		.amdhsa_user_sgpr_count 2
		.amdhsa_user_sgpr_dispatch_ptr 0
		.amdhsa_user_sgpr_queue_ptr 0
		.amdhsa_user_sgpr_kernarg_segment_ptr 1
		.amdhsa_user_sgpr_dispatch_id 0
		.amdhsa_user_sgpr_kernarg_preload_length 0
		.amdhsa_user_sgpr_kernarg_preload_offset 0
		.amdhsa_user_sgpr_private_segment_size 0
		.amdhsa_wavefront_size32 1
		.amdhsa_uses_dynamic_stack 0
		.amdhsa_enable_private_segment 0
		.amdhsa_system_sgpr_workgroup_id_x 1
		.amdhsa_system_sgpr_workgroup_id_y 0
		.amdhsa_system_sgpr_workgroup_id_z 0
		.amdhsa_system_sgpr_workgroup_info 0
		.amdhsa_system_vgpr_workitem_id 0
		.amdhsa_next_free_vgpr 24
		.amdhsa_next_free_sgpr 47
		.amdhsa_named_barrier_count 0
		.amdhsa_reserve_vcc 1
		.amdhsa_float_round_mode_32 0
		.amdhsa_float_round_mode_16_64 0
		.amdhsa_float_denorm_mode_32 3
		.amdhsa_float_denorm_mode_16_64 3
		.amdhsa_fp16_overflow 0
		.amdhsa_memory_ordered 1
		.amdhsa_forward_progress 1
		.amdhsa_inst_pref_size 28
		.amdhsa_round_robin_scheduling 0
		.amdhsa_exception_fp_ieee_invalid_op 0
		.amdhsa_exception_fp_denorm_src 0
		.amdhsa_exception_fp_ieee_div_zero 0
		.amdhsa_exception_fp_ieee_overflow 0
		.amdhsa_exception_fp_ieee_underflow 0
		.amdhsa_exception_fp_ieee_inexact 0
		.amdhsa_exception_int_div_zero 0
	.end_amdhsa_kernel
	.section	.text._ZN9rocsparseL41csrgemm_numeric_fill_block_per_row_kernelILj1024ELj64ELj32768ELj137ELj64EllfEEvT5_PKS1_S3_NS_24const_host_device_scalarIT6_EEPKT4_S3_PKS5_S9_S3_SB_S6_S9_S3_SB_S9_S3_PS5_21rocsparse_index_base_SD_SD_SD_bbb,"axG",@progbits,_ZN9rocsparseL41csrgemm_numeric_fill_block_per_row_kernelILj1024ELj64ELj32768ELj137ELj64EllfEEvT5_PKS1_S3_NS_24const_host_device_scalarIT6_EEPKT4_S3_PKS5_S9_S3_SB_S6_S9_S3_SB_S9_S3_PS5_21rocsparse_index_base_SD_SD_SD_bbb,comdat
.Lfunc_end97:
	.size	_ZN9rocsparseL41csrgemm_numeric_fill_block_per_row_kernelILj1024ELj64ELj32768ELj137ELj64EllfEEvT5_PKS1_S3_NS_24const_host_device_scalarIT6_EEPKT4_S3_PKS5_S9_S3_SB_S6_S9_S3_SB_S9_S3_PS5_21rocsparse_index_base_SD_SD_SD_bbb, .Lfunc_end97-_ZN9rocsparseL41csrgemm_numeric_fill_block_per_row_kernelILj1024ELj64ELj32768ELj137ELj64EllfEEvT5_PKS1_S3_NS_24const_host_device_scalarIT6_EEPKT4_S3_PKS5_S9_S3_SB_S6_S9_S3_SB_S9_S3_PS5_21rocsparse_index_base_SD_SD_SD_bbb
                                        ; -- End function
	.set _ZN9rocsparseL41csrgemm_numeric_fill_block_per_row_kernelILj1024ELj64ELj32768ELj137ELj64EllfEEvT5_PKS1_S3_NS_24const_host_device_scalarIT6_EEPKT4_S3_PKS5_S9_S3_SB_S6_S9_S3_SB_S9_S3_PS5_21rocsparse_index_base_SD_SD_SD_bbb.num_vgpr, 24
	.set _ZN9rocsparseL41csrgemm_numeric_fill_block_per_row_kernelILj1024ELj64ELj32768ELj137ELj64EllfEEvT5_PKS1_S3_NS_24const_host_device_scalarIT6_EEPKT4_S3_PKS5_S9_S3_SB_S6_S9_S3_SB_S9_S3_PS5_21rocsparse_index_base_SD_SD_SD_bbb.num_agpr, 0
	.set _ZN9rocsparseL41csrgemm_numeric_fill_block_per_row_kernelILj1024ELj64ELj32768ELj137ELj64EllfEEvT5_PKS1_S3_NS_24const_host_device_scalarIT6_EEPKT4_S3_PKS5_S9_S3_SB_S6_S9_S3_SB_S9_S3_PS5_21rocsparse_index_base_SD_SD_SD_bbb.numbered_sgpr, 47
	.set _ZN9rocsparseL41csrgemm_numeric_fill_block_per_row_kernelILj1024ELj64ELj32768ELj137ELj64EllfEEvT5_PKS1_S3_NS_24const_host_device_scalarIT6_EEPKT4_S3_PKS5_S9_S3_SB_S6_S9_S3_SB_S9_S3_PS5_21rocsparse_index_base_SD_SD_SD_bbb.num_named_barrier, 0
	.set _ZN9rocsparseL41csrgemm_numeric_fill_block_per_row_kernelILj1024ELj64ELj32768ELj137ELj64EllfEEvT5_PKS1_S3_NS_24const_host_device_scalarIT6_EEPKT4_S3_PKS5_S9_S3_SB_S6_S9_S3_SB_S9_S3_PS5_21rocsparse_index_base_SD_SD_SD_bbb.private_seg_size, 0
	.set _ZN9rocsparseL41csrgemm_numeric_fill_block_per_row_kernelILj1024ELj64ELj32768ELj137ELj64EllfEEvT5_PKS1_S3_NS_24const_host_device_scalarIT6_EEPKT4_S3_PKS5_S9_S3_SB_S6_S9_S3_SB_S9_S3_PS5_21rocsparse_index_base_SD_SD_SD_bbb.uses_vcc, 1
	.set _ZN9rocsparseL41csrgemm_numeric_fill_block_per_row_kernelILj1024ELj64ELj32768ELj137ELj64EllfEEvT5_PKS1_S3_NS_24const_host_device_scalarIT6_EEPKT4_S3_PKS5_S9_S3_SB_S6_S9_S3_SB_S9_S3_PS5_21rocsparse_index_base_SD_SD_SD_bbb.uses_flat_scratch, 0
	.set _ZN9rocsparseL41csrgemm_numeric_fill_block_per_row_kernelILj1024ELj64ELj32768ELj137ELj64EllfEEvT5_PKS1_S3_NS_24const_host_device_scalarIT6_EEPKT4_S3_PKS5_S9_S3_SB_S6_S9_S3_SB_S9_S3_PS5_21rocsparse_index_base_SD_SD_SD_bbb.has_dyn_sized_stack, 0
	.set _ZN9rocsparseL41csrgemm_numeric_fill_block_per_row_kernelILj1024ELj64ELj32768ELj137ELj64EllfEEvT5_PKS1_S3_NS_24const_host_device_scalarIT6_EEPKT4_S3_PKS5_S9_S3_SB_S6_S9_S3_SB_S9_S3_PS5_21rocsparse_index_base_SD_SD_SD_bbb.has_recursion, 0
	.set _ZN9rocsparseL41csrgemm_numeric_fill_block_per_row_kernelILj1024ELj64ELj32768ELj137ELj64EllfEEvT5_PKS1_S3_NS_24const_host_device_scalarIT6_EEPKT4_S3_PKS5_S9_S3_SB_S6_S9_S3_SB_S9_S3_PS5_21rocsparse_index_base_SD_SD_SD_bbb.has_indirect_call, 0
	.section	.AMDGPU.csdata,"",@progbits
; Kernel info:
; codeLenInByte = 3568
; TotalNumSgprs: 49
; NumVgprs: 24
; ScratchSize: 0
; MemoryBound: 0
; FloatMode: 240
; IeeeMode: 1
; LDSByteSize: 0 bytes/workgroup (compile time only)
; SGPRBlocks: 0
; VGPRBlocks: 1
; NumSGPRsForWavesPerEU: 49
; NumVGPRsForWavesPerEU: 24
; NamedBarCnt: 0
; Occupancy: 16
; WaveLimiterHint : 1
; COMPUTE_PGM_RSRC2:SCRATCH_EN: 0
; COMPUTE_PGM_RSRC2:USER_SGPR: 2
; COMPUTE_PGM_RSRC2:TRAP_HANDLER: 0
; COMPUTE_PGM_RSRC2:TGID_X_EN: 1
; COMPUTE_PGM_RSRC2:TGID_Y_EN: 0
; COMPUTE_PGM_RSRC2:TGID_Z_EN: 0
; COMPUTE_PGM_RSRC2:TIDIG_COMP_CNT: 0
	.section	.text._ZN9rocsparseL51csrgemm_numeric_fill_block_per_row_multipass_kernelILj512ELj16ELj2048ELj32EllfEEvT4_PKS1_S3_NS_24const_host_device_scalarIT5_EEPKT3_S3_PKS5_S9_S3_SB_S6_S9_S3_SB_S9_S3_PS5_PS7_21rocsparse_index_base_SE_SE_SE_bbb,"axG",@progbits,_ZN9rocsparseL51csrgemm_numeric_fill_block_per_row_multipass_kernelILj512ELj16ELj2048ELj32EllfEEvT4_PKS1_S3_NS_24const_host_device_scalarIT5_EEPKT3_S3_PKS5_S9_S3_SB_S6_S9_S3_SB_S9_S3_PS5_PS7_21rocsparse_index_base_SE_SE_SE_bbb,comdat
	.globl	_ZN9rocsparseL51csrgemm_numeric_fill_block_per_row_multipass_kernelILj512ELj16ELj2048ELj32EllfEEvT4_PKS1_S3_NS_24const_host_device_scalarIT5_EEPKT3_S3_PKS5_S9_S3_SB_S6_S9_S3_SB_S9_S3_PS5_PS7_21rocsparse_index_base_SE_SE_SE_bbb ; -- Begin function _ZN9rocsparseL51csrgemm_numeric_fill_block_per_row_multipass_kernelILj512ELj16ELj2048ELj32EllfEEvT4_PKS1_S3_NS_24const_host_device_scalarIT5_EEPKT3_S3_PKS5_S9_S3_SB_S6_S9_S3_SB_S9_S3_PS5_PS7_21rocsparse_index_base_SE_SE_SE_bbb
	.p2align	8
	.type	_ZN9rocsparseL51csrgemm_numeric_fill_block_per_row_multipass_kernelILj512ELj16ELj2048ELj32EllfEEvT4_PKS1_S3_NS_24const_host_device_scalarIT5_EEPKT3_S3_PKS5_S9_S3_SB_S6_S9_S3_SB_S9_S3_PS5_PS7_21rocsparse_index_base_SE_SE_SE_bbb,@function
_ZN9rocsparseL51csrgemm_numeric_fill_block_per_row_multipass_kernelILj512ELj16ELj2048ELj32EllfEEvT4_PKS1_S3_NS_24const_host_device_scalarIT5_EEPKT3_S3_PKS5_S9_S3_SB_S6_S9_S3_SB_S9_S3_PS5_PS7_21rocsparse_index_base_SE_SE_SE_bbb: ; @_ZN9rocsparseL51csrgemm_numeric_fill_block_per_row_multipass_kernelILj512ELj16ELj2048ELj32EllfEEvT4_PKS1_S3_NS_24const_host_device_scalarIT5_EEPKT3_S3_PKS5_S9_S3_SB_S6_S9_S3_SB_S9_S3_PS5_PS7_21rocsparse_index_base_SE_SE_SE_bbb
; %bb.0:
	s_clause 0x4
	s_load_b32 s8, s[0:1], 0xa0
	s_load_b64 s[6:7], s[0:1], 0x18
	s_load_b128 s[28:31], s[0:1], 0x90
	s_load_b64 s[2:3], s[0:1], 0x8
	s_load_b64 s[4:5], s[0:1], 0x50
	s_wait_kmcnt 0x0
	s_and_b32 s10, 1, s8
	s_bitcmp1_b32 s8, 16
	s_cselect_b32 s9, -1, 0
	s_cmp_eq_u32 s10, 1
	s_cselect_b32 s18, -1, 0
	s_delay_alu instid0(SALU_CYCLE_1) | instskip(SKIP_2) | instid1(SALU_CYCLE_1)
	s_and_b32 s10, s18, exec_lo
	s_cselect_b32 s33, s6, 0
	s_xor_b32 s10, s18, -1
	s_or_b32 s10, s9, s10
	s_delay_alu instid0(SALU_CYCLE_1)
	s_and_b32 vcc_lo, exec_lo, s10
	s_cbranch_vccnz .LBB98_2
; %bb.1:
	s_load_b32 s33, s[6:7], 0x0
.LBB98_2:
	s_wait_xcnt 0x0
	s_load_b64 s[6:7], s[0:1], 0x10
	s_bitcmp1_b32 s8, 8
	s_cselect_b32 s56, -1, 0
	s_delay_alu instid0(SALU_CYCLE_1) | instskip(SKIP_2) | instid1(SALU_CYCLE_1)
	s_and_b32 s8, s56, exec_lo
	s_cselect_b32 s57, s4, 0
	s_xor_b32 s8, s56, -1
	s_or_b32 s8, s9, s8
	s_delay_alu instid0(SALU_CYCLE_1)
	s_and_b32 vcc_lo, exec_lo, s8
	s_cbranch_vccnz .LBB98_4
; %bb.3:
	s_load_b32 s57, s[4:5], 0x0
.LBB98_4:
	s_nop 0
	s_load_b64 s[2:3], s[2:3], 0x0
	s_wait_xcnt 0x0
	s_bfe_u32 s4, ttmp6, 0x4000c
	s_and_b32 s5, ttmp6, 15
	s_add_co_i32 s4, s4, 1
	s_getreg_b32 s8, hwreg(HW_REG_IB_STS2, 6, 4)
	s_mul_i32 s4, ttmp9, s4
	s_mov_b32 s9, 0
	s_add_co_i32 s5, s5, s4
	s_mov_b64 s[34:35], 0
	s_wait_kmcnt 0x0
	s_lshl_b64 s[2:3], s[2:3], 3
	s_cmp_eq_u32 s8, 0
	s_add_nc_u64 s[2:3], s[6:7], s[2:3]
	s_cselect_b32 s8, ttmp9, s5
	s_load_b64 s[6:7], s[0:1], 0x20
	s_load_b64 s[4:5], s[2:3], s8 offset:0x0 scale_offset
	s_and_not1_b32 vcc_lo, exec_lo, s18
	s_wait_xcnt 0x0
	s_mov_b64 s[2:3], 0
	s_cbranch_vccz .LBB98_7
; %bb.5:
	s_and_not1_b32 vcc_lo, exec_lo, s18
	s_cbranch_vccz .LBB98_8
.LBB98_6:
	s_load_b64 s[48:49], s[0:1], 0x0
	s_wait_kmcnt 0x0
	v_cmp_lt_i64_e64 s6, s[48:49], 1
	s_and_b32 vcc_lo, exec_lo, s6
	s_cbranch_vccz .LBB98_9
	s_branch .LBB98_62
.LBB98_7:
	s_wait_kmcnt 0x0
	s_lshl_b64 s[2:3], s[4:5], 3
	s_mov_b32 s8, s28
	s_add_nc_u64 s[2:3], s[6:7], s[2:3]
	s_load_b64 s[2:3], s[2:3], 0x0
	s_wait_kmcnt 0x0
	s_sub_nc_u64 s[2:3], s[2:3], s[8:9]
	s_and_not1_b32 vcc_lo, exec_lo, s18
	s_cbranch_vccnz .LBB98_6
.LBB98_8:
	s_wait_kmcnt 0x0
	s_lshl_b64 s[8:9], s[4:5], 3
	s_delay_alu instid0(SALU_CYCLE_1)
	s_add_nc_u64 s[6:7], s[6:7], s[8:9]
	s_mov_b32 s9, 0
	s_load_b64 s[6:7], s[6:7], 0x8
	s_mov_b32 s8, s28
	s_wait_kmcnt 0x0
	s_sub_nc_u64 s[34:35], s[6:7], s[8:9]
	s_load_b64 s[48:49], s[0:1], 0x0
	s_wait_kmcnt 0x0
	v_cmp_lt_i64_e64 s6, s[48:49], 1
	s_and_b32 vcc_lo, exec_lo, s6
	s_cbranch_vccnz .LBB98_62
.LBB98_9:
	s_clause 0x3
	s_load_b256 s[20:27], s[0:1], 0x58
	s_load_b128 s[44:47], s[0:1], 0x80
	s_load_b64 s[50:51], s[0:1], 0x48
	s_load_b256 s[36:43], s[0:1], 0x28
	v_mbcnt_lo_u32_b32 v6, -1, 0
	s_lshl_b64 s[58:59], s[4:5], 3
	v_dual_mov_b32 v3, 0 :: v_dual_lshrrev_b32 v7, 3, v0
	v_dual_lshrrev_b32 v2, 4, v0 :: v_dual_bitop2_b32 v1, 15, v0 bitop3:0x40
	s_delay_alu instid0(VALU_DEP_3)
	v_xor_b32_e32 v9, 4, v6
	v_xor_b32_e32 v8, 8, v6
	s_mov_b32 s55, 0
	s_mov_b32 s54, s30
	v_add_nc_u64_e32 v[4:5], s[2:3], v[2:3]
	v_mov_b32_e32 v2, v1
	v_cmp_gt_i32_e32 vcc_lo, 32, v8
	v_cmp_eq_u32_e64 s2, 15, v1
	v_mov_b32_e32 v1, v3
	s_wait_xcnt 0x0
	v_cmp_eq_u32_e64 s0, 0, v0
	s_wait_kmcnt 0x0
	s_add_nc_u64 s[4:5], s[26:27], s[58:59]
	v_cndmask_b32_e32 v8, v6, v8, vcc_lo
	s_load_b64 s[4:5], s[4:5], 0x0
	v_xor_b32_e32 v11, 1, v6
	v_cmp_gt_i32_e32 vcc_lo, 32, v9
	v_cmp_eq_u32_e64 s1, 0x1ff, v0
	v_dual_lshlrev_b32 v34, 2, v8 :: v_dual_bitop2_b32 v10, 2, v6 bitop3:0x14
	v_cmp_gt_u32_e64 s3, 32, v0
	v_dual_cndmask_b32 v9, v6, v9, vcc_lo :: v_dual_bitop2_b32 v12, 31, v6 bitop3:0x14
	v_cmp_gt_u32_e64 s6, 0x80, v0
	s_delay_alu instid0(VALU_DEP_4) | instskip(NEXT) | instid1(VALU_DEP_3)
	v_cmp_gt_i32_e32 vcc_lo, 32, v10
	v_dual_lshlrev_b32 v35, 2, v9 :: v_dual_bitop2_b32 v7, 60, v7 bitop3:0x40
	v_cmp_gt_u32_e64 s7, 0xa0, v0
	v_cmp_gt_u32_e64 s8, 0xc0, v0
	v_cndmask_b32_e32 v10, v6, v10, vcc_lo
	v_cmp_gt_i32_e32 vcc_lo, 32, v11
	v_cmp_gt_u32_e64 s9, 0xe0, v0
	v_cmp_gt_u32_e64 s10, 0x100, v0
	;; [unrolled: 1-line block ×3, first 2 shown]
	s_wait_kmcnt 0x0
	s_sub_nc_u64 s[26:27], s[4:5], s[54:55]
	v_cndmask_b32_e32 v11, v6, v11, vcc_lo
	v_cmp_gt_i64_e32 vcc_lo, s[34:35], v[4:5]
	s_mov_b32 s54, s31
	v_lshrrev_b32_e64 v6, v12, -1
	s_delay_alu instid0(VALU_DEP_3)
	v_dual_lshlrev_b32 v36, 2, v10 :: v_dual_lshlrev_b32 v37, 2, v11
	v_sub_nc_u64_e64 v[8:9], v[0:1], s[54:55]
	v_cmp_gt_u32_e64 s4, 64, v0
	v_cmp_gt_u32_e64 s5, 0x60, v0
	;; [unrolled: 1-line block ×8, first 2 shown]
	v_or_b32_e32 v38, 0xfffffe00, v0
	v_dual_mov_b32 v40, 1 :: v_dual_lshlrev_b32 v39, 2, v0
	v_mov_b64_e32 v[10:11], 0
	v_mov_b64_e32 v[12:13], 0x800
	;; [unrolled: 1-line block ×3, first 2 shown]
	s_mov_b32 s52, s29
	s_mov_b32 s29, s55
	;; [unrolled: 1-line block ×3, first 2 shown]
	s_add_nc_u64 s[26:27], s[20:21], s[58:59]
	s_and_b32 s30, s18, vcc_lo
	s_branch .LBB98_11
.LBB98_10:                              ;   in Loop: Header=BB98_11 Depth=1
	s_or_b32 exec_lo, exec_lo, s18
	ds_load_b64 v[10:11], v3 offset:10240
	s_wait_dscnt 0x0
	s_barrier_signal -1
	s_barrier_wait -1
	v_cmp_le_i64_e32 vcc_lo, s[48:49], v[10:11]
	v_add_nc_u64_e32 v[12:13], 0x800, v[10:11]
	s_cbranch_vccnz .LBB98_62
.LBB98_11:                              ; =>This Loop Header: Depth=1
                                        ;     Child Loop BB98_12 Depth 2
                                        ;     Child Loop BB98_18 Depth 2
                                        ;       Child Loop BB98_24 Depth 3
                                        ;     Child Loop BB98_41 Depth 2
                                        ;     Child Loop BB98_53 Depth 2
	;; [unrolled: 1-line block ×3, first 2 shown]
	v_dual_mov_b32 v14, v39 :: v_dual_mov_b32 v15, v38
	s_mov_b32 s18, 0
.LBB98_12:                              ;   Parent Loop BB98_11 Depth=1
                                        ; =>  This Inner Loop Header: Depth=2
	ds_store_b8 v15, v3 offset:8704
	v_add_nc_u32_e32 v15, 0x200, v15
	ds_store_b32 v14, v3
	v_add_nc_u32_e32 v14, 0x800, v14
	v_cmp_lt_u32_e32 vcc_lo, 0x5ff, v15
	s_or_b32 s18, vcc_lo, s18
	s_delay_alu instid0(SALU_CYCLE_1)
	s_and_not1_b32 exec_lo, exec_lo, s18
	s_cbranch_execnz .LBB98_12
; %bb.13:                               ;   in Loop: Header=BB98_11 Depth=1
	s_or_b32 exec_lo, exec_lo, s18
	s_and_saveexec_b32 s18, s0
; %bb.14:                               ;   in Loop: Header=BB98_11 Depth=1
	v_mov_b64_e32 v[14:15], s[48:49]
	ds_store_b64 v3, v[14:15] offset:10240
; %bb.15:                               ;   in Loop: Header=BB98_11 Depth=1
	s_or_b32 exec_lo, exec_lo, s18
	v_mov_b64_e32 v[14:15], s[48:49]
	s_wait_dscnt 0x0
	s_barrier_signal -1
	s_barrier_wait -1
	s_and_saveexec_b32 s21, s30
	s_cbranch_execz .LBB98_37
; %bb.16:                               ;   in Loop: Header=BB98_11 Depth=1
	v_cmp_ne_u64_e64 s18, 0, v[10:11]
	v_mov_b64_e32 v[14:15], s[48:49]
	v_mov_b64_e32 v[16:17], v[4:5]
	s_mov_b32 s31, 0
	s_branch .LBB98_18
.LBB98_17:                              ;   in Loop: Header=BB98_18 Depth=2
	s_wait_xcnt 0x0
	s_or_b32 exec_lo, exec_lo, s19
	v_add_nc_u64_e32 v[16:17], 32, v[16:17]
	s_delay_alu instid0(VALU_DEP_1) | instskip(SKIP_1) | instid1(SALU_CYCLE_1)
	v_cmp_le_i64_e32 vcc_lo, s[34:35], v[16:17]
	s_or_b32 s31, vcc_lo, s31
	s_and_not1_b32 exec_lo, exec_lo, s31
	s_cbranch_execz .LBB98_36
.LBB98_18:                              ;   Parent Loop BB98_11 Depth=1
                                        ; =>  This Loop Header: Depth=2
                                        ;       Child Loop BB98_24 Depth 3
	s_delay_alu instid0(VALU_DEP_1)
	v_lshl_add_u64 v[18:19], v[16:17], 3, s[36:37]
	v_lshl_add_u64 v[20:21], v[16:17], 2, s[38:39]
	s_and_b32 vcc_lo, exec_lo, s18
	s_wait_dscnt 0x0
	global_load_b64 v[22:23], v[18:19], off
	global_load_b32 v24, v[20:21], off
	s_wait_xcnt 0x1
	v_lshl_add_u64 v[18:19], v[16:17], 3, s[46:47]
	s_cbranch_vccz .LBB98_35
; %bb.19:                               ;   in Loop: Header=BB98_18 Depth=2
	global_load_b64 v[20:21], v[18:19], off
	s_wait_loadcnt 0x2
	v_sub_nc_u64_e64 v[22:23], v[22:23], s[28:29]
	s_delay_alu instid0(VALU_DEP_1)
	v_lshl_add_u64 v[22:23], v[22:23], 3, s[40:41]
	s_cbranch_execnz .LBB98_21
.LBB98_20:                              ;   in Loop: Header=BB98_18 Depth=2
	s_wait_loadcnt 0x0
	global_load_b64 v[20:21], v[22:23], off
	s_wait_loadcnt 0x0
	v_sub_nc_u64_e64 v[20:21], v[20:21], s[52:53]
.LBB98_21:                              ;   in Loop: Header=BB98_18 Depth=2
	global_load_b64 v[22:23], v[22:23], off offset:8
	s_wait_loadcnt 0x1
	s_wait_xcnt 0x1
	v_add_nc_u64_e32 v[20:21], v[20:21], v[2:3]
	s_mov_b32 s58, exec_lo
	s_wait_loadcnt 0x0
	s_wait_xcnt 0x0
	v_sub_nc_u64_e64 v[22:23], v[22:23], s[52:53]
	s_delay_alu instid0(VALU_DEP_1)
	v_cmpx_lt_i64_e64 v[20:21], v[22:23]
	s_cbranch_execz .LBB98_33
; %bb.22:                               ;   in Loop: Header=BB98_18 Depth=2
	v_mov_b64_e32 v[32:33], v[20:21]
	v_mul_f32_e32 v41, s33, v24
	v_lshl_add_u64 v[24:25], v[20:21], 3, s[42:43]
	v_lshl_add_u64 v[26:27], v[20:21], 2, s[50:51]
	s_mov_b32 s60, 0
                                        ; implicit-def: $sgpr59
                                        ; implicit-def: $sgpr61
	s_branch .LBB98_24
.LBB98_23:                              ;   in Loop: Header=BB98_24 Depth=3
	s_or_b32 exec_lo, exec_lo, s62
	s_delay_alu instid0(SALU_CYCLE_1) | instskip(NEXT) | instid1(SALU_CYCLE_1)
	s_and_b32 s19, exec_lo, s20
	s_or_b32 s60, s19, s60
	s_and_not1_b32 s19, s59, exec_lo
	s_and_b32 s20, s61, exec_lo
	s_delay_alu instid0(SALU_CYCLE_1)
	s_or_b32 s59, s19, s20
	s_and_not1_b32 exec_lo, exec_lo, s60
	s_cbranch_execz .LBB98_30
.LBB98_24:                              ;   Parent Loop BB98_11 Depth=1
                                        ;     Parent Loop BB98_18 Depth=2
                                        ; =>    This Inner Loop Header: Depth=3
	global_load_b64 v[28:29], v[24:25], off
	v_mov_b64_e32 v[30:31], v[32:33]
	s_wait_loadcnt 0x0
	v_sub_nc_u64_e64 v[28:29], v[28:29], s[52:53]
	s_delay_alu instid0(VALU_DEP_1)
	v_cmp_lt_i64_e64 s19, v[28:29], v[10:11]
	v_cmp_ge_i64_e64 s20, v[28:29], v[12:13]
	v_cmp_lt_i64_e32 vcc_lo, v[28:29], v[12:13]
	s_or_b32 s20, s19, s20
	s_mov_b32 s19, 0
	s_wait_xcnt 0x0
	s_and_saveexec_b32 s62, s20
	s_delay_alu instid0(SALU_CYCLE_1)
	s_xor_b32 s20, exec_lo, s62
; %bb.25:                               ;   in Loop: Header=BB98_24 Depth=3
	s_and_b32 s19, vcc_lo, exec_lo
; %bb.26:                               ;   in Loop: Header=BB98_24 Depth=3
	s_and_not1_saveexec_b32 s20, s20
	s_cbranch_execz .LBB98_28
; %bb.27:                               ;   in Loop: Header=BB98_24 Depth=3
	global_load_b32 v32, v[26:27], off
	v_sub_nc_u32_e32 v33, v28, v10
	s_or_b32 s19, s19, exec_lo
	s_wait_loadcnt 0x0
	s_delay_alu instid0(VALU_DEP_1)
	v_dual_mul_f32 v32, v41, v32 :: v_dual_lshlrev_b32 v42, 2, v33
	ds_store_b8 v33, v40 offset:8192
	ds_add_f32 v42, v32
.LBB98_28:                              ;   in Loop: Header=BB98_24 Depth=3
	s_wait_xcnt 0x0
	s_or_b32 exec_lo, exec_lo, s20
	s_mov_b32 s20, -1
	s_or_b32 s61, s61, exec_lo
                                        ; implicit-def: $vgpr32_vgpr33
	s_and_saveexec_b32 s62, s19
	s_cbranch_execz .LBB98_23
; %bb.29:                               ;   in Loop: Header=BB98_24 Depth=3
	v_add_nc_u64_e32 v[32:33], 16, v[30:31]
	v_add_nc_u64_e32 v[24:25], 0x80, v[24:25]
	;; [unrolled: 1-line block ×3, first 2 shown]
	s_and_not1_b32 s61, s61, exec_lo
	s_delay_alu instid0(VALU_DEP_3)
	v_cmp_ge_i64_e32 vcc_lo, v[32:33], v[22:23]
	s_or_not1_b32 s20, vcc_lo, exec_lo
	s_branch .LBB98_23
.LBB98_30:                              ;   in Loop: Header=BB98_18 Depth=2
	s_or_b32 exec_lo, exec_lo, s60
	s_and_saveexec_b32 s19, s59
	s_delay_alu instid0(SALU_CYCLE_1)
	s_xor_b32 s19, exec_lo, s19
	s_cbranch_execz .LBB98_32
; %bb.31:                               ;   in Loop: Header=BB98_18 Depth=2
	v_min_i64 v[14:15], v[28:29], v[14:15]
	v_mov_b64_e32 v[20:21], v[30:31]
.LBB98_32:                              ;   in Loop: Header=BB98_18 Depth=2
	s_or_b32 exec_lo, exec_lo, s19
.LBB98_33:                              ;   in Loop: Header=BB98_18 Depth=2
	s_delay_alu instid0(SALU_CYCLE_1)
	s_or_b32 exec_lo, exec_lo, s58
	ds_bpermute_b32 v22, v34, v20
	ds_bpermute_b32 v23, v34, v21
	s_wait_dscnt 0x0
	v_min_i64 v[20:21], v[22:23], v[20:21]
	ds_bpermute_b32 v22, v35, v20
	ds_bpermute_b32 v23, v35, v21
	s_wait_dscnt 0x0
	v_min_i64 v[20:21], v[22:23], v[20:21]
	;; [unrolled: 4-line block ×3, first 2 shown]
	ds_bpermute_b32 v22, v37, v20
	ds_bpermute_b32 v23, v37, v21
	s_and_saveexec_b32 s19, s2
	s_cbranch_execz .LBB98_17
; %bb.34:                               ;   in Loop: Header=BB98_18 Depth=2
	s_wait_dscnt 0x0
	v_min_i64 v[20:21], v[22:23], v[20:21]
	global_store_b64 v[18:19], v[20:21], off
	s_branch .LBB98_17
.LBB98_35:                              ;   in Loop: Header=BB98_18 Depth=2
                                        ; implicit-def: $vgpr20_vgpr21
	s_wait_loadcnt 0x1
	v_sub_nc_u64_e64 v[22:23], v[22:23], s[28:29]
	s_delay_alu instid0(VALU_DEP_1)
	v_lshl_add_u64 v[22:23], v[22:23], 3, s[40:41]
	s_branch .LBB98_20
.LBB98_36:                              ;   in Loop: Header=BB98_11 Depth=1
	s_or_b32 exec_lo, exec_lo, s31
.LBB98_37:                              ;   in Loop: Header=BB98_11 Depth=1
	s_delay_alu instid0(SALU_CYCLE_1) | instskip(NEXT) | instid1(SALU_CYCLE_1)
	s_or_b32 exec_lo, exec_lo, s21
	s_and_not1_b32 vcc_lo, exec_lo, s56
	s_cbranch_vccnz .LBB98_51
; %bb.38:                               ;   in Loop: Header=BB98_11 Depth=1
	s_load_b128 s[60:63], s[26:27], 0x0
	s_mov_b32 s31, exec_lo
	s_wait_kmcnt 0x0
	v_add_nc_u64_e32 v[16:17], s[60:61], v[8:9]
	s_sub_nc_u64 s[20:21], s[62:63], s[54:55]
	s_delay_alu instid0(VALU_DEP_1) | instid1(SALU_CYCLE_1)
	v_cmpx_gt_i64_e64 s[20:21], v[16:17]
	s_cbranch_execz .LBB98_50
; %bb.39:                               ;   in Loop: Header=BB98_11 Depth=1
	v_lshl_add_u64 v[18:19], v[16:17], 3, s[22:23]
	v_lshl_add_u64 v[20:21], v[16:17], 2, s[24:25]
	s_mov_b32 s58, 0
                                        ; implicit-def: $sgpr59
                                        ; implicit-def: $sgpr60
	s_branch .LBB98_41
.LBB98_40:                              ;   in Loop: Header=BB98_41 Depth=2
	s_or_b32 exec_lo, exec_lo, s61
	s_delay_alu instid0(SALU_CYCLE_1) | instskip(NEXT) | instid1(SALU_CYCLE_1)
	s_and_b32 s18, exec_lo, s19
	s_or_b32 s58, s18, s58
	s_and_not1_b32 s18, s59, exec_lo
	s_and_b32 s19, s60, exec_lo
	s_delay_alu instid0(SALU_CYCLE_1)
	s_or_b32 s59, s18, s19
	s_and_not1_b32 exec_lo, exec_lo, s58
	s_cbranch_execz .LBB98_47
.LBB98_41:                              ;   Parent Loop BB98_11 Depth=1
                                        ; =>  This Inner Loop Header: Depth=2
	s_wait_dscnt 0x0
	global_load_b64 v[22:23], v[18:19], off
	s_wait_loadcnt 0x0
	v_sub_nc_u64_e64 v[22:23], v[22:23], s[54:55]
	s_delay_alu instid0(VALU_DEP_1)
	v_cmp_lt_i64_e64 s18, v[22:23], v[10:11]
	v_cmp_ge_i64_e64 s19, v[22:23], v[12:13]
	v_cmp_lt_i64_e32 vcc_lo, v[22:23], v[12:13]
	s_or_b32 s19, s18, s19
	s_mov_b32 s18, 0
	s_wait_xcnt 0x0
	s_and_saveexec_b32 s61, s19
	s_delay_alu instid0(SALU_CYCLE_1)
	s_xor_b32 s19, exec_lo, s61
; %bb.42:                               ;   in Loop: Header=BB98_41 Depth=2
	s_and_b32 s18, vcc_lo, exec_lo
; %bb.43:                               ;   in Loop: Header=BB98_41 Depth=2
	s_and_not1_saveexec_b32 s19, s19
	s_cbranch_execz .LBB98_45
; %bb.44:                               ;   in Loop: Header=BB98_41 Depth=2
	global_load_b32 v24, v[20:21], off
	v_sub_nc_u32_e32 v25, v22, v10
	s_or_b32 s18, s18, exec_lo
	s_wait_loadcnt 0x0
	s_delay_alu instid0(VALU_DEP_1)
	v_dual_mul_f32 v24, s57, v24 :: v_dual_lshlrev_b32 v26, 2, v25
	ds_store_b8 v25, v40 offset:8192
	ds_add_f32 v26, v24
.LBB98_45:                              ;   in Loop: Header=BB98_41 Depth=2
	s_wait_xcnt 0x0
	s_or_b32 exec_lo, exec_lo, s19
	s_mov_b32 s19, -1
	s_or_b32 s60, s60, exec_lo
	s_and_saveexec_b32 s61, s18
	s_cbranch_execz .LBB98_40
; %bb.46:                               ;   in Loop: Header=BB98_41 Depth=2
	v_add_nc_u64_e32 v[16:17], 0x200, v[16:17]
	v_add_nc_u64_e32 v[18:19], 0x1000, v[18:19]
	;; [unrolled: 1-line block ×3, first 2 shown]
	s_and_not1_b32 s60, s60, exec_lo
	s_delay_alu instid0(VALU_DEP_3)
	v_cmp_le_i64_e32 vcc_lo, s[20:21], v[16:17]
	s_or_not1_b32 s19, vcc_lo, exec_lo
	s_branch .LBB98_40
.LBB98_47:                              ;   in Loop: Header=BB98_11 Depth=1
	s_or_b32 exec_lo, exec_lo, s58
	s_and_saveexec_b32 s18, s59
	s_delay_alu instid0(SALU_CYCLE_1)
	s_xor_b32 s18, exec_lo, s18
; %bb.48:                               ;   in Loop: Header=BB98_11 Depth=1
	v_min_i64 v[14:15], v[22:23], v[14:15]
; %bb.49:                               ;   in Loop: Header=BB98_11 Depth=1
	s_or_b32 exec_lo, exec_lo, s18
.LBB98_50:                              ;   in Loop: Header=BB98_11 Depth=1
	s_delay_alu instid0(SALU_CYCLE_1)
	s_or_b32 exec_lo, exec_lo, s31
.LBB98_51:                              ;   in Loop: Header=BB98_11 Depth=1
	ds_bpermute_b32 v10, v34, v14
	ds_bpermute_b32 v11, v34, v15
	s_wait_dscnt 0x0
	v_min_i64 v[10:11], v[10:11], v[14:15]
	ds_bpermute_b32 v12, v35, v10
	ds_bpermute_b32 v13, v35, v11
	s_wait_dscnt 0x0
	v_min_i64 v[10:11], v[12:13], v[10:11]
	;; [unrolled: 4-line block ×3, first 2 shown]
	ds_bpermute_b32 v12, v37, v10
	ds_bpermute_b32 v13, v37, v11
	s_and_saveexec_b32 s18, s2
	s_cbranch_execz .LBB98_56
; %bb.52:                               ;   in Loop: Header=BB98_11 Depth=1
	s_wait_dscnt 0x0
	v_min_i64 v[12:13], v[12:13], v[10:11]
	v_mov_b64_e32 v[10:11], -1
	s_mov_b32 s19, exec_lo
.LBB98_53:                              ;   Parent Loop BB98_11 Depth=1
                                        ; =>  This Inner Loop Header: Depth=2
	s_delay_alu instid0(SALU_CYCLE_1)
	s_ctz_i32_b32 s31, s19
	s_delay_alu instid0(VALU_DEP_2) | instid1(SALU_CYCLE_1)
	v_readlane_b32 s21, v13, s31
	s_delay_alu instid0(VALU_DEP_3) | instskip(NEXT) | instid1(VALU_DEP_1)
	v_readlane_b32 s20, v12, s31
	v_min_u64 v[10:11], v[10:11], s[20:21]
	s_lshl_b32 s20, 1, s31
	s_delay_alu instid0(SALU_CYCLE_1) | instskip(NEXT) | instid1(SALU_CYCLE_1)
	s_and_not1_b32 s19, s19, s20
	s_cmp_lg_u32 s19, 0
	s_cbranch_scc1 .LBB98_53
; %bb.54:                               ;   in Loop: Header=BB98_11 Depth=1
	v_mbcnt_lo_u32_b32 v12, exec_lo, 0
	s_mov_b32 s19, exec_lo
	s_delay_alu instid0(VALU_DEP_1)
	v_cmpx_eq_u32_e32 0, v12
	s_xor_b32 s19, exec_lo, s19
; %bb.55:                               ;   in Loop: Header=BB98_11 Depth=1
	ds_min_u64 v3, v[10:11] offset:10240
.LBB98_56:                              ;   in Loop: Header=BB98_11 Depth=1
	s_or_b32 exec_lo, exec_lo, s18
	s_wait_dscnt 0x0
	v_dual_mov_b32 v12, v39 :: v_dual_mov_b32 v13, v38
	s_mov_b32 s18, 0
	s_wait_storecnt 0x0
	s_barrier_signal -1
	s_barrier_wait -1
	s_branch .LBB98_58
.LBB98_57:                              ;   in Loop: Header=BB98_58 Depth=2
	s_or_b32 exec_lo, exec_lo, s19
	s_wait_storecnt_dscnt 0x0
	s_barrier_signal -1
	s_barrier_wait -1
	ds_load_b32 v10, v3 offset:60
	v_add_nc_u32_e32 v13, 0x200, v13
	v_add_nc_u32_e32 v12, 0x800, v12
	s_delay_alu instid0(VALU_DEP_2) | instskip(SKIP_3) | instid1(VALU_DEP_1)
	v_cmp_lt_u32_e32 vcc_lo, 0x5ff, v13
	s_or_b32 s18, vcc_lo, s18
	s_wait_dscnt 0x0
	v_ashrrev_i32_e32 v11, 31, v10
	v_add_nc_u64_e32 v[0:1], v[0:1], v[10:11]
	s_and_not1_b32 exec_lo, exec_lo, s18
	s_cbranch_execz .LBB98_10
.LBB98_58:                              ;   Parent Loop BB98_11 Depth=1
                                        ; =>  This Inner Loop Header: Depth=2
	ds_load_u8 v10, v13 offset:8704
	ds_load_b32 v14, v12
	s_wait_dscnt 0x0
	s_barrier_signal -1
	s_barrier_wait -1
	v_cmp_ne_u16_e32 vcc_lo, 0, v10
	s_bcnt1_i32_b32 s19, vcc_lo
	s_delay_alu instid0(SALU_CYCLE_1)
	v_mov_b32_e32 v11, s19
	s_mov_b32 s19, exec_lo
	ds_store_b32 v7, v11
	s_wait_dscnt 0x0
	s_barrier_signal -1
	s_barrier_wait -1
	ds_load_b128 v[16:19], v3
	ds_load_b128 v[20:23], v3 offset:16
	v_and_b32_e32 v11, vcc_lo, v6
	ds_load_b128 v[24:27], v3 offset:32
	s_wait_dscnt 0x2
	v_cndmask_b32_e64 v15, v16, 0, s3
	v_cndmask_b32_e64 v28, v17, 0, s4
	;; [unrolled: 1-line block ×3, first 2 shown]
	ds_load_b96 v[16:18], v3 offset:48
	v_bcnt_u32_b32 v11, v11, v15
	v_cndmask_b32_e64 v15, v19, 0, s6
	s_wait_dscnt 0x2
	v_cndmask_b32_e64 v19, v20, 0, s7
	v_cndmask_b32_e64 v20, v21, 0, s8
	;; [unrolled: 1-line block ×3, first 2 shown]
	v_add3_u32 v11, v11, v28, v29
	s_delay_alu instid0(VALU_DEP_1) | instskip(SKIP_3) | instid1(VALU_DEP_3)
	v_add3_u32 v11, v11, v15, v19
	v_cndmask_b32_e64 v15, v23, 0, s10
	s_wait_dscnt 0x1
	v_cndmask_b32_e64 v19, v24, 0, s11
	v_add3_u32 v11, v11, v20, v21
	v_cndmask_b32_e64 v20, v25, 0, s12
	v_cndmask_b32_e64 v21, v26, 0, s13
	s_wait_dscnt 0x0
	v_cndmask_b32_e64 v16, v16, 0, s15
	v_cndmask_b32_e64 v17, v17, 0, s16
	v_add3_u32 v11, v11, v15, v19
	v_cndmask_b32_e64 v15, v27, 0, s14
	v_cndmask_b32_e64 v18, v18, 0, s17
	s_delay_alu instid0(VALU_DEP_3) | instskip(NEXT) | instid1(VALU_DEP_1)
	v_add3_u32 v11, v11, v20, v21
	v_add3_u32 v11, v11, v15, v16
	v_and_b32_e32 v15, 1, v10
	s_delay_alu instid0(VALU_DEP_2) | instskip(NEXT) | instid1(VALU_DEP_2)
	v_add3_u32 v10, v11, v17, v18
	v_cmpx_eq_u32_e32 1, v15
	s_cbranch_execz .LBB98_60
; %bb.59:                               ;   in Loop: Header=BB98_58 Depth=2
	v_lshl_add_u64 v[16:17], v[0:1], 2, s[44:45]
	s_delay_alu instid0(VALU_DEP_3) | instskip(NEXT) | instid1(VALU_DEP_1)
	v_ashrrev_i32_e32 v11, 31, v10
	v_lshl_add_u64 v[16:17], v[10:11], 2, v[16:17]
	global_store_b32 v[16:17], v14, off offset:-4
.LBB98_60:                              ;   in Loop: Header=BB98_58 Depth=2
	s_wait_xcnt 0x0
	s_or_b32 exec_lo, exec_lo, s19
	s_and_saveexec_b32 s19, s1
	s_cbranch_execz .LBB98_57
; %bb.61:                               ;   in Loop: Header=BB98_58 Depth=2
	ds_store_b32 v3, v10 offset:60
	s_branch .LBB98_57
.LBB98_62:
	s_endpgm
	.section	.rodata,"a",@progbits
	.p2align	6, 0x0
	.amdhsa_kernel _ZN9rocsparseL51csrgemm_numeric_fill_block_per_row_multipass_kernelILj512ELj16ELj2048ELj32EllfEEvT4_PKS1_S3_NS_24const_host_device_scalarIT5_EEPKT3_S3_PKS5_S9_S3_SB_S6_S9_S3_SB_S9_S3_PS5_PS7_21rocsparse_index_base_SE_SE_SE_bbb
		.amdhsa_group_segment_fixed_size 10248
		.amdhsa_private_segment_fixed_size 0
		.amdhsa_kernarg_size 164
		.amdhsa_user_sgpr_count 2
		.amdhsa_user_sgpr_dispatch_ptr 0
		.amdhsa_user_sgpr_queue_ptr 0
		.amdhsa_user_sgpr_kernarg_segment_ptr 1
		.amdhsa_user_sgpr_dispatch_id 0
		.amdhsa_user_sgpr_kernarg_preload_length 0
		.amdhsa_user_sgpr_kernarg_preload_offset 0
		.amdhsa_user_sgpr_private_segment_size 0
		.amdhsa_wavefront_size32 1
		.amdhsa_uses_dynamic_stack 0
		.amdhsa_enable_private_segment 0
		.amdhsa_system_sgpr_workgroup_id_x 1
		.amdhsa_system_sgpr_workgroup_id_y 0
		.amdhsa_system_sgpr_workgroup_id_z 0
		.amdhsa_system_sgpr_workgroup_info 0
		.amdhsa_system_vgpr_workitem_id 0
		.amdhsa_next_free_vgpr 43
		.amdhsa_next_free_sgpr 64
		.amdhsa_named_barrier_count 0
		.amdhsa_reserve_vcc 1
		.amdhsa_float_round_mode_32 0
		.amdhsa_float_round_mode_16_64 0
		.amdhsa_float_denorm_mode_32 3
		.amdhsa_float_denorm_mode_16_64 3
		.amdhsa_fp16_overflow 0
		.amdhsa_memory_ordered 1
		.amdhsa_forward_progress 1
		.amdhsa_inst_pref_size 23
		.amdhsa_round_robin_scheduling 0
		.amdhsa_exception_fp_ieee_invalid_op 0
		.amdhsa_exception_fp_denorm_src 0
		.amdhsa_exception_fp_ieee_div_zero 0
		.amdhsa_exception_fp_ieee_overflow 0
		.amdhsa_exception_fp_ieee_underflow 0
		.amdhsa_exception_fp_ieee_inexact 0
		.amdhsa_exception_int_div_zero 0
	.end_amdhsa_kernel
	.section	.text._ZN9rocsparseL51csrgemm_numeric_fill_block_per_row_multipass_kernelILj512ELj16ELj2048ELj32EllfEEvT4_PKS1_S3_NS_24const_host_device_scalarIT5_EEPKT3_S3_PKS5_S9_S3_SB_S6_S9_S3_SB_S9_S3_PS5_PS7_21rocsparse_index_base_SE_SE_SE_bbb,"axG",@progbits,_ZN9rocsparseL51csrgemm_numeric_fill_block_per_row_multipass_kernelILj512ELj16ELj2048ELj32EllfEEvT4_PKS1_S3_NS_24const_host_device_scalarIT5_EEPKT3_S3_PKS5_S9_S3_SB_S6_S9_S3_SB_S9_S3_PS5_PS7_21rocsparse_index_base_SE_SE_SE_bbb,comdat
.Lfunc_end98:
	.size	_ZN9rocsparseL51csrgemm_numeric_fill_block_per_row_multipass_kernelILj512ELj16ELj2048ELj32EllfEEvT4_PKS1_S3_NS_24const_host_device_scalarIT5_EEPKT3_S3_PKS5_S9_S3_SB_S6_S9_S3_SB_S9_S3_PS5_PS7_21rocsparse_index_base_SE_SE_SE_bbb, .Lfunc_end98-_ZN9rocsparseL51csrgemm_numeric_fill_block_per_row_multipass_kernelILj512ELj16ELj2048ELj32EllfEEvT4_PKS1_S3_NS_24const_host_device_scalarIT5_EEPKT3_S3_PKS5_S9_S3_SB_S6_S9_S3_SB_S9_S3_PS5_PS7_21rocsparse_index_base_SE_SE_SE_bbb
                                        ; -- End function
	.set _ZN9rocsparseL51csrgemm_numeric_fill_block_per_row_multipass_kernelILj512ELj16ELj2048ELj32EllfEEvT4_PKS1_S3_NS_24const_host_device_scalarIT5_EEPKT3_S3_PKS5_S9_S3_SB_S6_S9_S3_SB_S9_S3_PS5_PS7_21rocsparse_index_base_SE_SE_SE_bbb.num_vgpr, 43
	.set _ZN9rocsparseL51csrgemm_numeric_fill_block_per_row_multipass_kernelILj512ELj16ELj2048ELj32EllfEEvT4_PKS1_S3_NS_24const_host_device_scalarIT5_EEPKT3_S3_PKS5_S9_S3_SB_S6_S9_S3_SB_S9_S3_PS5_PS7_21rocsparse_index_base_SE_SE_SE_bbb.num_agpr, 0
	.set _ZN9rocsparseL51csrgemm_numeric_fill_block_per_row_multipass_kernelILj512ELj16ELj2048ELj32EllfEEvT4_PKS1_S3_NS_24const_host_device_scalarIT5_EEPKT3_S3_PKS5_S9_S3_SB_S6_S9_S3_SB_S9_S3_PS5_PS7_21rocsparse_index_base_SE_SE_SE_bbb.numbered_sgpr, 64
	.set _ZN9rocsparseL51csrgemm_numeric_fill_block_per_row_multipass_kernelILj512ELj16ELj2048ELj32EllfEEvT4_PKS1_S3_NS_24const_host_device_scalarIT5_EEPKT3_S3_PKS5_S9_S3_SB_S6_S9_S3_SB_S9_S3_PS5_PS7_21rocsparse_index_base_SE_SE_SE_bbb.num_named_barrier, 0
	.set _ZN9rocsparseL51csrgemm_numeric_fill_block_per_row_multipass_kernelILj512ELj16ELj2048ELj32EllfEEvT4_PKS1_S3_NS_24const_host_device_scalarIT5_EEPKT3_S3_PKS5_S9_S3_SB_S6_S9_S3_SB_S9_S3_PS5_PS7_21rocsparse_index_base_SE_SE_SE_bbb.private_seg_size, 0
	.set _ZN9rocsparseL51csrgemm_numeric_fill_block_per_row_multipass_kernelILj512ELj16ELj2048ELj32EllfEEvT4_PKS1_S3_NS_24const_host_device_scalarIT5_EEPKT3_S3_PKS5_S9_S3_SB_S6_S9_S3_SB_S9_S3_PS5_PS7_21rocsparse_index_base_SE_SE_SE_bbb.uses_vcc, 1
	.set _ZN9rocsparseL51csrgemm_numeric_fill_block_per_row_multipass_kernelILj512ELj16ELj2048ELj32EllfEEvT4_PKS1_S3_NS_24const_host_device_scalarIT5_EEPKT3_S3_PKS5_S9_S3_SB_S6_S9_S3_SB_S9_S3_PS5_PS7_21rocsparse_index_base_SE_SE_SE_bbb.uses_flat_scratch, 0
	.set _ZN9rocsparseL51csrgemm_numeric_fill_block_per_row_multipass_kernelILj512ELj16ELj2048ELj32EllfEEvT4_PKS1_S3_NS_24const_host_device_scalarIT5_EEPKT3_S3_PKS5_S9_S3_SB_S6_S9_S3_SB_S9_S3_PS5_PS7_21rocsparse_index_base_SE_SE_SE_bbb.has_dyn_sized_stack, 0
	.set _ZN9rocsparseL51csrgemm_numeric_fill_block_per_row_multipass_kernelILj512ELj16ELj2048ELj32EllfEEvT4_PKS1_S3_NS_24const_host_device_scalarIT5_EEPKT3_S3_PKS5_S9_S3_SB_S6_S9_S3_SB_S9_S3_PS5_PS7_21rocsparse_index_base_SE_SE_SE_bbb.has_recursion, 0
	.set _ZN9rocsparseL51csrgemm_numeric_fill_block_per_row_multipass_kernelILj512ELj16ELj2048ELj32EllfEEvT4_PKS1_S3_NS_24const_host_device_scalarIT5_EEPKT3_S3_PKS5_S9_S3_SB_S6_S9_S3_SB_S9_S3_PS5_PS7_21rocsparse_index_base_SE_SE_SE_bbb.has_indirect_call, 0
	.section	.AMDGPU.csdata,"",@progbits
; Kernel info:
; codeLenInByte = 2912
; TotalNumSgprs: 66
; NumVgprs: 43
; ScratchSize: 0
; MemoryBound: 0
; FloatMode: 240
; IeeeMode: 1
; LDSByteSize: 10248 bytes/workgroup (compile time only)
; SGPRBlocks: 0
; VGPRBlocks: 2
; NumSGPRsForWavesPerEU: 66
; NumVGPRsForWavesPerEU: 43
; NamedBarCnt: 0
; Occupancy: 16
; WaveLimiterHint : 1
; COMPUTE_PGM_RSRC2:SCRATCH_EN: 0
; COMPUTE_PGM_RSRC2:USER_SGPR: 2
; COMPUTE_PGM_RSRC2:TRAP_HANDLER: 0
; COMPUTE_PGM_RSRC2:TGID_X_EN: 1
; COMPUTE_PGM_RSRC2:TGID_Y_EN: 0
; COMPUTE_PGM_RSRC2:TGID_Z_EN: 0
; COMPUTE_PGM_RSRC2:TIDIG_COMP_CNT: 0
	.section	.text._ZN9rocsparseL51csrgemm_numeric_fill_block_per_row_multipass_kernelILj512ELj16ELj2048ELj64EllfEEvT4_PKS1_S3_NS_24const_host_device_scalarIT5_EEPKT3_S3_PKS5_S9_S3_SB_S6_S9_S3_SB_S9_S3_PS5_PS7_21rocsparse_index_base_SE_SE_SE_bbb,"axG",@progbits,_ZN9rocsparseL51csrgemm_numeric_fill_block_per_row_multipass_kernelILj512ELj16ELj2048ELj64EllfEEvT4_PKS1_S3_NS_24const_host_device_scalarIT5_EEPKT3_S3_PKS5_S9_S3_SB_S6_S9_S3_SB_S9_S3_PS5_PS7_21rocsparse_index_base_SE_SE_SE_bbb,comdat
	.globl	_ZN9rocsparseL51csrgemm_numeric_fill_block_per_row_multipass_kernelILj512ELj16ELj2048ELj64EllfEEvT4_PKS1_S3_NS_24const_host_device_scalarIT5_EEPKT3_S3_PKS5_S9_S3_SB_S6_S9_S3_SB_S9_S3_PS5_PS7_21rocsparse_index_base_SE_SE_SE_bbb ; -- Begin function _ZN9rocsparseL51csrgemm_numeric_fill_block_per_row_multipass_kernelILj512ELj16ELj2048ELj64EllfEEvT4_PKS1_S3_NS_24const_host_device_scalarIT5_EEPKT3_S3_PKS5_S9_S3_SB_S6_S9_S3_SB_S9_S3_PS5_PS7_21rocsparse_index_base_SE_SE_SE_bbb
	.p2align	8
	.type	_ZN9rocsparseL51csrgemm_numeric_fill_block_per_row_multipass_kernelILj512ELj16ELj2048ELj64EllfEEvT4_PKS1_S3_NS_24const_host_device_scalarIT5_EEPKT3_S3_PKS5_S9_S3_SB_S6_S9_S3_SB_S9_S3_PS5_PS7_21rocsparse_index_base_SE_SE_SE_bbb,@function
_ZN9rocsparseL51csrgemm_numeric_fill_block_per_row_multipass_kernelILj512ELj16ELj2048ELj64EllfEEvT4_PKS1_S3_NS_24const_host_device_scalarIT5_EEPKT3_S3_PKS5_S9_S3_SB_S6_S9_S3_SB_S9_S3_PS5_PS7_21rocsparse_index_base_SE_SE_SE_bbb: ; @_ZN9rocsparseL51csrgemm_numeric_fill_block_per_row_multipass_kernelILj512ELj16ELj2048ELj64EllfEEvT4_PKS1_S3_NS_24const_host_device_scalarIT5_EEPKT3_S3_PKS5_S9_S3_SB_S6_S9_S3_SB_S9_S3_PS5_PS7_21rocsparse_index_base_SE_SE_SE_bbb
; %bb.0:
	s_clause 0x4
	s_load_b32 s8, s[0:1], 0xa0
	s_load_b64 s[6:7], s[0:1], 0x18
	s_load_b128 s[28:31], s[0:1], 0x90
	s_load_b64 s[2:3], s[0:1], 0x8
	s_load_b64 s[4:5], s[0:1], 0x50
	s_wait_kmcnt 0x0
	s_and_b32 s10, 1, s8
	s_bitcmp1_b32 s8, 16
	s_cselect_b32 s9, -1, 0
	s_cmp_eq_u32 s10, 1
	s_cselect_b32 s10, -1, 0
	s_delay_alu instid0(SALU_CYCLE_1) | instskip(SKIP_2) | instid1(SALU_CYCLE_1)
	s_and_b32 s11, s10, exec_lo
	s_cselect_b32 s33, s6, 0
	s_xor_b32 s11, s10, -1
	s_or_b32 s11, s9, s11
	s_delay_alu instid0(SALU_CYCLE_1)
	s_and_b32 vcc_lo, exec_lo, s11
	s_cbranch_vccnz .LBB99_2
; %bb.1:
	s_load_b32 s33, s[6:7], 0x0
.LBB99_2:
	s_wait_xcnt 0x0
	s_load_b64 s[6:7], s[0:1], 0x10
	s_bitcmp1_b32 s8, 8
	s_cselect_b32 s48, -1, 0
	s_delay_alu instid0(SALU_CYCLE_1) | instskip(SKIP_2) | instid1(SALU_CYCLE_1)
	s_and_b32 s8, s48, exec_lo
	s_cselect_b32 s49, s4, 0
	s_xor_b32 s8, s48, -1
	s_or_b32 s8, s9, s8
	s_delay_alu instid0(SALU_CYCLE_1)
	s_and_b32 vcc_lo, exec_lo, s8
	s_cbranch_vccnz .LBB99_4
; %bb.3:
	s_load_b32 s49, s[4:5], 0x0
.LBB99_4:
	s_nop 0
	s_load_b64 s[2:3], s[2:3], 0x0
	s_wait_xcnt 0x0
	s_bfe_u32 s4, ttmp6, 0x4000c
	s_and_b32 s5, ttmp6, 15
	s_add_co_i32 s4, s4, 1
	s_getreg_b32 s8, hwreg(HW_REG_IB_STS2, 6, 4)
	s_mul_i32 s4, ttmp9, s4
	s_mov_b64 s[34:35], 0
	s_add_co_i32 s9, s5, s4
	s_wait_kmcnt 0x0
	s_lshl_b64 s[2:3], s[2:3], 3
	s_cmp_eq_u32 s8, 0
	s_add_nc_u64 s[4:5], s[6:7], s[2:3]
	s_cselect_b32 s8, ttmp9, s9
	s_load_b64 s[6:7], s[0:1], 0x20
	s_load_b64 s[2:3], s[4:5], s8 offset:0x0 scale_offset
	s_mov_b32 s9, 0
	s_and_not1_b32 vcc_lo, exec_lo, s10
	s_wait_xcnt 0x0
	s_mov_b64 s[4:5], 0
	s_cbranch_vccz .LBB99_7
; %bb.5:
	s_and_not1_b32 vcc_lo, exec_lo, s10
	s_cbranch_vccz .LBB99_8
.LBB99_6:
	s_load_b64 s[40:41], s[0:1], 0x0
	s_wait_kmcnt 0x0
	v_cmp_lt_i64_e64 s6, s[40:41], 1
	s_and_b32 vcc_lo, exec_lo, s6
	s_cbranch_vccz .LBB99_9
	s_branch .LBB99_62
.LBB99_7:
	s_wait_kmcnt 0x0
	s_lshl_b64 s[4:5], s[2:3], 3
	s_mov_b32 s8, s28
	s_add_nc_u64 s[4:5], s[6:7], s[4:5]
	s_load_b64 s[4:5], s[4:5], 0x0
	s_wait_kmcnt 0x0
	s_sub_nc_u64 s[4:5], s[4:5], s[8:9]
	s_and_not1_b32 vcc_lo, exec_lo, s10
	s_cbranch_vccnz .LBB99_6
.LBB99_8:
	s_wait_kmcnt 0x0
	s_lshl_b64 s[8:9], s[2:3], 3
	s_delay_alu instid0(SALU_CYCLE_1)
	s_add_nc_u64 s[6:7], s[6:7], s[8:9]
	s_mov_b32 s9, 0
	s_load_b64 s[6:7], s[6:7], 0x8
	s_mov_b32 s8, s28
	s_wait_kmcnt 0x0
	s_sub_nc_u64 s[34:35], s[6:7], s[8:9]
	s_load_b64 s[40:41], s[0:1], 0x0
	s_wait_kmcnt 0x0
	v_cmp_lt_i64_e64 s6, s[40:41], 1
	s_and_b32 vcc_lo, exec_lo, s6
	s_cbranch_vccnz .LBB99_62
.LBB99_9:
	s_clause 0x3
	s_load_b256 s[12:19], s[0:1], 0x58
	s_load_b128 s[36:39], s[0:1], 0x80
	s_load_b64 s[42:43], s[0:1], 0x48
	s_load_b256 s[20:27], s[0:1], 0x28
	v_mbcnt_lo_u32_b32 v6, -1, 0
	v_mov_b32_e32 v3, 0
	s_lshl_b64 s[50:51], s[2:3], 3
	v_dual_lshrrev_b32 v4, 4, v0 :: v_dual_bitop2_b32 v2, 15, v0 bitop3:0x40
	s_delay_alu instid0(VALU_DEP_2) | instskip(SKIP_3) | instid1(VALU_DEP_2)
	v_dual_mov_b32 v5, v3 :: v_dual_bitop2_b32 v8, 8, v6 bitop3:0x14
	v_mov_b32_e32 v1, v3
	s_mov_b32 s47, 0
	s_mov_b32 s46, s30
	v_cmp_gt_i32_e32 vcc_lo, 32, v8
	v_xor_b32_e32 v9, 4, v6
	s_wait_xcnt 0x0
	v_cmp_eq_u32_e64 s0, 0, v0
	v_cmp_eq_u32_e64 s1, 0x1ff, v0
	v_cmp_gt_u32_e64 s2, 64, v0
	v_cndmask_b32_e32 v8, v6, v8, vcc_lo
	s_wait_kmcnt 0x0
	s_add_nc_u64 s[6:7], s[18:19], s[50:51]
	v_cmp_gt_i32_e32 vcc_lo, 32, v9
	s_load_b64 s[6:7], s[6:7], 0x0
	v_xor_b32_e32 v10, 2, v6
	v_dual_lshlrev_b32 v34, 2, v8 :: v_dual_bitop2_b32 v11, 1, v6 bitop3:0x14
	v_cndmask_b32_e32 v9, v6, v9, vcc_lo
	v_cmp_gt_u32_e64 s8, 0x180, v0
	s_delay_alu instid0(VALU_DEP_4)
	v_cmp_gt_i32_e32 vcc_lo, 32, v10
	v_and_b32_e32 v7, 28, v4
	v_add_nc_u64_e32 v[4:5], s[4:5], v[4:5]
	v_cmp_gt_u32_e64 s4, 0x80, v0
	v_cmp_gt_u32_e64 s5, 0xc0, v0
	v_cndmask_b32_e32 v10, v6, v10, vcc_lo
	v_cmp_gt_i32_e32 vcc_lo, 32, v11
	v_dual_lshlrev_b32 v35, 2, v9 :: v_dual_bitop2_b32 v12, 31, v6 bitop3:0x14
	v_cmp_gt_u32_e64 s9, 0x1c0, v0
	s_delay_alu instid0(VALU_DEP_4) | instskip(SKIP_1) | instid1(VALU_DEP_4)
	v_dual_cndmask_b32 v11, v6, v11 :: v_dual_lshlrev_b32 v36, 2, v10
	v_cmp_gt_i64_e32 vcc_lo, s[34:35], v[4:5]
	v_lshrrev_b32_e64 v6, v12, -1
	s_wait_kmcnt 0x0
	s_sub_nc_u64 s[18:19], s[6:7], s[46:47]
	s_mov_b32 s46, s31
	v_dual_lshlrev_b32 v37, 2, v11 :: v_dual_lshlrev_b32 v39, 2, v0
	v_sub_nc_u64_e64 v[8:9], v[0:1], s[46:47]
	v_cmp_gt_u32_e64 s6, 0x100, v0
	v_cmp_gt_u32_e64 s7, 0x140, v0
	v_or_b32_e32 v38, 0xfffffe00, v0
	v_mov_b64_e32 v[10:11], 0
	v_mov_b64_e32 v[12:13], 0x800
	;; [unrolled: 1-line block ×3, first 2 shown]
	v_cmp_eq_u32_e64 s3, 15, v2
	v_mov_b32_e32 v40, 1
	s_mov_b32 s44, s29
	s_mov_b32 s29, s47
	;; [unrolled: 1-line block ×3, first 2 shown]
	s_add_nc_u64 s[18:19], s[12:13], s[50:51]
	s_and_b32 s30, s10, vcc_lo
	s_branch .LBB99_11
.LBB99_10:                              ;   in Loop: Header=BB99_11 Depth=1
	s_or_b32 exec_lo, exec_lo, s10
	ds_load_b64 v[10:11], v3 offset:10240
	s_wait_dscnt 0x0
	s_barrier_signal -1
	s_barrier_wait -1
	v_cmp_le_i64_e32 vcc_lo, s[40:41], v[10:11]
	v_add_nc_u64_e32 v[12:13], 0x800, v[10:11]
	s_cbranch_vccnz .LBB99_62
.LBB99_11:                              ; =>This Loop Header: Depth=1
                                        ;     Child Loop BB99_12 Depth 2
                                        ;     Child Loop BB99_18 Depth 2
                                        ;       Child Loop BB99_24 Depth 3
                                        ;     Child Loop BB99_41 Depth 2
                                        ;     Child Loop BB99_53 Depth 2
	;; [unrolled: 1-line block ×3, first 2 shown]
	v_dual_mov_b32 v14, v39 :: v_dual_mov_b32 v15, v38
	s_mov_b32 s10, 0
.LBB99_12:                              ;   Parent Loop BB99_11 Depth=1
                                        ; =>  This Inner Loop Header: Depth=2
	ds_store_b8 v15, v3 offset:8704
	v_add_nc_u32_e32 v15, 0x200, v15
	ds_store_b32 v14, v3
	v_add_nc_u32_e32 v14, 0x800, v14
	v_cmp_lt_u32_e32 vcc_lo, 0x5ff, v15
	s_or_b32 s10, vcc_lo, s10
	s_delay_alu instid0(SALU_CYCLE_1)
	s_and_not1_b32 exec_lo, exec_lo, s10
	s_cbranch_execnz .LBB99_12
; %bb.13:                               ;   in Loop: Header=BB99_11 Depth=1
	s_or_b32 exec_lo, exec_lo, s10
	s_and_saveexec_b32 s10, s0
; %bb.14:                               ;   in Loop: Header=BB99_11 Depth=1
	v_mov_b64_e32 v[14:15], s[40:41]
	ds_store_b64 v3, v[14:15] offset:10240
; %bb.15:                               ;   in Loop: Header=BB99_11 Depth=1
	s_or_b32 exec_lo, exec_lo, s10
	v_mov_b64_e32 v[14:15], s[40:41]
	s_wait_dscnt 0x0
	s_barrier_signal -1
	s_barrier_wait -1
	s_and_saveexec_b32 s13, s30
	s_cbranch_execz .LBB99_37
; %bb.16:                               ;   in Loop: Header=BB99_11 Depth=1
	v_cmp_ne_u64_e64 s10, 0, v[10:11]
	v_mov_b64_e32 v[14:15], s[40:41]
	v_mov_b64_e32 v[16:17], v[4:5]
	s_mov_b32 s31, 0
	s_branch .LBB99_18
.LBB99_17:                              ;   in Loop: Header=BB99_18 Depth=2
	s_wait_xcnt 0x0
	s_or_b32 exec_lo, exec_lo, s11
	v_add_nc_u64_e32 v[16:17], 32, v[16:17]
	s_delay_alu instid0(VALU_DEP_1) | instskip(SKIP_1) | instid1(SALU_CYCLE_1)
	v_cmp_le_i64_e32 vcc_lo, s[34:35], v[16:17]
	s_or_b32 s31, vcc_lo, s31
	s_and_not1_b32 exec_lo, exec_lo, s31
	s_cbranch_execz .LBB99_36
.LBB99_18:                              ;   Parent Loop BB99_11 Depth=1
                                        ; =>  This Loop Header: Depth=2
                                        ;       Child Loop BB99_24 Depth 3
	s_delay_alu instid0(VALU_DEP_1)
	v_lshl_add_u64 v[18:19], v[16:17], 3, s[20:21]
	v_lshl_add_u64 v[20:21], v[16:17], 2, s[22:23]
	s_and_b32 vcc_lo, exec_lo, s10
	s_wait_dscnt 0x0
	global_load_b64 v[22:23], v[18:19], off
	global_load_b32 v24, v[20:21], off
	s_wait_xcnt 0x1
	v_lshl_add_u64 v[18:19], v[16:17], 3, s[38:39]
	s_cbranch_vccz .LBB99_35
; %bb.19:                               ;   in Loop: Header=BB99_18 Depth=2
	global_load_b64 v[20:21], v[18:19], off
	s_wait_loadcnt 0x2
	v_sub_nc_u64_e64 v[22:23], v[22:23], s[28:29]
	s_delay_alu instid0(VALU_DEP_1)
	v_lshl_add_u64 v[22:23], v[22:23], 3, s[24:25]
	s_cbranch_execnz .LBB99_21
.LBB99_20:                              ;   in Loop: Header=BB99_18 Depth=2
	s_wait_loadcnt 0x0
	global_load_b64 v[20:21], v[22:23], off
	s_wait_loadcnt 0x0
	v_sub_nc_u64_e64 v[20:21], v[20:21], s[44:45]
.LBB99_21:                              ;   in Loop: Header=BB99_18 Depth=2
	global_load_b64 v[22:23], v[22:23], off offset:8
	s_wait_loadcnt 0x1
	s_wait_xcnt 0x1
	v_add_nc_u64_e32 v[20:21], v[20:21], v[2:3]
	s_mov_b32 s50, exec_lo
	s_wait_loadcnt 0x0
	s_wait_xcnt 0x0
	v_sub_nc_u64_e64 v[22:23], v[22:23], s[44:45]
	s_delay_alu instid0(VALU_DEP_1)
	v_cmpx_lt_i64_e64 v[20:21], v[22:23]
	s_cbranch_execz .LBB99_33
; %bb.22:                               ;   in Loop: Header=BB99_18 Depth=2
	v_mov_b64_e32 v[32:33], v[20:21]
	v_mul_f32_e32 v41, s33, v24
	v_lshl_add_u64 v[24:25], v[20:21], 3, s[26:27]
	v_lshl_add_u64 v[26:27], v[20:21], 2, s[42:43]
	s_mov_b32 s52, 0
                                        ; implicit-def: $sgpr51
                                        ; implicit-def: $sgpr53
	s_branch .LBB99_24
.LBB99_23:                              ;   in Loop: Header=BB99_24 Depth=3
	s_or_b32 exec_lo, exec_lo, s54
	s_delay_alu instid0(SALU_CYCLE_1) | instskip(NEXT) | instid1(SALU_CYCLE_1)
	s_and_b32 s11, exec_lo, s12
	s_or_b32 s52, s11, s52
	s_and_not1_b32 s11, s51, exec_lo
	s_and_b32 s12, s53, exec_lo
	s_delay_alu instid0(SALU_CYCLE_1)
	s_or_b32 s51, s11, s12
	s_and_not1_b32 exec_lo, exec_lo, s52
	s_cbranch_execz .LBB99_30
.LBB99_24:                              ;   Parent Loop BB99_11 Depth=1
                                        ;     Parent Loop BB99_18 Depth=2
                                        ; =>    This Inner Loop Header: Depth=3
	global_load_b64 v[28:29], v[24:25], off
	v_mov_b64_e32 v[30:31], v[32:33]
	s_wait_loadcnt 0x0
	v_sub_nc_u64_e64 v[28:29], v[28:29], s[44:45]
	s_delay_alu instid0(VALU_DEP_1)
	v_cmp_lt_i64_e64 s11, v[28:29], v[10:11]
	v_cmp_ge_i64_e64 s12, v[28:29], v[12:13]
	v_cmp_lt_i64_e32 vcc_lo, v[28:29], v[12:13]
	s_or_b32 s12, s11, s12
	s_mov_b32 s11, 0
	s_wait_xcnt 0x0
	s_and_saveexec_b32 s54, s12
	s_delay_alu instid0(SALU_CYCLE_1)
	s_xor_b32 s12, exec_lo, s54
; %bb.25:                               ;   in Loop: Header=BB99_24 Depth=3
	s_and_b32 s11, vcc_lo, exec_lo
; %bb.26:                               ;   in Loop: Header=BB99_24 Depth=3
	s_and_not1_saveexec_b32 s12, s12
	s_cbranch_execz .LBB99_28
; %bb.27:                               ;   in Loop: Header=BB99_24 Depth=3
	global_load_b32 v32, v[26:27], off
	v_sub_nc_u32_e32 v33, v28, v10
	s_or_b32 s11, s11, exec_lo
	s_wait_loadcnt 0x0
	s_delay_alu instid0(VALU_DEP_1)
	v_dual_mul_f32 v32, v41, v32 :: v_dual_lshlrev_b32 v42, 2, v33
	ds_store_b8 v33, v40 offset:8192
	ds_add_f32 v42, v32
.LBB99_28:                              ;   in Loop: Header=BB99_24 Depth=3
	s_wait_xcnt 0x0
	s_or_b32 exec_lo, exec_lo, s12
	s_mov_b32 s12, -1
	s_or_b32 s53, s53, exec_lo
                                        ; implicit-def: $vgpr32_vgpr33
	s_and_saveexec_b32 s54, s11
	s_cbranch_execz .LBB99_23
; %bb.29:                               ;   in Loop: Header=BB99_24 Depth=3
	v_add_nc_u64_e32 v[32:33], 16, v[30:31]
	v_add_nc_u64_e32 v[24:25], 0x80, v[24:25]
	;; [unrolled: 1-line block ×3, first 2 shown]
	s_and_not1_b32 s53, s53, exec_lo
	s_delay_alu instid0(VALU_DEP_3)
	v_cmp_ge_i64_e32 vcc_lo, v[32:33], v[22:23]
	s_or_not1_b32 s12, vcc_lo, exec_lo
	s_branch .LBB99_23
.LBB99_30:                              ;   in Loop: Header=BB99_18 Depth=2
	s_or_b32 exec_lo, exec_lo, s52
	s_and_saveexec_b32 s11, s51
	s_delay_alu instid0(SALU_CYCLE_1)
	s_xor_b32 s11, exec_lo, s11
	s_cbranch_execz .LBB99_32
; %bb.31:                               ;   in Loop: Header=BB99_18 Depth=2
	v_min_i64 v[14:15], v[28:29], v[14:15]
	v_mov_b64_e32 v[20:21], v[30:31]
.LBB99_32:                              ;   in Loop: Header=BB99_18 Depth=2
	s_or_b32 exec_lo, exec_lo, s11
.LBB99_33:                              ;   in Loop: Header=BB99_18 Depth=2
	s_delay_alu instid0(SALU_CYCLE_1)
	s_or_b32 exec_lo, exec_lo, s50
	ds_bpermute_b32 v22, v34, v20
	ds_bpermute_b32 v23, v34, v21
	s_wait_dscnt 0x0
	v_min_i64 v[20:21], v[22:23], v[20:21]
	ds_bpermute_b32 v22, v35, v20
	ds_bpermute_b32 v23, v35, v21
	s_wait_dscnt 0x0
	v_min_i64 v[20:21], v[22:23], v[20:21]
	;; [unrolled: 4-line block ×3, first 2 shown]
	ds_bpermute_b32 v22, v37, v20
	ds_bpermute_b32 v23, v37, v21
	s_and_saveexec_b32 s11, s3
	s_cbranch_execz .LBB99_17
; %bb.34:                               ;   in Loop: Header=BB99_18 Depth=2
	s_wait_dscnt 0x0
	v_min_i64 v[20:21], v[22:23], v[20:21]
	global_store_b64 v[18:19], v[20:21], off
	s_branch .LBB99_17
.LBB99_35:                              ;   in Loop: Header=BB99_18 Depth=2
                                        ; implicit-def: $vgpr20_vgpr21
	s_wait_loadcnt 0x1
	v_sub_nc_u64_e64 v[22:23], v[22:23], s[28:29]
	s_delay_alu instid0(VALU_DEP_1)
	v_lshl_add_u64 v[22:23], v[22:23], 3, s[24:25]
	s_branch .LBB99_20
.LBB99_36:                              ;   in Loop: Header=BB99_11 Depth=1
	s_or_b32 exec_lo, exec_lo, s31
.LBB99_37:                              ;   in Loop: Header=BB99_11 Depth=1
	s_delay_alu instid0(SALU_CYCLE_1) | instskip(NEXT) | instid1(SALU_CYCLE_1)
	s_or_b32 exec_lo, exec_lo, s13
	s_and_not1_b32 vcc_lo, exec_lo, s48
	s_cbranch_vccnz .LBB99_51
; %bb.38:                               ;   in Loop: Header=BB99_11 Depth=1
	s_load_b128 s[52:55], s[18:19], 0x0
	s_mov_b32 s31, exec_lo
	s_wait_kmcnt 0x0
	v_add_nc_u64_e32 v[16:17], s[52:53], v[8:9]
	s_sub_nc_u64 s[12:13], s[54:55], s[46:47]
	s_delay_alu instid0(VALU_DEP_1) | instid1(SALU_CYCLE_1)
	v_cmpx_gt_i64_e64 s[12:13], v[16:17]
	s_cbranch_execz .LBB99_50
; %bb.39:                               ;   in Loop: Header=BB99_11 Depth=1
	v_lshl_add_u64 v[18:19], v[16:17], 3, s[14:15]
	v_lshl_add_u64 v[20:21], v[16:17], 2, s[16:17]
	s_mov_b32 s50, 0
                                        ; implicit-def: $sgpr51
                                        ; implicit-def: $sgpr52
	s_branch .LBB99_41
.LBB99_40:                              ;   in Loop: Header=BB99_41 Depth=2
	s_or_b32 exec_lo, exec_lo, s53
	s_delay_alu instid0(SALU_CYCLE_1) | instskip(NEXT) | instid1(SALU_CYCLE_1)
	s_and_b32 s10, exec_lo, s11
	s_or_b32 s50, s10, s50
	s_and_not1_b32 s10, s51, exec_lo
	s_and_b32 s11, s52, exec_lo
	s_delay_alu instid0(SALU_CYCLE_1)
	s_or_b32 s51, s10, s11
	s_and_not1_b32 exec_lo, exec_lo, s50
	s_cbranch_execz .LBB99_47
.LBB99_41:                              ;   Parent Loop BB99_11 Depth=1
                                        ; =>  This Inner Loop Header: Depth=2
	s_wait_dscnt 0x0
	global_load_b64 v[22:23], v[18:19], off
	s_wait_loadcnt 0x0
	v_sub_nc_u64_e64 v[22:23], v[22:23], s[46:47]
	s_delay_alu instid0(VALU_DEP_1)
	v_cmp_lt_i64_e64 s10, v[22:23], v[10:11]
	v_cmp_ge_i64_e64 s11, v[22:23], v[12:13]
	v_cmp_lt_i64_e32 vcc_lo, v[22:23], v[12:13]
	s_or_b32 s11, s10, s11
	s_mov_b32 s10, 0
	s_wait_xcnt 0x0
	s_and_saveexec_b32 s53, s11
	s_delay_alu instid0(SALU_CYCLE_1)
	s_xor_b32 s11, exec_lo, s53
; %bb.42:                               ;   in Loop: Header=BB99_41 Depth=2
	s_and_b32 s10, vcc_lo, exec_lo
; %bb.43:                               ;   in Loop: Header=BB99_41 Depth=2
	s_and_not1_saveexec_b32 s11, s11
	s_cbranch_execz .LBB99_45
; %bb.44:                               ;   in Loop: Header=BB99_41 Depth=2
	global_load_b32 v24, v[20:21], off
	v_sub_nc_u32_e32 v25, v22, v10
	s_or_b32 s10, s10, exec_lo
	s_wait_loadcnt 0x0
	s_delay_alu instid0(VALU_DEP_1)
	v_dual_mul_f32 v24, s49, v24 :: v_dual_lshlrev_b32 v26, 2, v25
	ds_store_b8 v25, v40 offset:8192
	ds_add_f32 v26, v24
.LBB99_45:                              ;   in Loop: Header=BB99_41 Depth=2
	s_wait_xcnt 0x0
	s_or_b32 exec_lo, exec_lo, s11
	s_mov_b32 s11, -1
	s_or_b32 s52, s52, exec_lo
	s_and_saveexec_b32 s53, s10
	s_cbranch_execz .LBB99_40
; %bb.46:                               ;   in Loop: Header=BB99_41 Depth=2
	v_add_nc_u64_e32 v[16:17], 0x200, v[16:17]
	v_add_nc_u64_e32 v[18:19], 0x1000, v[18:19]
	;; [unrolled: 1-line block ×3, first 2 shown]
	s_and_not1_b32 s52, s52, exec_lo
	s_delay_alu instid0(VALU_DEP_3)
	v_cmp_le_i64_e32 vcc_lo, s[12:13], v[16:17]
	s_or_not1_b32 s11, vcc_lo, exec_lo
	s_branch .LBB99_40
.LBB99_47:                              ;   in Loop: Header=BB99_11 Depth=1
	s_or_b32 exec_lo, exec_lo, s50
	s_and_saveexec_b32 s10, s51
	s_delay_alu instid0(SALU_CYCLE_1)
	s_xor_b32 s10, exec_lo, s10
; %bb.48:                               ;   in Loop: Header=BB99_11 Depth=1
	v_min_i64 v[14:15], v[22:23], v[14:15]
; %bb.49:                               ;   in Loop: Header=BB99_11 Depth=1
	s_or_b32 exec_lo, exec_lo, s10
.LBB99_50:                              ;   in Loop: Header=BB99_11 Depth=1
	s_delay_alu instid0(SALU_CYCLE_1)
	s_or_b32 exec_lo, exec_lo, s31
.LBB99_51:                              ;   in Loop: Header=BB99_11 Depth=1
	ds_bpermute_b32 v10, v34, v14
	ds_bpermute_b32 v11, v34, v15
	s_wait_dscnt 0x0
	v_min_i64 v[10:11], v[10:11], v[14:15]
	ds_bpermute_b32 v12, v35, v10
	ds_bpermute_b32 v13, v35, v11
	s_wait_dscnt 0x0
	v_min_i64 v[10:11], v[12:13], v[10:11]
	;; [unrolled: 4-line block ×3, first 2 shown]
	ds_bpermute_b32 v12, v37, v10
	ds_bpermute_b32 v13, v37, v11
	s_and_saveexec_b32 s10, s3
	s_cbranch_execz .LBB99_56
; %bb.52:                               ;   in Loop: Header=BB99_11 Depth=1
	s_wait_dscnt 0x0
	v_min_i64 v[12:13], v[12:13], v[10:11]
	v_mov_b64_e32 v[10:11], -1
	s_mov_b32 s11, exec_lo
.LBB99_53:                              ;   Parent Loop BB99_11 Depth=1
                                        ; =>  This Inner Loop Header: Depth=2
	s_delay_alu instid0(SALU_CYCLE_1)
	s_ctz_i32_b32 s31, s11
	s_delay_alu instid0(VALU_DEP_2) | instid1(SALU_CYCLE_1)
	v_readlane_b32 s13, v13, s31
	s_delay_alu instid0(VALU_DEP_3) | instskip(NEXT) | instid1(VALU_DEP_1)
	v_readlane_b32 s12, v12, s31
	v_min_u64 v[10:11], v[10:11], s[12:13]
	s_lshl_b32 s12, 1, s31
	s_delay_alu instid0(SALU_CYCLE_1) | instskip(NEXT) | instid1(SALU_CYCLE_1)
	s_and_not1_b32 s11, s11, s12
	s_cmp_lg_u32 s11, 0
	s_cbranch_scc1 .LBB99_53
; %bb.54:                               ;   in Loop: Header=BB99_11 Depth=1
	v_mbcnt_lo_u32_b32 v12, exec_lo, 0
	s_mov_b32 s11, exec_lo
	s_delay_alu instid0(VALU_DEP_1)
	v_cmpx_eq_u32_e32 0, v12
	s_xor_b32 s11, exec_lo, s11
; %bb.55:                               ;   in Loop: Header=BB99_11 Depth=1
	ds_min_u64 v3, v[10:11] offset:10240
.LBB99_56:                              ;   in Loop: Header=BB99_11 Depth=1
	s_or_b32 exec_lo, exec_lo, s10
	s_wait_dscnt 0x0
	v_dual_mov_b32 v12, v39 :: v_dual_mov_b32 v13, v38
	s_mov_b32 s10, 0
	s_wait_storecnt 0x0
	s_barrier_signal -1
	s_barrier_wait -1
	s_branch .LBB99_58
.LBB99_57:                              ;   in Loop: Header=BB99_58 Depth=2
	s_or_b32 exec_lo, exec_lo, s11
	s_wait_storecnt_dscnt 0x0
	s_barrier_signal -1
	s_barrier_wait -1
	ds_load_b32 v10, v3 offset:28
	v_add_nc_u32_e32 v13, 0x200, v13
	v_add_nc_u32_e32 v12, 0x800, v12
	s_delay_alu instid0(VALU_DEP_2) | instskip(SKIP_3) | instid1(VALU_DEP_1)
	v_cmp_lt_u32_e32 vcc_lo, 0x5ff, v13
	s_or_b32 s10, vcc_lo, s10
	s_wait_dscnt 0x0
	v_ashrrev_i32_e32 v11, 31, v10
	v_add_nc_u64_e32 v[0:1], v[0:1], v[10:11]
	s_and_not1_b32 exec_lo, exec_lo, s10
	s_cbranch_execz .LBB99_10
.LBB99_58:                              ;   Parent Loop BB99_11 Depth=1
                                        ; =>  This Inner Loop Header: Depth=2
	ds_load_u8 v10, v13 offset:8704
	ds_load_b32 v14, v12
	s_wait_dscnt 0x0
	s_barrier_signal -1
	s_barrier_wait -1
	v_cmp_ne_u16_e32 vcc_lo, 0, v10
	s_bcnt1_i32_b32 s11, vcc_lo
	s_delay_alu instid0(SALU_CYCLE_1)
	v_mov_b32_e32 v11, s11
	s_mov_b32 s11, exec_lo
	ds_store_b32 v7, v11
	s_wait_dscnt 0x0
	s_barrier_signal -1
	s_barrier_wait -1
	ds_load_b128 v[16:19], v3
	ds_load_b96 v[20:22], v3 offset:16
	v_and_b32_e32 v11, vcc_lo, v6
	s_wait_dscnt 0x1
	v_cndmask_b32_e64 v15, v16, 0, s2
	v_cndmask_b32_e64 v16, v17, 0, s4
	;; [unrolled: 1-line block ×3, first 2 shown]
	s_wait_dscnt 0x0
	v_cndmask_b32_e64 v18, v20, 0, s7
	v_bcnt_u32_b32 v11, v11, v15
	v_cndmask_b32_e64 v15, v19, 0, s6
	s_delay_alu instid0(VALU_DEP_2) | instskip(SKIP_2) | instid1(VALU_DEP_3)
	v_add3_u32 v11, v11, v16, v17
	v_cndmask_b32_e64 v16, v21, 0, s8
	v_cndmask_b32_e64 v17, v22, 0, s9
	v_add3_u32 v11, v11, v15, v18
	v_and_b32_e32 v15, 1, v10
	s_delay_alu instid0(VALU_DEP_2) | instskip(NEXT) | instid1(VALU_DEP_2)
	v_add3_u32 v10, v11, v16, v17
	v_cmpx_eq_u32_e32 1, v15
	s_cbranch_execz .LBB99_60
; %bb.59:                               ;   in Loop: Header=BB99_58 Depth=2
	v_lshl_add_u64 v[16:17], v[0:1], 2, s[36:37]
	s_delay_alu instid0(VALU_DEP_3) | instskip(NEXT) | instid1(VALU_DEP_1)
	v_ashrrev_i32_e32 v11, 31, v10
	v_lshl_add_u64 v[16:17], v[10:11], 2, v[16:17]
	global_store_b32 v[16:17], v14, off offset:-4
.LBB99_60:                              ;   in Loop: Header=BB99_58 Depth=2
	s_wait_xcnt 0x0
	s_or_b32 exec_lo, exec_lo, s11
	s_and_saveexec_b32 s11, s1
	s_cbranch_execz .LBB99_57
; %bb.61:                               ;   in Loop: Header=BB99_58 Depth=2
	ds_store_b32 v3, v10 offset:28
	s_branch .LBB99_57
.LBB99_62:
	s_endpgm
	.section	.rodata,"a",@progbits
	.p2align	6, 0x0
	.amdhsa_kernel _ZN9rocsparseL51csrgemm_numeric_fill_block_per_row_multipass_kernelILj512ELj16ELj2048ELj64EllfEEvT4_PKS1_S3_NS_24const_host_device_scalarIT5_EEPKT3_S3_PKS5_S9_S3_SB_S6_S9_S3_SB_S9_S3_PS5_PS7_21rocsparse_index_base_SE_SE_SE_bbb
		.amdhsa_group_segment_fixed_size 10248
		.amdhsa_private_segment_fixed_size 0
		.amdhsa_kernarg_size 164
		.amdhsa_user_sgpr_count 2
		.amdhsa_user_sgpr_dispatch_ptr 0
		.amdhsa_user_sgpr_queue_ptr 0
		.amdhsa_user_sgpr_kernarg_segment_ptr 1
		.amdhsa_user_sgpr_dispatch_id 0
		.amdhsa_user_sgpr_kernarg_preload_length 0
		.amdhsa_user_sgpr_kernarg_preload_offset 0
		.amdhsa_user_sgpr_private_segment_size 0
		.amdhsa_wavefront_size32 1
		.amdhsa_uses_dynamic_stack 0
		.amdhsa_enable_private_segment 0
		.amdhsa_system_sgpr_workgroup_id_x 1
		.amdhsa_system_sgpr_workgroup_id_y 0
		.amdhsa_system_sgpr_workgroup_id_z 0
		.amdhsa_system_sgpr_workgroup_info 0
		.amdhsa_system_vgpr_workitem_id 0
		.amdhsa_next_free_vgpr 43
		.amdhsa_next_free_sgpr 56
		.amdhsa_named_barrier_count 0
		.amdhsa_reserve_vcc 1
		.amdhsa_float_round_mode_32 0
		.amdhsa_float_round_mode_16_64 0
		.amdhsa_float_denorm_mode_32 3
		.amdhsa_float_denorm_mode_16_64 3
		.amdhsa_fp16_overflow 0
		.amdhsa_memory_ordered 1
		.amdhsa_forward_progress 1
		.amdhsa_inst_pref_size 21
		.amdhsa_round_robin_scheduling 0
		.amdhsa_exception_fp_ieee_invalid_op 0
		.amdhsa_exception_fp_denorm_src 0
		.amdhsa_exception_fp_ieee_div_zero 0
		.amdhsa_exception_fp_ieee_overflow 0
		.amdhsa_exception_fp_ieee_underflow 0
		.amdhsa_exception_fp_ieee_inexact 0
		.amdhsa_exception_int_div_zero 0
	.end_amdhsa_kernel
	.section	.text._ZN9rocsparseL51csrgemm_numeric_fill_block_per_row_multipass_kernelILj512ELj16ELj2048ELj64EllfEEvT4_PKS1_S3_NS_24const_host_device_scalarIT5_EEPKT3_S3_PKS5_S9_S3_SB_S6_S9_S3_SB_S9_S3_PS5_PS7_21rocsparse_index_base_SE_SE_SE_bbb,"axG",@progbits,_ZN9rocsparseL51csrgemm_numeric_fill_block_per_row_multipass_kernelILj512ELj16ELj2048ELj64EllfEEvT4_PKS1_S3_NS_24const_host_device_scalarIT5_EEPKT3_S3_PKS5_S9_S3_SB_S6_S9_S3_SB_S9_S3_PS5_PS7_21rocsparse_index_base_SE_SE_SE_bbb,comdat
.Lfunc_end99:
	.size	_ZN9rocsparseL51csrgemm_numeric_fill_block_per_row_multipass_kernelILj512ELj16ELj2048ELj64EllfEEvT4_PKS1_S3_NS_24const_host_device_scalarIT5_EEPKT3_S3_PKS5_S9_S3_SB_S6_S9_S3_SB_S9_S3_PS5_PS7_21rocsparse_index_base_SE_SE_SE_bbb, .Lfunc_end99-_ZN9rocsparseL51csrgemm_numeric_fill_block_per_row_multipass_kernelILj512ELj16ELj2048ELj64EllfEEvT4_PKS1_S3_NS_24const_host_device_scalarIT5_EEPKT3_S3_PKS5_S9_S3_SB_S6_S9_S3_SB_S9_S3_PS5_PS7_21rocsparse_index_base_SE_SE_SE_bbb
                                        ; -- End function
	.set _ZN9rocsparseL51csrgemm_numeric_fill_block_per_row_multipass_kernelILj512ELj16ELj2048ELj64EllfEEvT4_PKS1_S3_NS_24const_host_device_scalarIT5_EEPKT3_S3_PKS5_S9_S3_SB_S6_S9_S3_SB_S9_S3_PS5_PS7_21rocsparse_index_base_SE_SE_SE_bbb.num_vgpr, 43
	.set _ZN9rocsparseL51csrgemm_numeric_fill_block_per_row_multipass_kernelILj512ELj16ELj2048ELj64EllfEEvT4_PKS1_S3_NS_24const_host_device_scalarIT5_EEPKT3_S3_PKS5_S9_S3_SB_S6_S9_S3_SB_S9_S3_PS5_PS7_21rocsparse_index_base_SE_SE_SE_bbb.num_agpr, 0
	.set _ZN9rocsparseL51csrgemm_numeric_fill_block_per_row_multipass_kernelILj512ELj16ELj2048ELj64EllfEEvT4_PKS1_S3_NS_24const_host_device_scalarIT5_EEPKT3_S3_PKS5_S9_S3_SB_S6_S9_S3_SB_S9_S3_PS5_PS7_21rocsparse_index_base_SE_SE_SE_bbb.numbered_sgpr, 56
	.set _ZN9rocsparseL51csrgemm_numeric_fill_block_per_row_multipass_kernelILj512ELj16ELj2048ELj64EllfEEvT4_PKS1_S3_NS_24const_host_device_scalarIT5_EEPKT3_S3_PKS5_S9_S3_SB_S6_S9_S3_SB_S9_S3_PS5_PS7_21rocsparse_index_base_SE_SE_SE_bbb.num_named_barrier, 0
	.set _ZN9rocsparseL51csrgemm_numeric_fill_block_per_row_multipass_kernelILj512ELj16ELj2048ELj64EllfEEvT4_PKS1_S3_NS_24const_host_device_scalarIT5_EEPKT3_S3_PKS5_S9_S3_SB_S6_S9_S3_SB_S9_S3_PS5_PS7_21rocsparse_index_base_SE_SE_SE_bbb.private_seg_size, 0
	.set _ZN9rocsparseL51csrgemm_numeric_fill_block_per_row_multipass_kernelILj512ELj16ELj2048ELj64EllfEEvT4_PKS1_S3_NS_24const_host_device_scalarIT5_EEPKT3_S3_PKS5_S9_S3_SB_S6_S9_S3_SB_S9_S3_PS5_PS7_21rocsparse_index_base_SE_SE_SE_bbb.uses_vcc, 1
	.set _ZN9rocsparseL51csrgemm_numeric_fill_block_per_row_multipass_kernelILj512ELj16ELj2048ELj64EllfEEvT4_PKS1_S3_NS_24const_host_device_scalarIT5_EEPKT3_S3_PKS5_S9_S3_SB_S6_S9_S3_SB_S9_S3_PS5_PS7_21rocsparse_index_base_SE_SE_SE_bbb.uses_flat_scratch, 0
	.set _ZN9rocsparseL51csrgemm_numeric_fill_block_per_row_multipass_kernelILj512ELj16ELj2048ELj64EllfEEvT4_PKS1_S3_NS_24const_host_device_scalarIT5_EEPKT3_S3_PKS5_S9_S3_SB_S6_S9_S3_SB_S9_S3_PS5_PS7_21rocsparse_index_base_SE_SE_SE_bbb.has_dyn_sized_stack, 0
	.set _ZN9rocsparseL51csrgemm_numeric_fill_block_per_row_multipass_kernelILj512ELj16ELj2048ELj64EllfEEvT4_PKS1_S3_NS_24const_host_device_scalarIT5_EEPKT3_S3_PKS5_S9_S3_SB_S6_S9_S3_SB_S9_S3_PS5_PS7_21rocsparse_index_base_SE_SE_SE_bbb.has_recursion, 0
	.set _ZN9rocsparseL51csrgemm_numeric_fill_block_per_row_multipass_kernelILj512ELj16ELj2048ELj64EllfEEvT4_PKS1_S3_NS_24const_host_device_scalarIT5_EEPKT3_S3_PKS5_S9_S3_SB_S6_S9_S3_SB_S9_S3_PS5_PS7_21rocsparse_index_base_SE_SE_SE_bbb.has_indirect_call, 0
	.section	.AMDGPU.csdata,"",@progbits
; Kernel info:
; codeLenInByte = 2688
; TotalNumSgprs: 58
; NumVgprs: 43
; ScratchSize: 0
; MemoryBound: 0
; FloatMode: 240
; IeeeMode: 1
; LDSByteSize: 10248 bytes/workgroup (compile time only)
; SGPRBlocks: 0
; VGPRBlocks: 2
; NumSGPRsForWavesPerEU: 58
; NumVGPRsForWavesPerEU: 43
; NamedBarCnt: 0
; Occupancy: 16
; WaveLimiterHint : 1
; COMPUTE_PGM_RSRC2:SCRATCH_EN: 0
; COMPUTE_PGM_RSRC2:USER_SGPR: 2
; COMPUTE_PGM_RSRC2:TRAP_HANDLER: 0
; COMPUTE_PGM_RSRC2:TGID_X_EN: 1
; COMPUTE_PGM_RSRC2:TGID_Y_EN: 0
; COMPUTE_PGM_RSRC2:TGID_Z_EN: 0
; COMPUTE_PGM_RSRC2:TIDIG_COMP_CNT: 0
	.section	.text._ZN9rocsparseL38csrgemm_numeric_fill_wf_per_row_kernelILj256ELj8ELj16ELj137ElldEEvT4_S1_PKS1_S3_NS_24const_host_device_scalarIT5_EEPKT3_S3_PKS5_S9_S3_SB_S6_S9_S3_SB_S9_S3_PS5_21rocsparse_index_base_SD_SD_SD_bbb,"axG",@progbits,_ZN9rocsparseL38csrgemm_numeric_fill_wf_per_row_kernelILj256ELj8ELj16ELj137ElldEEvT4_S1_PKS1_S3_NS_24const_host_device_scalarIT5_EEPKT3_S3_PKS5_S9_S3_SB_S6_S9_S3_SB_S9_S3_PS5_21rocsparse_index_base_SD_SD_SD_bbb,comdat
	.globl	_ZN9rocsparseL38csrgemm_numeric_fill_wf_per_row_kernelILj256ELj8ELj16ELj137ElldEEvT4_S1_PKS1_S3_NS_24const_host_device_scalarIT5_EEPKT3_S3_PKS5_S9_S3_SB_S6_S9_S3_SB_S9_S3_PS5_21rocsparse_index_base_SD_SD_SD_bbb ; -- Begin function _ZN9rocsparseL38csrgemm_numeric_fill_wf_per_row_kernelILj256ELj8ELj16ELj137ElldEEvT4_S1_PKS1_S3_NS_24const_host_device_scalarIT5_EEPKT3_S3_PKS5_S9_S3_SB_S6_S9_S3_SB_S9_S3_PS5_21rocsparse_index_base_SD_SD_SD_bbb
	.p2align	8
	.type	_ZN9rocsparseL38csrgemm_numeric_fill_wf_per_row_kernelILj256ELj8ELj16ELj137ElldEEvT4_S1_PKS1_S3_NS_24const_host_device_scalarIT5_EEPKT3_S3_PKS5_S9_S3_SB_S6_S9_S3_SB_S9_S3_PS5_21rocsparse_index_base_SD_SD_SD_bbb,@function
_ZN9rocsparseL38csrgemm_numeric_fill_wf_per_row_kernelILj256ELj8ELj16ELj137ElldEEvT4_S1_PKS1_S3_NS_24const_host_device_scalarIT5_EEPKT3_S3_PKS5_S9_S3_SB_S6_S9_S3_SB_S9_S3_PS5_21rocsparse_index_base_SD_SD_SD_bbb: ; @_ZN9rocsparseL38csrgemm_numeric_fill_wf_per_row_kernelILj256ELj8ELj16ELj137ElldEEvT4_S1_PKS1_S3_NS_24const_host_device_scalarIT5_EEPKT3_S3_PKS5_S9_S3_SB_S6_S9_S3_SB_S9_S3_PS5_21rocsparse_index_base_SD_SD_SD_bbb
; %bb.0:
	s_clause 0x3
	s_load_b32 s6, s[0:1], 0xa0
	s_load_b64 s[4:5], s[0:1], 0x20
	s_load_b128 s[20:23], s[0:1], 0x90
	s_load_b64 s[2:3], s[0:1], 0x58
	s_wait_kmcnt 0x0
	s_bitcmp1_b32 s6, 0
	s_cselect_b32 s38, -1, 0
	s_bitcmp1_b32 s6, 16
	s_cselect_b32 s7, -1, 0
	s_xor_b32 s8, s38, -1
	s_delay_alu instid0(SALU_CYCLE_1)
	s_or_b32 s10, s7, s8
	s_and_b32 s8, s38, exec_lo
	s_cselect_b32 s9, s5, 0
	s_cselect_b32 s8, s4, 0
	s_and_b32 vcc_lo, exec_lo, s10
	v_mov_b64_e32 v[8:9], s[8:9]
	s_cbranch_vccnz .LBB100_2
; %bb.1:
	v_mov_b32_e32 v1, 0
	flat_load_b64 v[8:9], v1, s[4:5]
.LBB100_2:
	s_load_b64 s[34:35], s[0:1], 0x10
	s_bitcmp1_b32 s6, 8
	s_cselect_b32 s33, -1, 0
	s_delay_alu instid0(SALU_CYCLE_1) | instskip(NEXT) | instid1(SALU_CYCLE_1)
	s_xor_b32 s4, s33, -1
	s_or_b32 s6, s7, s4
	s_and_b32 s4, s33, exec_lo
	s_cselect_b32 s5, s3, 0
	s_cselect_b32 s4, s2, 0
	s_and_b32 vcc_lo, exec_lo, s6
	v_mov_b64_e32 v[4:5], s[4:5]
	s_cbranch_vccnz .LBB100_4
; %bb.3:
	v_mov_b32_e32 v1, 0
	flat_load_b64 v[4:5], v1, s[2:3]
.LBB100_4:
	s_clause 0x3
	s_load_b128 s[24:27], s[0:1], 0x0
	s_load_b64 s[36:37], s[0:1], 0x18
	s_load_b64 s[2:3], s[0:1], 0x88
	s_load_b256 s[4:11], s[0:1], 0x60
	v_dual_lshrrev_b32 v11, 3, v0 :: v_dual_bitop2_b32 v10, 7, v0 bitop3:0x40
	s_clause 0x1
	s_load_b128 s[28:31], s[0:1], 0x48
	s_load_b256 s[12:19], s[0:1], 0x28
	s_wait_xcnt 0x0
	s_mov_b32 s0, 0
	v_dual_lshlrev_b32 v0, 3, v10 :: v_dual_bitop2_b32 v29, -8, v10 bitop3:0x54
	s_delay_alu instid0(VALU_DEP_1) | instskip(SKIP_1) | instid1(VALU_DEP_2)
	v_lshl_or_b32 v28, v11, 7, v0
	v_mov_b64_e32 v[0:1], 0
	v_dual_mov_b32 v7, v29 :: v_dual_mov_b32 v6, v28
	s_wait_kmcnt 0x0
	v_mov_b64_e32 v[2:3], s[26:27]
.LBB100_5:                              ; =>This Inner Loop Header: Depth=1
	s_delay_alu instid0(VALU_DEP_2) | instskip(SKIP_4) | instid1(SALU_CYCLE_1)
	v_add_co_u32 v7, s1, v7, 8
	s_xor_b32 s1, s1, -1
	ds_store_2addr_stride64_b64 v6, v[0:1], v[2:3] offset1:8
	v_add_nc_u32_e32 v6, 64, v6
	s_and_b32 s1, exec_lo, s1
	s_or_b32 s0, s1, s0
	s_delay_alu instid0(SALU_CYCLE_1)
	s_and_not1_b32 exec_lo, exec_lo, s0
	s_cbranch_execnz .LBB100_5
; %bb.6:
	s_or_b32 exec_lo, exec_lo, s0
	s_bfe_u32 s0, ttmp6, 0x4000c
	s_and_b32 s1, ttmp6, 15
	s_add_co_i32 s0, s0, 1
	s_getreg_b32 s39, hwreg(HW_REG_IB_STS2, 6, 4)
	s_mul_i32 s0, ttmp9, s0
	v_mov_b32_e32 v7, 0
	s_add_co_i32 s1, s1, s0
	s_cmp_eq_u32 s39, 0
	s_wait_loadcnt_dscnt 0x0
	s_cselect_b32 s0, ttmp9, s1
	s_delay_alu instid0(SALU_CYCLE_1) | instskip(NEXT) | instid1(SALU_CYCLE_1)
	s_lshl_b32 s0, s0, 5
	v_and_or_b32 v6, 0x1fffffe0, s0, v11
	s_mov_b32 s0, exec_lo
	s_delay_alu instid0(VALU_DEP_1)
	v_cmpx_gt_i64_e64 s[24:25], v[6:7]
	s_cbranch_execz .LBB100_50
; %bb.7:
	s_cmp_eq_u64 s[36:37], 0
	s_cbranch_scc1 .LBB100_9
; %bb.8:
	s_load_b64 s[0:1], s[34:35], 0x0
	s_wait_kmcnt 0x0
	s_lshl_b64 s[0:1], s[0:1], 3
	s_delay_alu instid0(SALU_CYCLE_1)
	s_add_nc_u64 s[0:1], s[36:37], s[0:1]
	global_load_b64 v[6:7], v6, s[0:1] scale_offset
.LBB100_9:
	v_lshlrev_b32_e32 v31, 7, v11
	s_and_not1_b32 vcc_lo, exec_lo, s38
	s_delay_alu instid0(VALU_DEP_1)
	v_or_b32_e32 v30, 0x1000, v31
	s_cbranch_vccnz .LBB100_29
; %bb.10:
	s_wait_loadcnt 0x0
	v_lshl_add_u64 v[0:1], v[6:7], 3, s[12:13]
	v_mov_b32_e32 v11, 0
	s_mov_b32 s1, 0
	s_mov_b32 s0, s20
	s_mov_b32 s20, exec_lo
	global_load_b128 v[0:3], v[0:1], off
	v_sub_nc_u64_e64 v[14:15], v[10:11], s[0:1]
	s_wait_loadcnt 0x0
	v_sub_nc_u64_e64 v[12:13], v[2:3], s[0:1]
	s_delay_alu instid0(VALU_DEP_2) | instskip(NEXT) | instid1(VALU_DEP_1)
	v_add_nc_u64_e32 v[14:15], v[0:1], v[14:15]
	v_cmpx_lt_i64_e64 v[14:15], v[12:13]
	s_cbranch_execz .LBB100_28
; %bb.11:
	s_mov_b32 s12, s21
	s_mov_b32 s13, s1
	;; [unrolled: 1-line block ×3, first 2 shown]
	s_branch .LBB100_13
.LBB100_12:                             ;   in Loop: Header=BB100_13 Depth=1
	s_or_b32 exec_lo, exec_lo, s24
	v_add_nc_u64_e32 v[14:15], 8, v[14:15]
	s_delay_alu instid0(VALU_DEP_1) | instskip(SKIP_1) | instid1(SALU_CYCLE_1)
	v_cmp_ge_i64_e32 vcc_lo, v[14:15], v[12:13]
	s_or_b32 s21, vcc_lo, s21
	s_and_not1_b32 exec_lo, exec_lo, s21
	s_cbranch_execz .LBB100_28
.LBB100_13:                             ; =>This Loop Header: Depth=1
                                        ;     Child Loop BB100_17 Depth 2
                                        ;       Child Loop BB100_20 Depth 3
	v_lshl_add_u64 v[0:1], v[14:15], 3, s[14:15]
	s_mov_b32 s24, exec_lo
	global_load_b64 v[0:1], v[0:1], off
	s_wait_loadcnt 0x0
	s_wait_xcnt 0x0
	v_sub_nc_u64_e64 v[0:1], v[0:1], s[0:1]
	s_delay_alu instid0(VALU_DEP_1)
	v_lshl_add_u64 v[0:1], v[0:1], 3, s[18:19]
	global_load_b128 v[0:3], v[0:1], off
	s_wait_loadcnt 0x0
	s_wait_xcnt 0x0
	v_cmpx_lt_i64_e64 v[0:1], v[2:3]
	s_cbranch_execz .LBB100_12
; %bb.14:                               ;   in Loop: Header=BB100_13 Depth=1
	v_lshl_add_u64 v[16:17], v[14:15], 3, s[16:17]
	v_sub_nc_u64_e64 v[2:3], v[2:3], s[12:13]
	v_sub_nc_u64_e64 v[0:1], v[0:1], s[12:13]
	s_mov_b32 s25, 0
	global_load_b64 v[16:17], v[16:17], off
	s_wait_loadcnt 0x0
	s_wait_xcnt 0x0
	v_mul_f64_e32 v[16:17], v[8:9], v[16:17]
	s_branch .LBB100_17
.LBB100_15:                             ;   in Loop: Header=BB100_17 Depth=2
	s_or_b32 exec_lo, exec_lo, s35
.LBB100_16:                             ;   in Loop: Header=BB100_17 Depth=2
	s_delay_alu instid0(SALU_CYCLE_1) | instskip(SKIP_4) | instid1(VALU_DEP_1)
	s_or_b32 exec_lo, exec_lo, s34
	s_wait_loadcnt 0x0
	v_mul_f64_e32 v[18:19], v[16:17], v[18:19]
	v_lshl_add_u32 v11, v20, 3, v31
	v_add_nc_u64_e32 v[0:1], 1, v[0:1]
	v_cmp_ge_i64_e32 vcc_lo, v[0:1], v[2:3]
	s_or_b32 s25, vcc_lo, s25
	ds_add_f64 v11, v[18:19]
	s_and_not1_b32 exec_lo, exec_lo, s25
	s_cbranch_execz .LBB100_12
.LBB100_17:                             ;   Parent Loop BB100_13 Depth=1
                                        ; =>  This Loop Header: Depth=2
                                        ;       Child Loop BB100_20 Depth 3
	v_lshlrev_b64_e32 v[18:19], 3, v[0:1]
	s_mov_b32 s34, exec_lo
	s_delay_alu instid0(VALU_DEP_1)
	v_add_nc_u64_e32 v[20:21], s[28:29], v[18:19]
	v_add_nc_u64_e32 v[18:19], s[30:31], v[18:19]
	global_load_b64 v[20:21], v[20:21], off
	global_load_b64 v[18:19], v[18:19], off
	s_wait_loadcnt 0x1
	v_sub_nc_u64_e64 v[22:23], v[20:21], s[12:13]
	s_delay_alu instid0(VALU_DEP_1) | instskip(SKIP_1) | instid1(VALU_DEP_1)
	v_lshl_add_u32 v11, v22, 3, v22
	s_wait_xcnt 0x1
	v_and_b32_e32 v20, 15, v11
	s_delay_alu instid0(VALU_DEP_1)
	v_lshl_add_u32 v11, v20, 3, v30
	ds_load_b64 v[26:27], v11
	s_wait_dscnt 0x0
	s_wait_xcnt 0x0
	v_cmpx_ne_u64_e64 v[26:27], v[22:23]
	s_cbranch_execz .LBB100_16
; %bb.18:                               ;   in Loop: Header=BB100_17 Depth=2
	s_mov_b32 s35, 0
                                        ; implicit-def: $sgpr36
                                        ; implicit-def: $sgpr37
	s_branch .LBB100_20
.LBB100_19:                             ;   in Loop: Header=BB100_20 Depth=3
	s_or_b32 exec_lo, exec_lo, s40
	s_delay_alu instid0(SALU_CYCLE_1) | instskip(NEXT) | instid1(SALU_CYCLE_1)
	s_and_b32 s38, exec_lo, s39
	s_or_b32 s35, s38, s35
	s_and_not1_b32 s36, s36, exec_lo
	s_and_b32 s38, s37, exec_lo
	s_delay_alu instid0(SALU_CYCLE_1)
	s_or_b32 s36, s36, s38
	s_and_not1_b32 exec_lo, exec_lo, s35
	s_cbranch_execz .LBB100_26
.LBB100_20:                             ;   Parent Loop BB100_13 Depth=1
                                        ;     Parent Loop BB100_17 Depth=2
                                        ; =>    This Inner Loop Header: Depth=3
	v_mov_b64_e32 v[24:25], v[20:21]
	s_mov_b32 s38, 0
	s_mov_b32 s39, exec_lo
                                        ; implicit-def: $vgpr20_vgpr21
	v_cmpx_ne_u64_e64 s[26:27], v[26:27]
	s_xor_b32 s39, exec_lo, s39
; %bb.21:                               ;   in Loop: Header=BB100_20 Depth=3
	s_delay_alu instid0(VALU_DEP_2) | instskip(SKIP_1) | instid1(VALU_DEP_1)
	v_add_nc_u32_e32 v11, 1, v24
	s_mov_b32 s38, exec_lo
	v_and_b32_e32 v20, 15, v11
                                        ; implicit-def: $vgpr11
; %bb.22:                               ;   in Loop: Header=BB100_20 Depth=3
	s_and_not1_saveexec_b32 s39, s39
	s_cbranch_execz .LBB100_24
; %bb.23:                               ;   in Loop: Header=BB100_20 Depth=3
	v_mov_b64_e32 v[20:21], s[26:27]
	s_and_not1_b32 s38, s38, exec_lo
	ds_cmpstore_rtn_b64 v[20:21], v11, v[22:23], v[20:21]
	s_wait_dscnt 0x0
	v_cmp_ne_u64_e32 vcc_lo, s[26:27], v[20:21]
	v_mov_b64_e32 v[20:21], v[24:25]
	s_and_b32 s40, vcc_lo, exec_lo
	s_delay_alu instid0(SALU_CYCLE_1)
	s_or_b32 s38, s38, s40
.LBB100_24:                             ;   in Loop: Header=BB100_20 Depth=3
	s_or_b32 exec_lo, exec_lo, s39
	s_mov_b32 s39, -1
	s_or_b32 s37, s37, exec_lo
                                        ; implicit-def: $vgpr11
                                        ; implicit-def: $vgpr26_vgpr27
	s_and_saveexec_b32 s40, s38
	s_cbranch_execz .LBB100_19
; %bb.25:                               ;   in Loop: Header=BB100_20 Depth=3
	v_lshl_add_u32 v11, v20, 3, v30
	s_and_not1_b32 s37, s37, exec_lo
	ds_load_b64 v[26:27], v11
	s_wait_dscnt 0x0
	v_cmp_eq_u64_e32 vcc_lo, v[26:27], v[22:23]
	s_or_not1_b32 s39, vcc_lo, exec_lo
	s_branch .LBB100_19
.LBB100_26:                             ;   in Loop: Header=BB100_17 Depth=2
	s_or_b32 exec_lo, exec_lo, s35
	s_and_saveexec_b32 s35, s36
	s_delay_alu instid0(SALU_CYCLE_1)
	s_xor_b32 s35, exec_lo, s35
	s_cbranch_execz .LBB100_15
; %bb.27:                               ;   in Loop: Header=BB100_17 Depth=2
	v_mov_b32_e32 v20, v24
	s_branch .LBB100_15
.LBB100_28:
	s_or_b32 exec_lo, exec_lo, s20
.LBB100_29:
	s_delay_alu instid0(SALU_CYCLE_1)
	s_and_not1_b32 vcc_lo, exec_lo, s33
	s_cbranch_vccnz .LBB100_46
; %bb.30:
	s_wait_loadcnt 0x0
	v_lshl_add_u64 v[0:1], v[6:7], 3, s[4:5]
	v_mov_b32_e32 v11, 0
	s_mov_b32 s1, 0
	s_mov_b32 s0, s23
	s_mov_b32 s4, exec_lo
	global_load_b128 v[12:15], v[0:1], off
	v_sub_nc_u64_e64 v[2:3], v[10:11], s[0:1]
	s_wait_loadcnt 0x0
	v_sub_nc_u64_e64 v[0:1], v[14:15], s[0:1]
	s_delay_alu instid0(VALU_DEP_2) | instskip(NEXT) | instid1(VALU_DEP_1)
	v_add_nc_u64_e32 v[2:3], v[12:13], v[2:3]
	v_cmpx_lt_i64_e64 v[2:3], v[0:1]
	s_cbranch_execz .LBB100_45
; %bb.31:
	s_mov_b32 s5, s1
	s_branch .LBB100_34
.LBB100_32:                             ;   in Loop: Header=BB100_34 Depth=1
	s_or_b32 exec_lo, exec_lo, s13
.LBB100_33:                             ;   in Loop: Header=BB100_34 Depth=1
	s_delay_alu instid0(SALU_CYCLE_1) | instskip(SKIP_4) | instid1(VALU_DEP_1)
	s_or_b32 exec_lo, exec_lo, s12
	s_wait_loadcnt 0x0
	v_mul_f64_e32 v[8:9], v[4:5], v[8:9]
	v_lshl_add_u32 v10, v10, 3, v31
	v_add_nc_u64_e32 v[2:3], 8, v[2:3]
	v_cmp_ge_i64_e32 vcc_lo, v[2:3], v[0:1]
	s_or_b32 s5, vcc_lo, s5
	ds_add_f64 v10, v[8:9]
	s_and_not1_b32 exec_lo, exec_lo, s5
	s_cbranch_execz .LBB100_45
.LBB100_34:                             ; =>This Loop Header: Depth=1
                                        ;     Child Loop BB100_37 Depth 2
	v_lshlrev_b64_e32 v[8:9], 3, v[2:3]
	s_mov_b32 s12, exec_lo
	s_delay_alu instid0(VALU_DEP_1)
	v_add_nc_u64_e32 v[10:11], s[6:7], v[8:9]
	v_add_nc_u64_e32 v[8:9], s[8:9], v[8:9]
	global_load_b64 v[10:11], v[10:11], off
	global_load_b64 v[8:9], v[8:9], off
	s_wait_loadcnt 0x1
	v_sub_nc_u64_e64 v[12:13], v[10:11], s[0:1]
	s_delay_alu instid0(VALU_DEP_1) | instskip(NEXT) | instid1(VALU_DEP_1)
	v_lshl_add_u32 v10, v12, 3, v12
	v_and_b32_e32 v10, 15, v10
	s_delay_alu instid0(VALU_DEP_1)
	v_lshl_add_u32 v18, v10, 3, v30
	ds_load_b64 v[16:17], v18
	s_wait_dscnt 0x0
	s_wait_xcnt 0x0
	v_cmpx_ne_u64_e64 v[16:17], v[12:13]
	s_cbranch_execz .LBB100_33
; %bb.35:                               ;   in Loop: Header=BB100_34 Depth=1
	s_mov_b32 s13, 0
                                        ; implicit-def: $sgpr14
                                        ; implicit-def: $sgpr15
	s_branch .LBB100_37
.LBB100_36:                             ;   in Loop: Header=BB100_37 Depth=2
	s_or_b32 exec_lo, exec_lo, s18
	s_delay_alu instid0(SALU_CYCLE_1) | instskip(NEXT) | instid1(SALU_CYCLE_1)
	s_and_b32 s16, exec_lo, s17
	s_or_b32 s13, s16, s13
	s_and_not1_b32 s14, s14, exec_lo
	s_and_b32 s16, s15, exec_lo
	s_delay_alu instid0(SALU_CYCLE_1)
	s_or_b32 s14, s14, s16
	s_and_not1_b32 exec_lo, exec_lo, s13
	s_cbranch_execz .LBB100_43
.LBB100_37:                             ;   Parent Loop BB100_34 Depth=1
                                        ; =>  This Inner Loop Header: Depth=2
	v_mov_b64_e32 v[14:15], v[10:11]
	s_mov_b32 s16, 0
	s_mov_b32 s17, exec_lo
                                        ; implicit-def: $vgpr10_vgpr11
	v_cmpx_ne_u64_e64 s[26:27], v[16:17]
	s_xor_b32 s17, exec_lo, s17
; %bb.38:                               ;   in Loop: Header=BB100_37 Depth=2
	s_delay_alu instid0(VALU_DEP_2) | instskip(SKIP_1) | instid1(VALU_DEP_1)
	v_add_nc_u32_e32 v10, 1, v14
	s_mov_b32 s16, exec_lo
                                        ; implicit-def: $vgpr18
	v_and_b32_e32 v10, 15, v10
; %bb.39:                               ;   in Loop: Header=BB100_37 Depth=2
	s_and_not1_saveexec_b32 s17, s17
	s_cbranch_execz .LBB100_41
; %bb.40:                               ;   in Loop: Header=BB100_37 Depth=2
	v_mov_b64_e32 v[10:11], s[26:27]
	s_and_not1_b32 s16, s16, exec_lo
	ds_cmpstore_rtn_b64 v[10:11], v18, v[12:13], v[10:11]
	s_wait_dscnt 0x0
	v_cmp_ne_u64_e32 vcc_lo, s[26:27], v[10:11]
	v_mov_b64_e32 v[10:11], v[14:15]
	s_and_b32 s18, vcc_lo, exec_lo
	s_delay_alu instid0(SALU_CYCLE_1)
	s_or_b32 s16, s16, s18
.LBB100_41:                             ;   in Loop: Header=BB100_37 Depth=2
	s_or_b32 exec_lo, exec_lo, s17
	s_mov_b32 s17, -1
	s_or_b32 s15, s15, exec_lo
                                        ; implicit-def: $vgpr18
                                        ; implicit-def: $vgpr16_vgpr17
	s_and_saveexec_b32 s18, s16
	s_cbranch_execz .LBB100_36
; %bb.42:                               ;   in Loop: Header=BB100_37 Depth=2
	v_lshl_add_u32 v18, v10, 3, v30
	s_and_not1_b32 s15, s15, exec_lo
	ds_load_b64 v[16:17], v18
	s_wait_dscnt 0x0
	v_cmp_eq_u64_e32 vcc_lo, v[16:17], v[12:13]
	s_or_not1_b32 s17, vcc_lo, exec_lo
	s_branch .LBB100_36
.LBB100_43:                             ;   in Loop: Header=BB100_34 Depth=1
	s_or_b32 exec_lo, exec_lo, s13
	s_and_saveexec_b32 s13, s14
	s_delay_alu instid0(SALU_CYCLE_1)
	s_xor_b32 s13, exec_lo, s13
	s_cbranch_execz .LBB100_32
; %bb.44:                               ;   in Loop: Header=BB100_34 Depth=1
	v_mov_b32_e32 v10, v14
	s_branch .LBB100_32
.LBB100_45:
	s_or_b32 exec_lo, exec_lo, s4
.LBB100_46:
	s_wait_loadcnt 0x0
	v_lshl_add_u64 v[0:1], v[6:7], 3, s[10:11]
	s_wait_dscnt 0x0
	s_mov_b32 s23, 0
	v_mov_b32_e32 v3, 0
	global_load_b64 v[0:1], v[0:1], off
	s_wait_loadcnt 0x0
	v_sub_nc_u64_e64 v[0:1], v[0:1], s[22:23]
	s_delay_alu instid0(VALU_DEP_1)
	v_lshl_add_u64 v[0:1], v[0:1], 3, s[2:3]
	s_branch .LBB100_48
.LBB100_47:                             ;   in Loop: Header=BB100_48 Depth=1
	s_wait_xcnt 0x0
	s_or_b32 exec_lo, exec_lo, s0
	v_add_co_u32 v29, s0, v29, 8
	s_xor_b32 s0, s0, -1
	v_add_nc_u32_e32 v28, 64, v28
	s_and_b32 s0, exec_lo, s0
	s_delay_alu instid0(SALU_CYCLE_1) | instskip(NEXT) | instid1(SALU_CYCLE_1)
	s_or_b32 s23, s0, s23
	s_and_not1_b32 exec_lo, exec_lo, s23
	s_cbranch_execz .LBB100_50
.LBB100_48:                             ; =>This Inner Loop Header: Depth=1
	ds_load_b64 v[4:5], v28 offset:4096
	s_mov_b32 s0, exec_lo
	s_wait_dscnt 0x0
	v_cmpx_gt_i64_e64 s[26:27], v[4:5]
	s_cbranch_execz .LBB100_47
; %bb.49:                               ;   in Loop: Header=BB100_48 Depth=1
	ds_load_b128 v[6:9], v30
	ds_load_b128 v[10:13], v30 offset:16
	ds_load_b128 v[14:17], v30 offset:32
	s_wait_dscnt 0x2
	v_cmp_gt_i64_e32 vcc_lo, v[4:5], v[6:7]
	v_cndmask_b32_e64 v2, 0, 1, vcc_lo
	v_cmp_gt_i64_e32 vcc_lo, v[4:5], v[8:9]
	s_delay_alu instid0(VALU_DEP_2) | instskip(SKIP_3) | instid1(VALU_DEP_3)
	v_lshlrev_b32_e32 v2, 3, v2
	v_cndmask_b32_e64 v8, 0, 1, vcc_lo
	s_wait_dscnt 0x1
	v_cmp_gt_i64_e32 vcc_lo, v[4:5], v[10:11]
	v_add_nc_u64_e32 v[6:7], v[0:1], v[2:3]
	s_delay_alu instid0(VALU_DEP_3) | instskip(SKIP_2) | instid1(VALU_DEP_3)
	v_lshlrev_b32_e32 v2, 3, v8
	v_cndmask_b32_e64 v18, 0, 1, vcc_lo
	v_cmp_gt_i64_e32 vcc_lo, v[4:5], v[12:13]
	v_add_nc_u64_e32 v[10:11], v[6:7], v[2:3]
	ds_load_b128 v[6:9], v30 offset:48
	v_lshlrev_b32_e32 v2, 3, v18
	v_cndmask_b32_e64 v12, 0, 1, vcc_lo
	s_wait_dscnt 0x1
	v_cmp_gt_i64_e32 vcc_lo, v[4:5], v[14:15]
	s_delay_alu instid0(VALU_DEP_3) | instskip(NEXT) | instid1(VALU_DEP_3)
	v_add_nc_u64_e32 v[10:11], v[10:11], v[2:3]
	v_lshlrev_b32_e32 v2, 3, v12
	v_cndmask_b32_e64 v18, 0, 1, vcc_lo
	v_cmp_gt_i64_e32 vcc_lo, v[4:5], v[16:17]
	s_delay_alu instid0(VALU_DEP_3)
	v_add_nc_u64_e32 v[14:15], v[10:11], v[2:3]
	ds_load_b128 v[10:13], v30 offset:64
	v_lshlrev_b32_e32 v2, 3, v18
	v_cndmask_b32_e64 v16, 0, 1, vcc_lo
	s_wait_dscnt 0x1
	v_cmp_gt_i64_e32 vcc_lo, v[4:5], v[6:7]
	s_delay_alu instid0(VALU_DEP_3) | instskip(NEXT) | instid1(VALU_DEP_3)
	v_add_nc_u64_e32 v[14:15], v[14:15], v[2:3]
	v_lshlrev_b32_e32 v2, 3, v16
	v_cndmask_b32_e64 v18, 0, 1, vcc_lo
	v_cmp_gt_i64_e32 vcc_lo, v[4:5], v[8:9]
	s_delay_alu instid0(VALU_DEP_3)
	;; [unrolled: 12-line block ×4, first 2 shown]
	v_add_nc_u64_e32 v[14:15], v[10:11], v[2:3]
	ds_load_b128 v[10:13], v30 offset:112
	v_lshlrev_b32_e32 v2, 3, v18
	v_cndmask_b32_e64 v16, 0, 1, vcc_lo
	s_wait_dscnt 0x1
	v_cmp_gt_i64_e32 vcc_lo, v[4:5], v[6:7]
	s_delay_alu instid0(VALU_DEP_3) | instskip(NEXT) | instid1(VALU_DEP_3)
	v_add_nc_u64_e32 v[14:15], v[14:15], v[2:3]
	v_lshlrev_b32_e32 v2, 3, v16
	v_cndmask_b32_e64 v16, 0, 1, vcc_lo
	v_cmp_gt_i64_e32 vcc_lo, v[4:5], v[8:9]
	s_delay_alu instid0(VALU_DEP_3) | instskip(NEXT) | instid1(VALU_DEP_3)
	v_add_nc_u64_e32 v[6:7], v[14:15], v[2:3]
	v_lshlrev_b32_e32 v2, 3, v16
	v_cndmask_b32_e64 v8, 0, 1, vcc_lo
	s_wait_dscnt 0x0
	v_cmp_gt_i64_e32 vcc_lo, v[4:5], v[10:11]
	s_delay_alu instid0(VALU_DEP_3) | instskip(NEXT) | instid1(VALU_DEP_3)
	v_add_nc_u64_e32 v[6:7], v[6:7], v[2:3]
	v_lshlrev_b32_e32 v2, 3, v8
	ds_load_b64 v[8:9], v28
	v_cndmask_b32_e64 v10, 0, 1, vcc_lo
	v_cmp_gt_i64_e32 vcc_lo, v[4:5], v[12:13]
	v_add_nc_u64_e32 v[6:7], v[6:7], v[2:3]
	s_delay_alu instid0(VALU_DEP_3) | instskip(SKIP_1) | instid1(VALU_DEP_2)
	v_lshlrev_b32_e32 v2, 3, v10
	v_cndmask_b32_e64 v10, 0, 1, vcc_lo
	v_add_nc_u64_e32 v[4:5], v[6:7], v[2:3]
	s_delay_alu instid0(VALU_DEP_2) | instskip(NEXT) | instid1(VALU_DEP_1)
	v_lshlrev_b32_e32 v2, 3, v10
	v_add_nc_u64_e32 v[4:5], v[4:5], v[2:3]
	s_wait_dscnt 0x0
	global_store_b64 v[4:5], v[8:9], off
	s_branch .LBB100_47
.LBB100_50:
	s_endpgm
	.section	.rodata,"a",@progbits
	.p2align	6, 0x0
	.amdhsa_kernel _ZN9rocsparseL38csrgemm_numeric_fill_wf_per_row_kernelILj256ELj8ELj16ELj137ElldEEvT4_S1_PKS1_S3_NS_24const_host_device_scalarIT5_EEPKT3_S3_PKS5_S9_S3_SB_S6_S9_S3_SB_S9_S3_PS5_21rocsparse_index_base_SD_SD_SD_bbb
		.amdhsa_group_segment_fixed_size 8192
		.amdhsa_private_segment_fixed_size 0
		.amdhsa_kernarg_size 164
		.amdhsa_user_sgpr_count 2
		.amdhsa_user_sgpr_dispatch_ptr 0
		.amdhsa_user_sgpr_queue_ptr 0
		.amdhsa_user_sgpr_kernarg_segment_ptr 1
		.amdhsa_user_sgpr_dispatch_id 0
		.amdhsa_user_sgpr_kernarg_preload_length 0
		.amdhsa_user_sgpr_kernarg_preload_offset 0
		.amdhsa_user_sgpr_private_segment_size 0
		.amdhsa_wavefront_size32 1
		.amdhsa_uses_dynamic_stack 0
		.amdhsa_enable_private_segment 0
		.amdhsa_system_sgpr_workgroup_id_x 1
		.amdhsa_system_sgpr_workgroup_id_y 0
		.amdhsa_system_sgpr_workgroup_id_z 0
		.amdhsa_system_sgpr_workgroup_info 0
		.amdhsa_system_vgpr_workitem_id 0
		.amdhsa_next_free_vgpr 32
		.amdhsa_next_free_sgpr 41
		.amdhsa_named_barrier_count 0
		.amdhsa_reserve_vcc 1
		.amdhsa_float_round_mode_32 0
		.amdhsa_float_round_mode_16_64 0
		.amdhsa_float_denorm_mode_32 3
		.amdhsa_float_denorm_mode_16_64 3
		.amdhsa_fp16_overflow 0
		.amdhsa_memory_ordered 1
		.amdhsa_forward_progress 1
		.amdhsa_inst_pref_size 18
		.amdhsa_round_robin_scheduling 0
		.amdhsa_exception_fp_ieee_invalid_op 0
		.amdhsa_exception_fp_denorm_src 0
		.amdhsa_exception_fp_ieee_div_zero 0
		.amdhsa_exception_fp_ieee_overflow 0
		.amdhsa_exception_fp_ieee_underflow 0
		.amdhsa_exception_fp_ieee_inexact 0
		.amdhsa_exception_int_div_zero 0
	.end_amdhsa_kernel
	.section	.text._ZN9rocsparseL38csrgemm_numeric_fill_wf_per_row_kernelILj256ELj8ELj16ELj137ElldEEvT4_S1_PKS1_S3_NS_24const_host_device_scalarIT5_EEPKT3_S3_PKS5_S9_S3_SB_S6_S9_S3_SB_S9_S3_PS5_21rocsparse_index_base_SD_SD_SD_bbb,"axG",@progbits,_ZN9rocsparseL38csrgemm_numeric_fill_wf_per_row_kernelILj256ELj8ELj16ELj137ElldEEvT4_S1_PKS1_S3_NS_24const_host_device_scalarIT5_EEPKT3_S3_PKS5_S9_S3_SB_S6_S9_S3_SB_S9_S3_PS5_21rocsparse_index_base_SD_SD_SD_bbb,comdat
.Lfunc_end100:
	.size	_ZN9rocsparseL38csrgemm_numeric_fill_wf_per_row_kernelILj256ELj8ELj16ELj137ElldEEvT4_S1_PKS1_S3_NS_24const_host_device_scalarIT5_EEPKT3_S3_PKS5_S9_S3_SB_S6_S9_S3_SB_S9_S3_PS5_21rocsparse_index_base_SD_SD_SD_bbb, .Lfunc_end100-_ZN9rocsparseL38csrgemm_numeric_fill_wf_per_row_kernelILj256ELj8ELj16ELj137ElldEEvT4_S1_PKS1_S3_NS_24const_host_device_scalarIT5_EEPKT3_S3_PKS5_S9_S3_SB_S6_S9_S3_SB_S9_S3_PS5_21rocsparse_index_base_SD_SD_SD_bbb
                                        ; -- End function
	.set _ZN9rocsparseL38csrgemm_numeric_fill_wf_per_row_kernelILj256ELj8ELj16ELj137ElldEEvT4_S1_PKS1_S3_NS_24const_host_device_scalarIT5_EEPKT3_S3_PKS5_S9_S3_SB_S6_S9_S3_SB_S9_S3_PS5_21rocsparse_index_base_SD_SD_SD_bbb.num_vgpr, 32
	.set _ZN9rocsparseL38csrgemm_numeric_fill_wf_per_row_kernelILj256ELj8ELj16ELj137ElldEEvT4_S1_PKS1_S3_NS_24const_host_device_scalarIT5_EEPKT3_S3_PKS5_S9_S3_SB_S6_S9_S3_SB_S9_S3_PS5_21rocsparse_index_base_SD_SD_SD_bbb.num_agpr, 0
	.set _ZN9rocsparseL38csrgemm_numeric_fill_wf_per_row_kernelILj256ELj8ELj16ELj137ElldEEvT4_S1_PKS1_S3_NS_24const_host_device_scalarIT5_EEPKT3_S3_PKS5_S9_S3_SB_S6_S9_S3_SB_S9_S3_PS5_21rocsparse_index_base_SD_SD_SD_bbb.numbered_sgpr, 41
	.set _ZN9rocsparseL38csrgemm_numeric_fill_wf_per_row_kernelILj256ELj8ELj16ELj137ElldEEvT4_S1_PKS1_S3_NS_24const_host_device_scalarIT5_EEPKT3_S3_PKS5_S9_S3_SB_S6_S9_S3_SB_S9_S3_PS5_21rocsparse_index_base_SD_SD_SD_bbb.num_named_barrier, 0
	.set _ZN9rocsparseL38csrgemm_numeric_fill_wf_per_row_kernelILj256ELj8ELj16ELj137ElldEEvT4_S1_PKS1_S3_NS_24const_host_device_scalarIT5_EEPKT3_S3_PKS5_S9_S3_SB_S6_S9_S3_SB_S9_S3_PS5_21rocsparse_index_base_SD_SD_SD_bbb.private_seg_size, 0
	.set _ZN9rocsparseL38csrgemm_numeric_fill_wf_per_row_kernelILj256ELj8ELj16ELj137ElldEEvT4_S1_PKS1_S3_NS_24const_host_device_scalarIT5_EEPKT3_S3_PKS5_S9_S3_SB_S6_S9_S3_SB_S9_S3_PS5_21rocsparse_index_base_SD_SD_SD_bbb.uses_vcc, 1
	.set _ZN9rocsparseL38csrgemm_numeric_fill_wf_per_row_kernelILj256ELj8ELj16ELj137ElldEEvT4_S1_PKS1_S3_NS_24const_host_device_scalarIT5_EEPKT3_S3_PKS5_S9_S3_SB_S6_S9_S3_SB_S9_S3_PS5_21rocsparse_index_base_SD_SD_SD_bbb.uses_flat_scratch, 0
	.set _ZN9rocsparseL38csrgemm_numeric_fill_wf_per_row_kernelILj256ELj8ELj16ELj137ElldEEvT4_S1_PKS1_S3_NS_24const_host_device_scalarIT5_EEPKT3_S3_PKS5_S9_S3_SB_S6_S9_S3_SB_S9_S3_PS5_21rocsparse_index_base_SD_SD_SD_bbb.has_dyn_sized_stack, 0
	.set _ZN9rocsparseL38csrgemm_numeric_fill_wf_per_row_kernelILj256ELj8ELj16ELj137ElldEEvT4_S1_PKS1_S3_NS_24const_host_device_scalarIT5_EEPKT3_S3_PKS5_S9_S3_SB_S6_S9_S3_SB_S9_S3_PS5_21rocsparse_index_base_SD_SD_SD_bbb.has_recursion, 0
	.set _ZN9rocsparseL38csrgemm_numeric_fill_wf_per_row_kernelILj256ELj8ELj16ELj137ElldEEvT4_S1_PKS1_S3_NS_24const_host_device_scalarIT5_EEPKT3_S3_PKS5_S9_S3_SB_S6_S9_S3_SB_S9_S3_PS5_21rocsparse_index_base_SD_SD_SD_bbb.has_indirect_call, 0
	.section	.AMDGPU.csdata,"",@progbits
; Kernel info:
; codeLenInByte = 2296
; TotalNumSgprs: 43
; NumVgprs: 32
; ScratchSize: 0
; MemoryBound: 0
; FloatMode: 240
; IeeeMode: 1
; LDSByteSize: 8192 bytes/workgroup (compile time only)
; SGPRBlocks: 0
; VGPRBlocks: 1
; NumSGPRsForWavesPerEU: 43
; NumVGPRsForWavesPerEU: 32
; NamedBarCnt: 0
; Occupancy: 16
; WaveLimiterHint : 1
; COMPUTE_PGM_RSRC2:SCRATCH_EN: 0
; COMPUTE_PGM_RSRC2:USER_SGPR: 2
; COMPUTE_PGM_RSRC2:TRAP_HANDLER: 0
; COMPUTE_PGM_RSRC2:TGID_X_EN: 1
; COMPUTE_PGM_RSRC2:TGID_Y_EN: 0
; COMPUTE_PGM_RSRC2:TGID_Z_EN: 0
; COMPUTE_PGM_RSRC2:TIDIG_COMP_CNT: 0
	.section	.text._ZN9rocsparseL38csrgemm_numeric_fill_wf_per_row_kernelILj256ELj16ELj32ELj137ElldEEvT4_S1_PKS1_S3_NS_24const_host_device_scalarIT5_EEPKT3_S3_PKS5_S9_S3_SB_S6_S9_S3_SB_S9_S3_PS5_21rocsparse_index_base_SD_SD_SD_bbb,"axG",@progbits,_ZN9rocsparseL38csrgemm_numeric_fill_wf_per_row_kernelILj256ELj16ELj32ELj137ElldEEvT4_S1_PKS1_S3_NS_24const_host_device_scalarIT5_EEPKT3_S3_PKS5_S9_S3_SB_S6_S9_S3_SB_S9_S3_PS5_21rocsparse_index_base_SD_SD_SD_bbb,comdat
	.globl	_ZN9rocsparseL38csrgemm_numeric_fill_wf_per_row_kernelILj256ELj16ELj32ELj137ElldEEvT4_S1_PKS1_S3_NS_24const_host_device_scalarIT5_EEPKT3_S3_PKS5_S9_S3_SB_S6_S9_S3_SB_S9_S3_PS5_21rocsparse_index_base_SD_SD_SD_bbb ; -- Begin function _ZN9rocsparseL38csrgemm_numeric_fill_wf_per_row_kernelILj256ELj16ELj32ELj137ElldEEvT4_S1_PKS1_S3_NS_24const_host_device_scalarIT5_EEPKT3_S3_PKS5_S9_S3_SB_S6_S9_S3_SB_S9_S3_PS5_21rocsparse_index_base_SD_SD_SD_bbb
	.p2align	8
	.type	_ZN9rocsparseL38csrgemm_numeric_fill_wf_per_row_kernelILj256ELj16ELj32ELj137ElldEEvT4_S1_PKS1_S3_NS_24const_host_device_scalarIT5_EEPKT3_S3_PKS5_S9_S3_SB_S6_S9_S3_SB_S9_S3_PS5_21rocsparse_index_base_SD_SD_SD_bbb,@function
_ZN9rocsparseL38csrgemm_numeric_fill_wf_per_row_kernelILj256ELj16ELj32ELj137ElldEEvT4_S1_PKS1_S3_NS_24const_host_device_scalarIT5_EEPKT3_S3_PKS5_S9_S3_SB_S6_S9_S3_SB_S9_S3_PS5_21rocsparse_index_base_SD_SD_SD_bbb: ; @_ZN9rocsparseL38csrgemm_numeric_fill_wf_per_row_kernelILj256ELj16ELj32ELj137ElldEEvT4_S1_PKS1_S3_NS_24const_host_device_scalarIT5_EEPKT3_S3_PKS5_S9_S3_SB_S6_S9_S3_SB_S9_S3_PS5_21rocsparse_index_base_SD_SD_SD_bbb
; %bb.0:
	s_clause 0x3
	s_load_b32 s6, s[0:1], 0xa0
	s_load_b64 s[4:5], s[0:1], 0x20
	s_load_b128 s[20:23], s[0:1], 0x90
	s_load_b64 s[2:3], s[0:1], 0x58
	s_wait_kmcnt 0x0
	s_bitcmp1_b32 s6, 0
	s_cselect_b32 s38, -1, 0
	s_bitcmp1_b32 s6, 16
	s_cselect_b32 s7, -1, 0
	s_xor_b32 s8, s38, -1
	s_delay_alu instid0(SALU_CYCLE_1)
	s_or_b32 s10, s7, s8
	s_and_b32 s8, s38, exec_lo
	s_cselect_b32 s9, s5, 0
	s_cselect_b32 s8, s4, 0
	s_and_b32 vcc_lo, exec_lo, s10
	v_mov_b64_e32 v[8:9], s[8:9]
	s_cbranch_vccnz .LBB101_2
; %bb.1:
	v_mov_b32_e32 v1, 0
	flat_load_b64 v[8:9], v1, s[4:5]
.LBB101_2:
	s_load_b64 s[34:35], s[0:1], 0x10
	s_bitcmp1_b32 s6, 8
	s_cselect_b32 s33, -1, 0
	s_delay_alu instid0(SALU_CYCLE_1) | instskip(NEXT) | instid1(SALU_CYCLE_1)
	s_xor_b32 s4, s33, -1
	s_or_b32 s6, s7, s4
	s_and_b32 s4, s33, exec_lo
	s_cselect_b32 s5, s3, 0
	s_cselect_b32 s4, s2, 0
	s_and_b32 vcc_lo, exec_lo, s6
	v_mov_b64_e32 v[4:5], s[4:5]
	s_cbranch_vccnz .LBB101_4
; %bb.3:
	v_mov_b32_e32 v1, 0
	flat_load_b64 v[4:5], v1, s[2:3]
.LBB101_4:
	s_clause 0x3
	s_load_b128 s[24:27], s[0:1], 0x0
	s_load_b64 s[36:37], s[0:1], 0x18
	s_load_b64 s[2:3], s[0:1], 0x88
	s_load_b256 s[4:11], s[0:1], 0x60
	v_dual_lshrrev_b32 v11, 4, v0 :: v_dual_bitop2_b32 v10, 15, v0 bitop3:0x40
	s_clause 0x1
	s_load_b128 s[28:31], s[0:1], 0x48
	s_load_b256 s[12:19], s[0:1], 0x28
	s_wait_xcnt 0x0
	s_mov_b32 s0, 0
	v_dual_lshlrev_b32 v0, 3, v10 :: v_dual_bitop2_b32 v29, -16, v10 bitop3:0x54
	s_delay_alu instid0(VALU_DEP_1) | instskip(SKIP_1) | instid1(VALU_DEP_2)
	v_lshl_or_b32 v28, v11, 8, v0
	v_mov_b64_e32 v[0:1], 0
	v_dual_mov_b32 v7, v29 :: v_dual_mov_b32 v6, v28
	s_wait_kmcnt 0x0
	v_mov_b64_e32 v[2:3], s[26:27]
.LBB101_5:                              ; =>This Inner Loop Header: Depth=1
	s_delay_alu instid0(VALU_DEP_2) | instskip(SKIP_4) | instid1(SALU_CYCLE_1)
	v_add_co_u32 v7, s1, v7, 16
	s_xor_b32 s1, s1, -1
	ds_store_2addr_stride64_b64 v6, v[0:1], v[2:3] offset1:8
	v_add_nc_u32_e32 v6, 0x80, v6
	s_and_b32 s1, exec_lo, s1
	s_or_b32 s0, s1, s0
	s_delay_alu instid0(SALU_CYCLE_1)
	s_and_not1_b32 exec_lo, exec_lo, s0
	s_cbranch_execnz .LBB101_5
; %bb.6:
	s_or_b32 exec_lo, exec_lo, s0
	s_bfe_u32 s0, ttmp6, 0x4000c
	s_and_b32 s1, ttmp6, 15
	s_add_co_i32 s0, s0, 1
	s_getreg_b32 s39, hwreg(HW_REG_IB_STS2, 6, 4)
	s_mul_i32 s0, ttmp9, s0
	v_mov_b32_e32 v7, 0
	s_add_co_i32 s1, s1, s0
	s_cmp_eq_u32 s39, 0
	s_wait_loadcnt_dscnt 0x0
	s_cselect_b32 s0, ttmp9, s1
	s_delay_alu instid0(SALU_CYCLE_1) | instskip(NEXT) | instid1(SALU_CYCLE_1)
	s_lshl_b32 s0, s0, 4
	v_and_or_b32 v6, 0xffffff0, s0, v11
	s_mov_b32 s0, exec_lo
	s_delay_alu instid0(VALU_DEP_1)
	v_cmpx_gt_i64_e64 s[24:25], v[6:7]
	s_cbranch_execz .LBB101_50
; %bb.7:
	s_cmp_eq_u64 s[36:37], 0
	s_cbranch_scc1 .LBB101_9
; %bb.8:
	s_load_b64 s[0:1], s[34:35], 0x0
	s_wait_kmcnt 0x0
	s_lshl_b64 s[0:1], s[0:1], 3
	s_delay_alu instid0(SALU_CYCLE_1)
	s_add_nc_u64 s[0:1], s[36:37], s[0:1]
	global_load_b64 v[6:7], v6, s[0:1] scale_offset
.LBB101_9:
	v_lshlrev_b32_e32 v31, 8, v11
	s_and_not1_b32 vcc_lo, exec_lo, s38
	s_delay_alu instid0(VALU_DEP_1)
	v_or_b32_e32 v30, 0x1000, v31
	s_cbranch_vccnz .LBB101_29
; %bb.10:
	s_wait_loadcnt 0x0
	v_lshl_add_u64 v[0:1], v[6:7], 3, s[12:13]
	v_mov_b32_e32 v11, 0
	s_mov_b32 s1, 0
	s_mov_b32 s0, s20
	s_mov_b32 s20, exec_lo
	global_load_b128 v[0:3], v[0:1], off
	v_sub_nc_u64_e64 v[14:15], v[10:11], s[0:1]
	s_wait_loadcnt 0x0
	v_sub_nc_u64_e64 v[12:13], v[2:3], s[0:1]
	s_delay_alu instid0(VALU_DEP_2) | instskip(NEXT) | instid1(VALU_DEP_1)
	v_add_nc_u64_e32 v[14:15], v[0:1], v[14:15]
	v_cmpx_lt_i64_e64 v[14:15], v[12:13]
	s_cbranch_execz .LBB101_28
; %bb.11:
	s_mov_b32 s12, s21
	s_mov_b32 s13, s1
	;; [unrolled: 1-line block ×3, first 2 shown]
	s_branch .LBB101_13
.LBB101_12:                             ;   in Loop: Header=BB101_13 Depth=1
	s_or_b32 exec_lo, exec_lo, s24
	v_add_nc_u64_e32 v[14:15], 16, v[14:15]
	s_delay_alu instid0(VALU_DEP_1) | instskip(SKIP_1) | instid1(SALU_CYCLE_1)
	v_cmp_ge_i64_e32 vcc_lo, v[14:15], v[12:13]
	s_or_b32 s21, vcc_lo, s21
	s_and_not1_b32 exec_lo, exec_lo, s21
	s_cbranch_execz .LBB101_28
.LBB101_13:                             ; =>This Loop Header: Depth=1
                                        ;     Child Loop BB101_17 Depth 2
                                        ;       Child Loop BB101_20 Depth 3
	v_lshl_add_u64 v[0:1], v[14:15], 3, s[14:15]
	s_mov_b32 s24, exec_lo
	global_load_b64 v[0:1], v[0:1], off
	s_wait_loadcnt 0x0
	s_wait_xcnt 0x0
	v_sub_nc_u64_e64 v[0:1], v[0:1], s[0:1]
	s_delay_alu instid0(VALU_DEP_1)
	v_lshl_add_u64 v[0:1], v[0:1], 3, s[18:19]
	global_load_b128 v[0:3], v[0:1], off
	s_wait_loadcnt 0x0
	s_wait_xcnt 0x0
	v_cmpx_lt_i64_e64 v[0:1], v[2:3]
	s_cbranch_execz .LBB101_12
; %bb.14:                               ;   in Loop: Header=BB101_13 Depth=1
	v_lshl_add_u64 v[16:17], v[14:15], 3, s[16:17]
	v_sub_nc_u64_e64 v[2:3], v[2:3], s[12:13]
	v_sub_nc_u64_e64 v[0:1], v[0:1], s[12:13]
	s_mov_b32 s25, 0
	global_load_b64 v[16:17], v[16:17], off
	s_wait_loadcnt 0x0
	s_wait_xcnt 0x0
	v_mul_f64_e32 v[16:17], v[8:9], v[16:17]
	s_branch .LBB101_17
.LBB101_15:                             ;   in Loop: Header=BB101_17 Depth=2
	s_or_b32 exec_lo, exec_lo, s35
.LBB101_16:                             ;   in Loop: Header=BB101_17 Depth=2
	s_delay_alu instid0(SALU_CYCLE_1) | instskip(SKIP_4) | instid1(VALU_DEP_1)
	s_or_b32 exec_lo, exec_lo, s34
	s_wait_loadcnt 0x0
	v_mul_f64_e32 v[18:19], v[16:17], v[18:19]
	v_lshl_add_u32 v11, v20, 3, v31
	v_add_nc_u64_e32 v[0:1], 1, v[0:1]
	v_cmp_ge_i64_e32 vcc_lo, v[0:1], v[2:3]
	s_or_b32 s25, vcc_lo, s25
	ds_add_f64 v11, v[18:19]
	s_and_not1_b32 exec_lo, exec_lo, s25
	s_cbranch_execz .LBB101_12
.LBB101_17:                             ;   Parent Loop BB101_13 Depth=1
                                        ; =>  This Loop Header: Depth=2
                                        ;       Child Loop BB101_20 Depth 3
	v_lshlrev_b64_e32 v[18:19], 3, v[0:1]
	s_mov_b32 s34, exec_lo
	s_delay_alu instid0(VALU_DEP_1)
	v_add_nc_u64_e32 v[20:21], s[28:29], v[18:19]
	v_add_nc_u64_e32 v[18:19], s[30:31], v[18:19]
	global_load_b64 v[20:21], v[20:21], off
	global_load_b64 v[18:19], v[18:19], off
	s_wait_loadcnt 0x1
	v_sub_nc_u64_e64 v[22:23], v[20:21], s[12:13]
	s_delay_alu instid0(VALU_DEP_1) | instskip(SKIP_1) | instid1(VALU_DEP_1)
	v_lshl_add_u32 v11, v22, 3, v22
	s_wait_xcnt 0x1
	v_and_b32_e32 v20, 31, v11
	s_delay_alu instid0(VALU_DEP_1)
	v_lshl_add_u32 v11, v20, 3, v30
	ds_load_b64 v[26:27], v11
	s_wait_dscnt 0x0
	s_wait_xcnt 0x0
	v_cmpx_ne_u64_e64 v[26:27], v[22:23]
	s_cbranch_execz .LBB101_16
; %bb.18:                               ;   in Loop: Header=BB101_17 Depth=2
	s_mov_b32 s35, 0
                                        ; implicit-def: $sgpr36
                                        ; implicit-def: $sgpr37
	s_branch .LBB101_20
.LBB101_19:                             ;   in Loop: Header=BB101_20 Depth=3
	s_or_b32 exec_lo, exec_lo, s40
	s_delay_alu instid0(SALU_CYCLE_1) | instskip(NEXT) | instid1(SALU_CYCLE_1)
	s_and_b32 s38, exec_lo, s39
	s_or_b32 s35, s38, s35
	s_and_not1_b32 s36, s36, exec_lo
	s_and_b32 s38, s37, exec_lo
	s_delay_alu instid0(SALU_CYCLE_1)
	s_or_b32 s36, s36, s38
	s_and_not1_b32 exec_lo, exec_lo, s35
	s_cbranch_execz .LBB101_26
.LBB101_20:                             ;   Parent Loop BB101_13 Depth=1
                                        ;     Parent Loop BB101_17 Depth=2
                                        ; =>    This Inner Loop Header: Depth=3
	v_mov_b64_e32 v[24:25], v[20:21]
	s_mov_b32 s38, 0
	s_mov_b32 s39, exec_lo
                                        ; implicit-def: $vgpr20_vgpr21
	v_cmpx_ne_u64_e64 s[26:27], v[26:27]
	s_xor_b32 s39, exec_lo, s39
; %bb.21:                               ;   in Loop: Header=BB101_20 Depth=3
	s_delay_alu instid0(VALU_DEP_2) | instskip(SKIP_1) | instid1(VALU_DEP_1)
	v_add_nc_u32_e32 v11, 1, v24
	s_mov_b32 s38, exec_lo
	v_and_b32_e32 v20, 31, v11
                                        ; implicit-def: $vgpr11
; %bb.22:                               ;   in Loop: Header=BB101_20 Depth=3
	s_and_not1_saveexec_b32 s39, s39
	s_cbranch_execz .LBB101_24
; %bb.23:                               ;   in Loop: Header=BB101_20 Depth=3
	v_mov_b64_e32 v[20:21], s[26:27]
	s_and_not1_b32 s38, s38, exec_lo
	ds_cmpstore_rtn_b64 v[20:21], v11, v[22:23], v[20:21]
	s_wait_dscnt 0x0
	v_cmp_ne_u64_e32 vcc_lo, s[26:27], v[20:21]
	v_mov_b64_e32 v[20:21], v[24:25]
	s_and_b32 s40, vcc_lo, exec_lo
	s_delay_alu instid0(SALU_CYCLE_1)
	s_or_b32 s38, s38, s40
.LBB101_24:                             ;   in Loop: Header=BB101_20 Depth=3
	s_or_b32 exec_lo, exec_lo, s39
	s_mov_b32 s39, -1
	s_or_b32 s37, s37, exec_lo
                                        ; implicit-def: $vgpr11
                                        ; implicit-def: $vgpr26_vgpr27
	s_and_saveexec_b32 s40, s38
	s_cbranch_execz .LBB101_19
; %bb.25:                               ;   in Loop: Header=BB101_20 Depth=3
	v_lshl_add_u32 v11, v20, 3, v30
	s_and_not1_b32 s37, s37, exec_lo
	ds_load_b64 v[26:27], v11
	s_wait_dscnt 0x0
	v_cmp_eq_u64_e32 vcc_lo, v[26:27], v[22:23]
	s_or_not1_b32 s39, vcc_lo, exec_lo
	s_branch .LBB101_19
.LBB101_26:                             ;   in Loop: Header=BB101_17 Depth=2
	s_or_b32 exec_lo, exec_lo, s35
	s_and_saveexec_b32 s35, s36
	s_delay_alu instid0(SALU_CYCLE_1)
	s_xor_b32 s35, exec_lo, s35
	s_cbranch_execz .LBB101_15
; %bb.27:                               ;   in Loop: Header=BB101_17 Depth=2
	v_mov_b32_e32 v20, v24
	s_branch .LBB101_15
.LBB101_28:
	s_or_b32 exec_lo, exec_lo, s20
.LBB101_29:
	s_delay_alu instid0(SALU_CYCLE_1)
	s_and_not1_b32 vcc_lo, exec_lo, s33
	s_cbranch_vccnz .LBB101_46
; %bb.30:
	s_wait_loadcnt 0x0
	v_lshl_add_u64 v[0:1], v[6:7], 3, s[4:5]
	v_mov_b32_e32 v11, 0
	s_mov_b32 s1, 0
	s_mov_b32 s0, s23
	s_mov_b32 s4, exec_lo
	global_load_b128 v[12:15], v[0:1], off
	v_sub_nc_u64_e64 v[2:3], v[10:11], s[0:1]
	s_wait_loadcnt 0x0
	v_sub_nc_u64_e64 v[0:1], v[14:15], s[0:1]
	s_delay_alu instid0(VALU_DEP_2) | instskip(NEXT) | instid1(VALU_DEP_1)
	v_add_nc_u64_e32 v[2:3], v[12:13], v[2:3]
	v_cmpx_lt_i64_e64 v[2:3], v[0:1]
	s_cbranch_execz .LBB101_45
; %bb.31:
	s_mov_b32 s5, s1
	s_branch .LBB101_34
.LBB101_32:                             ;   in Loop: Header=BB101_34 Depth=1
	s_or_b32 exec_lo, exec_lo, s13
.LBB101_33:                             ;   in Loop: Header=BB101_34 Depth=1
	s_delay_alu instid0(SALU_CYCLE_1) | instskip(SKIP_4) | instid1(VALU_DEP_1)
	s_or_b32 exec_lo, exec_lo, s12
	s_wait_loadcnt 0x0
	v_mul_f64_e32 v[8:9], v[4:5], v[8:9]
	v_lshl_add_u32 v10, v10, 3, v31
	v_add_nc_u64_e32 v[2:3], 16, v[2:3]
	v_cmp_ge_i64_e32 vcc_lo, v[2:3], v[0:1]
	s_or_b32 s5, vcc_lo, s5
	ds_add_f64 v10, v[8:9]
	s_and_not1_b32 exec_lo, exec_lo, s5
	s_cbranch_execz .LBB101_45
.LBB101_34:                             ; =>This Loop Header: Depth=1
                                        ;     Child Loop BB101_37 Depth 2
	v_lshlrev_b64_e32 v[8:9], 3, v[2:3]
	s_mov_b32 s12, exec_lo
	s_delay_alu instid0(VALU_DEP_1)
	v_add_nc_u64_e32 v[10:11], s[6:7], v[8:9]
	v_add_nc_u64_e32 v[8:9], s[8:9], v[8:9]
	global_load_b64 v[10:11], v[10:11], off
	global_load_b64 v[8:9], v[8:9], off
	s_wait_loadcnt 0x1
	v_sub_nc_u64_e64 v[12:13], v[10:11], s[0:1]
	s_delay_alu instid0(VALU_DEP_1) | instskip(NEXT) | instid1(VALU_DEP_1)
	v_lshl_add_u32 v10, v12, 3, v12
	v_and_b32_e32 v10, 31, v10
	s_delay_alu instid0(VALU_DEP_1)
	v_lshl_add_u32 v18, v10, 3, v30
	ds_load_b64 v[16:17], v18
	s_wait_dscnt 0x0
	s_wait_xcnt 0x0
	v_cmpx_ne_u64_e64 v[16:17], v[12:13]
	s_cbranch_execz .LBB101_33
; %bb.35:                               ;   in Loop: Header=BB101_34 Depth=1
	s_mov_b32 s13, 0
                                        ; implicit-def: $sgpr14
                                        ; implicit-def: $sgpr15
	s_branch .LBB101_37
.LBB101_36:                             ;   in Loop: Header=BB101_37 Depth=2
	s_or_b32 exec_lo, exec_lo, s18
	s_delay_alu instid0(SALU_CYCLE_1) | instskip(NEXT) | instid1(SALU_CYCLE_1)
	s_and_b32 s16, exec_lo, s17
	s_or_b32 s13, s16, s13
	s_and_not1_b32 s14, s14, exec_lo
	s_and_b32 s16, s15, exec_lo
	s_delay_alu instid0(SALU_CYCLE_1)
	s_or_b32 s14, s14, s16
	s_and_not1_b32 exec_lo, exec_lo, s13
	s_cbranch_execz .LBB101_43
.LBB101_37:                             ;   Parent Loop BB101_34 Depth=1
                                        ; =>  This Inner Loop Header: Depth=2
	v_mov_b64_e32 v[14:15], v[10:11]
	s_mov_b32 s16, 0
	s_mov_b32 s17, exec_lo
                                        ; implicit-def: $vgpr10_vgpr11
	v_cmpx_ne_u64_e64 s[26:27], v[16:17]
	s_xor_b32 s17, exec_lo, s17
; %bb.38:                               ;   in Loop: Header=BB101_37 Depth=2
	s_delay_alu instid0(VALU_DEP_2) | instskip(SKIP_1) | instid1(VALU_DEP_1)
	v_add_nc_u32_e32 v10, 1, v14
	s_mov_b32 s16, exec_lo
                                        ; implicit-def: $vgpr18
	v_and_b32_e32 v10, 31, v10
; %bb.39:                               ;   in Loop: Header=BB101_37 Depth=2
	s_and_not1_saveexec_b32 s17, s17
	s_cbranch_execz .LBB101_41
; %bb.40:                               ;   in Loop: Header=BB101_37 Depth=2
	v_mov_b64_e32 v[10:11], s[26:27]
	s_and_not1_b32 s16, s16, exec_lo
	ds_cmpstore_rtn_b64 v[10:11], v18, v[12:13], v[10:11]
	s_wait_dscnt 0x0
	v_cmp_ne_u64_e32 vcc_lo, s[26:27], v[10:11]
	v_mov_b64_e32 v[10:11], v[14:15]
	s_and_b32 s18, vcc_lo, exec_lo
	s_delay_alu instid0(SALU_CYCLE_1)
	s_or_b32 s16, s16, s18
.LBB101_41:                             ;   in Loop: Header=BB101_37 Depth=2
	s_or_b32 exec_lo, exec_lo, s17
	s_mov_b32 s17, -1
	s_or_b32 s15, s15, exec_lo
                                        ; implicit-def: $vgpr18
                                        ; implicit-def: $vgpr16_vgpr17
	s_and_saveexec_b32 s18, s16
	s_cbranch_execz .LBB101_36
; %bb.42:                               ;   in Loop: Header=BB101_37 Depth=2
	v_lshl_add_u32 v18, v10, 3, v30
	s_and_not1_b32 s15, s15, exec_lo
	ds_load_b64 v[16:17], v18
	s_wait_dscnt 0x0
	v_cmp_eq_u64_e32 vcc_lo, v[16:17], v[12:13]
	s_or_not1_b32 s17, vcc_lo, exec_lo
	s_branch .LBB101_36
.LBB101_43:                             ;   in Loop: Header=BB101_34 Depth=1
	s_or_b32 exec_lo, exec_lo, s13
	s_and_saveexec_b32 s13, s14
	s_delay_alu instid0(SALU_CYCLE_1)
	s_xor_b32 s13, exec_lo, s13
	s_cbranch_execz .LBB101_32
; %bb.44:                               ;   in Loop: Header=BB101_34 Depth=1
	v_mov_b32_e32 v10, v14
	s_branch .LBB101_32
.LBB101_45:
	s_or_b32 exec_lo, exec_lo, s4
.LBB101_46:
	s_wait_loadcnt 0x0
	v_lshl_add_u64 v[0:1], v[6:7], 3, s[10:11]
	s_wait_dscnt 0x0
	s_mov_b32 s23, 0
	v_mov_b32_e32 v3, 0
	global_load_b64 v[0:1], v[0:1], off
	s_wait_loadcnt 0x0
	v_sub_nc_u64_e64 v[0:1], v[0:1], s[22:23]
	s_delay_alu instid0(VALU_DEP_1)
	v_lshl_add_u64 v[0:1], v[0:1], 3, s[2:3]
	s_branch .LBB101_48
.LBB101_47:                             ;   in Loop: Header=BB101_48 Depth=1
	s_wait_xcnt 0x0
	s_or_b32 exec_lo, exec_lo, s0
	v_add_co_u32 v29, s0, v29, 16
	s_xor_b32 s0, s0, -1
	v_add_nc_u32_e32 v28, 0x80, v28
	s_and_b32 s0, exec_lo, s0
	s_delay_alu instid0(SALU_CYCLE_1) | instskip(NEXT) | instid1(SALU_CYCLE_1)
	s_or_b32 s23, s0, s23
	s_and_not1_b32 exec_lo, exec_lo, s23
	s_cbranch_execz .LBB101_50
.LBB101_48:                             ; =>This Inner Loop Header: Depth=1
	ds_load_b64 v[4:5], v28 offset:4096
	s_mov_b32 s0, exec_lo
	s_wait_dscnt 0x0
	v_cmpx_gt_i64_e64 s[26:27], v[4:5]
	s_cbranch_execz .LBB101_47
; %bb.49:                               ;   in Loop: Header=BB101_48 Depth=1
	ds_load_b128 v[6:9], v30
	ds_load_b128 v[10:13], v30 offset:16
	ds_load_b128 v[14:17], v30 offset:32
	s_wait_dscnt 0x2
	v_cmp_gt_i64_e32 vcc_lo, v[4:5], v[6:7]
	v_cndmask_b32_e64 v2, 0, 1, vcc_lo
	v_cmp_gt_i64_e32 vcc_lo, v[4:5], v[8:9]
	s_delay_alu instid0(VALU_DEP_2) | instskip(SKIP_3) | instid1(VALU_DEP_3)
	v_lshlrev_b32_e32 v2, 3, v2
	v_cndmask_b32_e64 v8, 0, 1, vcc_lo
	s_wait_dscnt 0x1
	v_cmp_gt_i64_e32 vcc_lo, v[4:5], v[10:11]
	v_add_nc_u64_e32 v[6:7], v[0:1], v[2:3]
	s_delay_alu instid0(VALU_DEP_3) | instskip(SKIP_2) | instid1(VALU_DEP_3)
	v_lshlrev_b32_e32 v2, 3, v8
	v_cndmask_b32_e64 v18, 0, 1, vcc_lo
	v_cmp_gt_i64_e32 vcc_lo, v[4:5], v[12:13]
	v_add_nc_u64_e32 v[10:11], v[6:7], v[2:3]
	ds_load_b128 v[6:9], v30 offset:48
	v_lshlrev_b32_e32 v2, 3, v18
	v_cndmask_b32_e64 v12, 0, 1, vcc_lo
	s_wait_dscnt 0x1
	v_cmp_gt_i64_e32 vcc_lo, v[4:5], v[14:15]
	s_delay_alu instid0(VALU_DEP_3) | instskip(NEXT) | instid1(VALU_DEP_3)
	v_add_nc_u64_e32 v[10:11], v[10:11], v[2:3]
	v_lshlrev_b32_e32 v2, 3, v12
	v_cndmask_b32_e64 v18, 0, 1, vcc_lo
	v_cmp_gt_i64_e32 vcc_lo, v[4:5], v[16:17]
	s_delay_alu instid0(VALU_DEP_3)
	v_add_nc_u64_e32 v[14:15], v[10:11], v[2:3]
	ds_load_b128 v[10:13], v30 offset:64
	v_lshlrev_b32_e32 v2, 3, v18
	v_cndmask_b32_e64 v16, 0, 1, vcc_lo
	s_wait_dscnt 0x1
	v_cmp_gt_i64_e32 vcc_lo, v[4:5], v[6:7]
	s_delay_alu instid0(VALU_DEP_3) | instskip(NEXT) | instid1(VALU_DEP_3)
	v_add_nc_u64_e32 v[14:15], v[14:15], v[2:3]
	v_lshlrev_b32_e32 v2, 3, v16
	v_cndmask_b32_e64 v18, 0, 1, vcc_lo
	v_cmp_gt_i64_e32 vcc_lo, v[4:5], v[8:9]
	s_delay_alu instid0(VALU_DEP_3)
	;; [unrolled: 12-line block ×12, first 2 shown]
	v_add_nc_u64_e32 v[10:11], v[6:7], v[2:3]
	ds_load_b128 v[6:9], v30 offset:240
	v_lshlrev_b32_e32 v2, 3, v18
	v_cndmask_b32_e64 v12, 0, 1, vcc_lo
	s_wait_dscnt 0x1
	v_cmp_gt_i64_e32 vcc_lo, v[4:5], v[14:15]
	s_delay_alu instid0(VALU_DEP_3) | instskip(NEXT) | instid1(VALU_DEP_3)
	v_add_nc_u64_e32 v[10:11], v[10:11], v[2:3]
	v_lshlrev_b32_e32 v2, 3, v12
	v_cndmask_b32_e64 v12, 0, 1, vcc_lo
	v_cmp_gt_i64_e32 vcc_lo, v[4:5], v[16:17]
	s_delay_alu instid0(VALU_DEP_3) | instskip(NEXT) | instid1(VALU_DEP_3)
	v_add_nc_u64_e32 v[10:11], v[10:11], v[2:3]
	v_lshlrev_b32_e32 v2, 3, v12
	v_cndmask_b32_e64 v12, 0, 1, vcc_lo
	s_wait_dscnt 0x0
	v_cmp_gt_i64_e32 vcc_lo, v[4:5], v[6:7]
	s_delay_alu instid0(VALU_DEP_3) | instskip(NEXT) | instid1(VALU_DEP_3)
	v_add_nc_u64_e32 v[10:11], v[10:11], v[2:3]
	v_lshlrev_b32_e32 v2, 3, v12
	v_cndmask_b32_e64 v12, 0, 1, vcc_lo
	v_cmp_gt_i64_e32 vcc_lo, v[4:5], v[8:9]
	s_delay_alu instid0(VALU_DEP_3) | instskip(SKIP_3) | instid1(VALU_DEP_2)
	v_add_nc_u64_e32 v[6:7], v[10:11], v[2:3]
	ds_load_b64 v[10:11], v28
	v_lshlrev_b32_e32 v2, 3, v12
	v_cndmask_b32_e64 v8, 0, 1, vcc_lo
	v_add_nc_u64_e32 v[4:5], v[6:7], v[2:3]
	s_delay_alu instid0(VALU_DEP_2) | instskip(NEXT) | instid1(VALU_DEP_1)
	v_lshlrev_b32_e32 v2, 3, v8
	v_add_nc_u64_e32 v[4:5], v[4:5], v[2:3]
	s_wait_dscnt 0x0
	global_store_b64 v[4:5], v[10:11], off
	s_branch .LBB101_47
.LBB101_50:
	s_endpgm
	.section	.rodata,"a",@progbits
	.p2align	6, 0x0
	.amdhsa_kernel _ZN9rocsparseL38csrgemm_numeric_fill_wf_per_row_kernelILj256ELj16ELj32ELj137ElldEEvT4_S1_PKS1_S3_NS_24const_host_device_scalarIT5_EEPKT3_S3_PKS5_S9_S3_SB_S6_S9_S3_SB_S9_S3_PS5_21rocsparse_index_base_SD_SD_SD_bbb
		.amdhsa_group_segment_fixed_size 8192
		.amdhsa_private_segment_fixed_size 0
		.amdhsa_kernarg_size 164
		.amdhsa_user_sgpr_count 2
		.amdhsa_user_sgpr_dispatch_ptr 0
		.amdhsa_user_sgpr_queue_ptr 0
		.amdhsa_user_sgpr_kernarg_segment_ptr 1
		.amdhsa_user_sgpr_dispatch_id 0
		.amdhsa_user_sgpr_kernarg_preload_length 0
		.amdhsa_user_sgpr_kernarg_preload_offset 0
		.amdhsa_user_sgpr_private_segment_size 0
		.amdhsa_wavefront_size32 1
		.amdhsa_uses_dynamic_stack 0
		.amdhsa_enable_private_segment 0
		.amdhsa_system_sgpr_workgroup_id_x 1
		.amdhsa_system_sgpr_workgroup_id_y 0
		.amdhsa_system_sgpr_workgroup_id_z 0
		.amdhsa_system_sgpr_workgroup_info 0
		.amdhsa_system_vgpr_workitem_id 0
		.amdhsa_next_free_vgpr 32
		.amdhsa_next_free_sgpr 41
		.amdhsa_named_barrier_count 0
		.amdhsa_reserve_vcc 1
		.amdhsa_float_round_mode_32 0
		.amdhsa_float_round_mode_16_64 0
		.amdhsa_float_denorm_mode_32 3
		.amdhsa_float_denorm_mode_16_64 3
		.amdhsa_fp16_overflow 0
		.amdhsa_memory_ordered 1
		.amdhsa_forward_progress 1
		.amdhsa_inst_pref_size 22
		.amdhsa_round_robin_scheduling 0
		.amdhsa_exception_fp_ieee_invalid_op 0
		.amdhsa_exception_fp_denorm_src 0
		.amdhsa_exception_fp_ieee_div_zero 0
		.amdhsa_exception_fp_ieee_overflow 0
		.amdhsa_exception_fp_ieee_underflow 0
		.amdhsa_exception_fp_ieee_inexact 0
		.amdhsa_exception_int_div_zero 0
	.end_amdhsa_kernel
	.section	.text._ZN9rocsparseL38csrgemm_numeric_fill_wf_per_row_kernelILj256ELj16ELj32ELj137ElldEEvT4_S1_PKS1_S3_NS_24const_host_device_scalarIT5_EEPKT3_S3_PKS5_S9_S3_SB_S6_S9_S3_SB_S9_S3_PS5_21rocsparse_index_base_SD_SD_SD_bbb,"axG",@progbits,_ZN9rocsparseL38csrgemm_numeric_fill_wf_per_row_kernelILj256ELj16ELj32ELj137ElldEEvT4_S1_PKS1_S3_NS_24const_host_device_scalarIT5_EEPKT3_S3_PKS5_S9_S3_SB_S6_S9_S3_SB_S9_S3_PS5_21rocsparse_index_base_SD_SD_SD_bbb,comdat
.Lfunc_end101:
	.size	_ZN9rocsparseL38csrgemm_numeric_fill_wf_per_row_kernelILj256ELj16ELj32ELj137ElldEEvT4_S1_PKS1_S3_NS_24const_host_device_scalarIT5_EEPKT3_S3_PKS5_S9_S3_SB_S6_S9_S3_SB_S9_S3_PS5_21rocsparse_index_base_SD_SD_SD_bbb, .Lfunc_end101-_ZN9rocsparseL38csrgemm_numeric_fill_wf_per_row_kernelILj256ELj16ELj32ELj137ElldEEvT4_S1_PKS1_S3_NS_24const_host_device_scalarIT5_EEPKT3_S3_PKS5_S9_S3_SB_S6_S9_S3_SB_S9_S3_PS5_21rocsparse_index_base_SD_SD_SD_bbb
                                        ; -- End function
	.set _ZN9rocsparseL38csrgemm_numeric_fill_wf_per_row_kernelILj256ELj16ELj32ELj137ElldEEvT4_S1_PKS1_S3_NS_24const_host_device_scalarIT5_EEPKT3_S3_PKS5_S9_S3_SB_S6_S9_S3_SB_S9_S3_PS5_21rocsparse_index_base_SD_SD_SD_bbb.num_vgpr, 32
	.set _ZN9rocsparseL38csrgemm_numeric_fill_wf_per_row_kernelILj256ELj16ELj32ELj137ElldEEvT4_S1_PKS1_S3_NS_24const_host_device_scalarIT5_EEPKT3_S3_PKS5_S9_S3_SB_S6_S9_S3_SB_S9_S3_PS5_21rocsparse_index_base_SD_SD_SD_bbb.num_agpr, 0
	.set _ZN9rocsparseL38csrgemm_numeric_fill_wf_per_row_kernelILj256ELj16ELj32ELj137ElldEEvT4_S1_PKS1_S3_NS_24const_host_device_scalarIT5_EEPKT3_S3_PKS5_S9_S3_SB_S6_S9_S3_SB_S9_S3_PS5_21rocsparse_index_base_SD_SD_SD_bbb.numbered_sgpr, 41
	.set _ZN9rocsparseL38csrgemm_numeric_fill_wf_per_row_kernelILj256ELj16ELj32ELj137ElldEEvT4_S1_PKS1_S3_NS_24const_host_device_scalarIT5_EEPKT3_S3_PKS5_S9_S3_SB_S6_S9_S3_SB_S9_S3_PS5_21rocsparse_index_base_SD_SD_SD_bbb.num_named_barrier, 0
	.set _ZN9rocsparseL38csrgemm_numeric_fill_wf_per_row_kernelILj256ELj16ELj32ELj137ElldEEvT4_S1_PKS1_S3_NS_24const_host_device_scalarIT5_EEPKT3_S3_PKS5_S9_S3_SB_S6_S9_S3_SB_S9_S3_PS5_21rocsparse_index_base_SD_SD_SD_bbb.private_seg_size, 0
	.set _ZN9rocsparseL38csrgemm_numeric_fill_wf_per_row_kernelILj256ELj16ELj32ELj137ElldEEvT4_S1_PKS1_S3_NS_24const_host_device_scalarIT5_EEPKT3_S3_PKS5_S9_S3_SB_S6_S9_S3_SB_S9_S3_PS5_21rocsparse_index_base_SD_SD_SD_bbb.uses_vcc, 1
	.set _ZN9rocsparseL38csrgemm_numeric_fill_wf_per_row_kernelILj256ELj16ELj32ELj137ElldEEvT4_S1_PKS1_S3_NS_24const_host_device_scalarIT5_EEPKT3_S3_PKS5_S9_S3_SB_S6_S9_S3_SB_S9_S3_PS5_21rocsparse_index_base_SD_SD_SD_bbb.uses_flat_scratch, 0
	.set _ZN9rocsparseL38csrgemm_numeric_fill_wf_per_row_kernelILj256ELj16ELj32ELj137ElldEEvT4_S1_PKS1_S3_NS_24const_host_device_scalarIT5_EEPKT3_S3_PKS5_S9_S3_SB_S6_S9_S3_SB_S9_S3_PS5_21rocsparse_index_base_SD_SD_SD_bbb.has_dyn_sized_stack, 0
	.set _ZN9rocsparseL38csrgemm_numeric_fill_wf_per_row_kernelILj256ELj16ELj32ELj137ElldEEvT4_S1_PKS1_S3_NS_24const_host_device_scalarIT5_EEPKT3_S3_PKS5_S9_S3_SB_S6_S9_S3_SB_S9_S3_PS5_21rocsparse_index_base_SD_SD_SD_bbb.has_recursion, 0
	.set _ZN9rocsparseL38csrgemm_numeric_fill_wf_per_row_kernelILj256ELj16ELj32ELj137ElldEEvT4_S1_PKS1_S3_NS_24const_host_device_scalarIT5_EEPKT3_S3_PKS5_S9_S3_SB_S6_S9_S3_SB_S9_S3_PS5_21rocsparse_index_base_SD_SD_SD_bbb.has_indirect_call, 0
	.section	.AMDGPU.csdata,"",@progbits
; Kernel info:
; codeLenInByte = 2784
; TotalNumSgprs: 43
; NumVgprs: 32
; ScratchSize: 0
; MemoryBound: 0
; FloatMode: 240
; IeeeMode: 1
; LDSByteSize: 8192 bytes/workgroup (compile time only)
; SGPRBlocks: 0
; VGPRBlocks: 1
; NumSGPRsForWavesPerEU: 43
; NumVGPRsForWavesPerEU: 32
; NamedBarCnt: 0
; Occupancy: 16
; WaveLimiterHint : 1
; COMPUTE_PGM_RSRC2:SCRATCH_EN: 0
; COMPUTE_PGM_RSRC2:USER_SGPR: 2
; COMPUTE_PGM_RSRC2:TRAP_HANDLER: 0
; COMPUTE_PGM_RSRC2:TGID_X_EN: 1
; COMPUTE_PGM_RSRC2:TGID_Y_EN: 0
; COMPUTE_PGM_RSRC2:TGID_Z_EN: 0
; COMPUTE_PGM_RSRC2:TIDIG_COMP_CNT: 0
	.section	.text._ZN9rocsparseL41csrgemm_numeric_fill_block_per_row_kernelILj128ELj16ELj256ELj137ELj32ElldEEvT5_PKS1_S3_NS_24const_host_device_scalarIT6_EEPKT4_S3_PKS5_S9_S3_SB_S6_S9_S3_SB_S9_S3_PS5_21rocsparse_index_base_SD_SD_SD_bbb,"axG",@progbits,_ZN9rocsparseL41csrgemm_numeric_fill_block_per_row_kernelILj128ELj16ELj256ELj137ELj32ElldEEvT5_PKS1_S3_NS_24const_host_device_scalarIT6_EEPKT4_S3_PKS5_S9_S3_SB_S6_S9_S3_SB_S9_S3_PS5_21rocsparse_index_base_SD_SD_SD_bbb,comdat
	.globl	_ZN9rocsparseL41csrgemm_numeric_fill_block_per_row_kernelILj128ELj16ELj256ELj137ELj32ElldEEvT5_PKS1_S3_NS_24const_host_device_scalarIT6_EEPKT4_S3_PKS5_S9_S3_SB_S6_S9_S3_SB_S9_S3_PS5_21rocsparse_index_base_SD_SD_SD_bbb ; -- Begin function _ZN9rocsparseL41csrgemm_numeric_fill_block_per_row_kernelILj128ELj16ELj256ELj137ELj32ElldEEvT5_PKS1_S3_NS_24const_host_device_scalarIT6_EEPKT4_S3_PKS5_S9_S3_SB_S6_S9_S3_SB_S9_S3_PS5_21rocsparse_index_base_SD_SD_SD_bbb
	.p2align	8
	.type	_ZN9rocsparseL41csrgemm_numeric_fill_block_per_row_kernelILj128ELj16ELj256ELj137ELj32ElldEEvT5_PKS1_S3_NS_24const_host_device_scalarIT6_EEPKT4_S3_PKS5_S9_S3_SB_S6_S9_S3_SB_S9_S3_PS5_21rocsparse_index_base_SD_SD_SD_bbb,@function
_ZN9rocsparseL41csrgemm_numeric_fill_block_per_row_kernelILj128ELj16ELj256ELj137ELj32ElldEEvT5_PKS1_S3_NS_24const_host_device_scalarIT6_EEPKT4_S3_PKS5_S9_S3_SB_S6_S9_S3_SB_S9_S3_PS5_21rocsparse_index_base_SD_SD_SD_bbb: ; @_ZN9rocsparseL41csrgemm_numeric_fill_block_per_row_kernelILj128ELj16ELj256ELj137ELj32ElldEEvT5_PKS1_S3_NS_24const_host_device_scalarIT6_EEPKT4_S3_PKS5_S9_S3_SB_S6_S9_S3_SB_S9_S3_PS5_21rocsparse_index_base_SD_SD_SD_bbb
; %bb.0:
	s_clause 0x2
	s_load_b32 s6, s[0:1], 0x98
	s_load_b64 s[4:5], s[0:1], 0x18
	s_load_b64 s[2:3], s[0:1], 0x50
	s_wait_kmcnt 0x0
	s_bitcmp1_b32 s6, 0
	s_cselect_b32 s38, -1, 0
	s_bitcmp1_b32 s6, 16
	s_cselect_b32 s7, -1, 0
	s_xor_b32 s8, s38, -1
	s_delay_alu instid0(SALU_CYCLE_1)
	s_or_b32 s10, s7, s8
	s_and_b32 s8, s38, exec_lo
	s_cselect_b32 s9, s5, 0
	s_cselect_b32 s8, s4, 0
	s_and_b32 vcc_lo, exec_lo, s10
	v_mov_b64_e32 v[4:5], s[8:9]
	s_cbranch_vccnz .LBB102_2
; %bb.1:
	v_mov_b32_e32 v1, 0
	flat_load_b64 v[4:5], v1, s[4:5]
.LBB102_2:
	s_load_b128 s[20:23], s[0:1], 0x88
	s_bitcmp1_b32 s6, 8
	s_cselect_b32 s33, -1, 0
	s_delay_alu instid0(SALU_CYCLE_1) | instskip(NEXT) | instid1(SALU_CYCLE_1)
	s_xor_b32 s4, s33, -1
	s_or_b32 s6, s7, s4
	s_and_b32 s4, s33, exec_lo
	s_cselect_b32 s5, s3, 0
	s_cselect_b32 s4, s2, 0
	s_and_b32 vcc_lo, exec_lo, s6
	v_mov_b64_e32 v[2:3], s[4:5]
	s_cbranch_vccnz .LBB102_4
; %bb.3:
	v_mov_b32_e32 v1, 0
	flat_load_b64 v[2:3], v1, s[2:3]
.LBB102_4:
	s_load_b128 s[24:27], s[0:1], 0x0
	v_cmp_gt_u32_e64 s2, 0x100, v0
	v_or_b32_e32 v26, 0xffffff80, v0
	v_lshl_add_u32 v27, v0, 3, 0
	s_and_saveexec_b32 s3, s2
	s_cbranch_execz .LBB102_7
; %bb.5:
	v_mov_b64_e32 v[6:7], 0
	s_wait_kmcnt 0x0
	v_mov_b64_e32 v[8:9], s[24:25]
	v_or_b32_e32 v1, 0xffffff80, v0
	v_lshl_add_u32 v10, v0, 3, 0
	s_mov_b32 s4, 0
.LBB102_6:                              ; =>This Inner Loop Header: Depth=1
	s_delay_alu instid0(VALU_DEP_2) | instskip(SKIP_4) | instid1(SALU_CYCLE_1)
	v_add_co_u32 v1, s5, 0x80, v1
	s_xor_b32 s5, s5, -1
	ds_store_2addr_stride64_b64 v10, v[8:9], v[6:7] offset1:4
	v_add_nc_u32_e32 v10, 0x400, v10
	s_and_b32 s5, exec_lo, s5
	s_or_b32 s4, s5, s4
	s_delay_alu instid0(SALU_CYCLE_1)
	s_and_not1_b32 exec_lo, exec_lo, s4
	s_cbranch_execnz .LBB102_6
.LBB102_7:
	s_or_b32 exec_lo, exec_lo, s3
	s_clause 0x4
	s_load_b64 s[34:35], s[0:1], 0x80
	s_load_b256 s[4:11], s[0:1], 0x58
	s_load_b128 s[28:31], s[0:1], 0x40
	s_load_b64 s[36:37], s[0:1], 0x10
	s_load_b256 s[12:19], s[0:1], 0x20
	s_wait_loadcnt_dscnt 0x0
	s_barrier_signal -1
	s_barrier_wait -1
	s_wait_kmcnt 0x0
	s_load_b64 s[0:1], s[26:27], 0x0
	s_bfe_u32 s3, ttmp6, 0x4000c
	s_wait_xcnt 0x0
	s_and_b32 s26, ttmp6, 15
	s_add_co_i32 s3, s3, 1
	s_getreg_b32 s27, hwreg(HW_REG_IB_STS2, 6, 4)
	s_mul_i32 s3, ttmp9, s3
	s_delay_alu instid0(SALU_CYCLE_1)
	s_add_co_i32 s26, s26, s3
	s_wait_kmcnt 0x0
	s_lshl_b64 s[0:1], s[0:1], 3
	s_cmp_eq_u32 s27, 0
	s_add_nc_u64 s[0:1], s[36:37], s[0:1]
	s_cselect_b32 s3, ttmp9, s26
	s_and_b32 vcc_lo, exec_lo, s38
	s_load_b64 s[26:27], s[0:1], s3 offset:0x0 scale_offset
	s_wait_xcnt 0x0
	s_mov_b32 s1, 0
	s_cbranch_vccz .LBB102_27
; %bb.8:
	s_wait_kmcnt 0x0
	s_lshl_b64 s[36:37], s[26:27], 3
	v_dual_mov_b32 v9, 0 :: v_dual_lshrrev_b32 v8, 4, v0
	s_add_nc_u64 s[12:13], s[12:13], s[36:37]
	s_mov_b32 s0, s20
	s_load_b128 s[36:39], s[12:13], 0x0
	s_mov_b32 s3, exec_lo
	v_sub_nc_u64_e64 v[6:7], v[8:9], s[0:1]
	s_wait_kmcnt 0x0
	s_delay_alu instid0(VALU_DEP_1)
	v_add_nc_u64_e32 v[6:7], s[36:37], v[6:7]
	s_sub_nc_u64 s[12:13], s[38:39], s[0:1]
	s_delay_alu instid0(VALU_DEP_1) | instid1(SALU_CYCLE_1)
	v_cmpx_gt_i64_e64 s[12:13], v[6:7]
	s_cbranch_execz .LBB102_26
; %bb.9:
	v_and_b32_e32 v8, 15, v0
	s_mov_b32 s37, 0
	s_mov_b32 s36, s21
	;; [unrolled: 1-line block ×3, first 2 shown]
	s_delay_alu instid0(VALU_DEP_1)
	v_sub_nc_u64_e64 v[8:9], v[8:9], s[36:37]
	s_branch .LBB102_11
.LBB102_10:                             ;   in Loop: Header=BB102_11 Depth=1
	s_or_b32 exec_lo, exec_lo, s21
	v_add_nc_u64_e32 v[6:7], 8, v[6:7]
	s_delay_alu instid0(VALU_DEP_1) | instskip(SKIP_1) | instid1(SALU_CYCLE_1)
	v_cmp_le_i64_e32 vcc_lo, s[12:13], v[6:7]
	s_or_b32 s20, vcc_lo, s20
	s_and_not1_b32 exec_lo, exec_lo, s20
	s_cbranch_execz .LBB102_26
.LBB102_11:                             ; =>This Loop Header: Depth=1
                                        ;     Child Loop BB102_15 Depth 2
                                        ;       Child Loop BB102_18 Depth 3
	v_lshl_add_u64 v[10:11], v[6:7], 3, s[14:15]
	s_mov_b32 s21, exec_lo
	global_load_b64 v[10:11], v[10:11], off
	s_wait_loadcnt 0x0
	s_wait_xcnt 0x0
	v_sub_nc_u64_e64 v[10:11], v[10:11], s[0:1]
	s_delay_alu instid0(VALU_DEP_1)
	v_lshl_add_u64 v[10:11], v[10:11], 3, s[18:19]
	global_load_b128 v[12:15], v[10:11], off
	s_wait_loadcnt 0x0
	s_wait_xcnt 0x0
	v_sub_nc_u64_e64 v[10:11], v[14:15], s[36:37]
	v_add_nc_u64_e32 v[12:13], v[12:13], v[8:9]
	s_delay_alu instid0(VALU_DEP_1)
	v_cmpx_lt_i64_e64 v[12:13], v[10:11]
	s_cbranch_execz .LBB102_10
; %bb.12:                               ;   in Loop: Header=BB102_11 Depth=1
	v_lshl_add_u64 v[14:15], v[6:7], 3, s[16:17]
	s_mov_b32 s38, 0
	global_load_b64 v[14:15], v[14:15], off
	s_wait_loadcnt 0x0
	s_wait_xcnt 0x0
	v_mul_f64_e32 v[14:15], v[4:5], v[14:15]
	s_branch .LBB102_15
.LBB102_13:                             ;   in Loop: Header=BB102_15 Depth=2
	s_or_b32 exec_lo, exec_lo, s40
.LBB102_14:                             ;   in Loop: Header=BB102_15 Depth=2
	s_delay_alu instid0(SALU_CYCLE_1) | instskip(SKIP_4) | instid1(VALU_DEP_1)
	s_or_b32 exec_lo, exec_lo, s39
	s_wait_loadcnt 0x0
	v_mul_f64_e32 v[16:17], v[14:15], v[16:17]
	v_lshl_add_u32 v1, v18, 3, 0
	v_add_nc_u64_e32 v[12:13], 16, v[12:13]
	v_cmp_ge_i64_e32 vcc_lo, v[12:13], v[10:11]
	s_or_b32 s38, vcc_lo, s38
	ds_add_f64 v1, v[16:17] offset:2048
	s_and_not1_b32 exec_lo, exec_lo, s38
	s_cbranch_execz .LBB102_10
.LBB102_15:                             ;   Parent Loop BB102_11 Depth=1
                                        ; =>  This Loop Header: Depth=2
                                        ;       Child Loop BB102_18 Depth 3
	v_lshlrev_b64_e32 v[16:17], 3, v[12:13]
	s_mov_b32 s39, exec_lo
	s_delay_alu instid0(VALU_DEP_1)
	v_add_nc_u64_e32 v[18:19], s[28:29], v[16:17]
	v_add_nc_u64_e32 v[16:17], s[30:31], v[16:17]
	global_load_b64 v[18:19], v[18:19], off
	global_load_b64 v[16:17], v[16:17], off
	s_wait_loadcnt 0x1
	v_sub_nc_u64_e64 v[20:21], v[18:19], s[36:37]
	s_delay_alu instid0(VALU_DEP_1) | instskip(SKIP_1) | instid1(VALU_DEP_1)
	v_mul_lo_u32 v1, 0x89, v20
	s_wait_xcnt 0x1
	v_and_b32_e32 v18, 0xff, v1
	s_delay_alu instid0(VALU_DEP_1)
	v_lshl_add_u32 v1, v18, 3, 0
	ds_load_b64 v[24:25], v1
	s_wait_dscnt 0x0
	s_wait_xcnt 0x0
	v_cmpx_ne_u64_e64 v[24:25], v[20:21]
	s_cbranch_execz .LBB102_14
; %bb.16:                               ;   in Loop: Header=BB102_15 Depth=2
	s_mov_b32 s40, 0
                                        ; implicit-def: $sgpr41
                                        ; implicit-def: $sgpr42
	s_branch .LBB102_18
.LBB102_17:                             ;   in Loop: Header=BB102_18 Depth=3
	s_or_b32 exec_lo, exec_lo, s45
	s_delay_alu instid0(SALU_CYCLE_1) | instskip(NEXT) | instid1(SALU_CYCLE_1)
	s_and_b32 s43, exec_lo, s44
	s_or_b32 s40, s43, s40
	s_and_not1_b32 s41, s41, exec_lo
	s_and_b32 s43, s42, exec_lo
	s_delay_alu instid0(SALU_CYCLE_1)
	s_or_b32 s41, s41, s43
	s_and_not1_b32 exec_lo, exec_lo, s40
	s_cbranch_execz .LBB102_24
.LBB102_18:                             ;   Parent Loop BB102_11 Depth=1
                                        ;     Parent Loop BB102_15 Depth=2
                                        ; =>    This Inner Loop Header: Depth=3
	v_mov_b64_e32 v[22:23], v[18:19]
	s_mov_b32 s43, 0
	s_mov_b32 s44, exec_lo
                                        ; implicit-def: $vgpr18_vgpr19
	v_cmpx_ne_u64_e64 s[24:25], v[24:25]
	s_xor_b32 s44, exec_lo, s44
; %bb.19:                               ;   in Loop: Header=BB102_18 Depth=3
	s_delay_alu instid0(VALU_DEP_2) | instskip(SKIP_1) | instid1(VALU_DEP_1)
	v_add_nc_u32_e32 v1, 1, v22
	s_mov_b32 s43, exec_lo
	v_and_b32_e32 v18, 0xff, v1
                                        ; implicit-def: $vgpr1
; %bb.20:                               ;   in Loop: Header=BB102_18 Depth=3
	s_and_not1_saveexec_b32 s44, s44
	s_cbranch_execz .LBB102_22
; %bb.21:                               ;   in Loop: Header=BB102_18 Depth=3
	v_mov_b64_e32 v[18:19], s[24:25]
	s_and_not1_b32 s43, s43, exec_lo
	ds_cmpstore_rtn_b64 v[18:19], v1, v[20:21], v[18:19]
	s_wait_dscnt 0x0
	v_cmp_ne_u64_e32 vcc_lo, s[24:25], v[18:19]
	v_mov_b64_e32 v[18:19], v[22:23]
	s_and_b32 s45, vcc_lo, exec_lo
	s_delay_alu instid0(SALU_CYCLE_1)
	s_or_b32 s43, s43, s45
.LBB102_22:                             ;   in Loop: Header=BB102_18 Depth=3
	s_or_b32 exec_lo, exec_lo, s44
	s_mov_b32 s44, -1
	s_or_b32 s42, s42, exec_lo
                                        ; implicit-def: $vgpr1
                                        ; implicit-def: $vgpr24_vgpr25
	s_and_saveexec_b32 s45, s43
	s_cbranch_execz .LBB102_17
; %bb.23:                               ;   in Loop: Header=BB102_18 Depth=3
	v_lshl_add_u32 v1, v18, 3, 0
	s_and_not1_b32 s42, s42, exec_lo
	ds_load_b64 v[24:25], v1
	s_wait_dscnt 0x0
	v_cmp_eq_u64_e32 vcc_lo, v[24:25], v[20:21]
	s_or_not1_b32 s44, vcc_lo, exec_lo
	s_branch .LBB102_17
.LBB102_24:                             ;   in Loop: Header=BB102_15 Depth=2
	s_or_b32 exec_lo, exec_lo, s40
	s_and_saveexec_b32 s40, s41
	s_delay_alu instid0(SALU_CYCLE_1)
	s_xor_b32 s40, exec_lo, s40
	s_cbranch_execz .LBB102_13
; %bb.25:                               ;   in Loop: Header=BB102_15 Depth=2
	v_mov_b32_e32 v18, v22
	s_branch .LBB102_13
.LBB102_26:
	s_or_b32 exec_lo, exec_lo, s3
.LBB102_27:
	s_delay_alu instid0(SALU_CYCLE_1)
	s_and_not1_b32 vcc_lo, exec_lo, s33
	s_cbranch_vccnz .LBB102_44
; %bb.28:
	s_wait_kmcnt 0x0
	s_lshl_b64 s[0:1], s[26:27], 3
	v_mov_b32_e32 v1, 0
	s_add_nc_u64 s[0:1], s[4:5], s[0:1]
	s_mov_b32 s3, exec_lo
	s_load_b128 s[12:15], s[0:1], 0x0
	s_wait_xcnt 0x0
	s_mov_b32 s1, 0
	s_mov_b32 s0, s23
	s_delay_alu instid0(SALU_CYCLE_1) | instskip(SKIP_1) | instid1(VALU_DEP_1)
	v_sub_nc_u64_e64 v[4:5], v[0:1], s[0:1]
	s_wait_kmcnt 0x0
	v_add_nc_u64_e32 v[4:5], s[12:13], v[4:5]
	s_sub_nc_u64 s[4:5], s[14:15], s[0:1]
	s_delay_alu instid0(VALU_DEP_1) | instid1(SALU_CYCLE_1)
	v_cmpx_gt_i64_e64 s[4:5], v[4:5]
	s_cbranch_execz .LBB102_43
; %bb.29:
	s_mov_b32 s12, s1
	s_branch .LBB102_32
.LBB102_30:                             ;   in Loop: Header=BB102_32 Depth=1
	s_or_b32 exec_lo, exec_lo, s14
.LBB102_31:                             ;   in Loop: Header=BB102_32 Depth=1
	s_delay_alu instid0(SALU_CYCLE_1) | instskip(SKIP_4) | instid1(VALU_DEP_1)
	s_or_b32 exec_lo, exec_lo, s13
	s_wait_loadcnt 0x0
	v_mul_f64_e32 v[6:7], v[2:3], v[6:7]
	v_lshl_add_u32 v1, v8, 3, 0
	v_add_nc_u64_e32 v[4:5], 0x80, v[4:5]
	v_cmp_le_i64_e32 vcc_lo, s[4:5], v[4:5]
	s_or_b32 s12, vcc_lo, s12
	ds_add_f64 v1, v[6:7] offset:2048
	s_and_not1_b32 exec_lo, exec_lo, s12
	s_cbranch_execz .LBB102_43
.LBB102_32:                             ; =>This Loop Header: Depth=1
                                        ;     Child Loop BB102_35 Depth 2
	v_lshlrev_b64_e32 v[6:7], 3, v[4:5]
	s_mov_b32 s13, exec_lo
	s_delay_alu instid0(VALU_DEP_1)
	v_add_nc_u64_e32 v[8:9], s[6:7], v[6:7]
	v_add_nc_u64_e32 v[6:7], s[8:9], v[6:7]
	global_load_b64 v[8:9], v[8:9], off
	global_load_b64 v[6:7], v[6:7], off
	s_wait_loadcnt 0x1
	v_sub_nc_u64_e64 v[10:11], v[8:9], s[0:1]
	s_delay_alu instid0(VALU_DEP_1) | instskip(NEXT) | instid1(VALU_DEP_1)
	v_mul_lo_u32 v1, 0x89, v10
	v_and_b32_e32 v8, 0xff, v1
	s_delay_alu instid0(VALU_DEP_1)
	v_lshl_add_u32 v1, v8, 3, 0
	ds_load_b64 v[14:15], v1
	s_wait_dscnt 0x0
	s_wait_xcnt 0x0
	v_cmpx_ne_u64_e64 v[14:15], v[10:11]
	s_cbranch_execz .LBB102_31
; %bb.33:                               ;   in Loop: Header=BB102_32 Depth=1
	s_mov_b32 s14, 0
                                        ; implicit-def: $sgpr15
                                        ; implicit-def: $sgpr16
	s_branch .LBB102_35
.LBB102_34:                             ;   in Loop: Header=BB102_35 Depth=2
	s_or_b32 exec_lo, exec_lo, s19
	s_delay_alu instid0(SALU_CYCLE_1) | instskip(NEXT) | instid1(SALU_CYCLE_1)
	s_and_b32 s17, exec_lo, s18
	s_or_b32 s14, s17, s14
	s_and_not1_b32 s15, s15, exec_lo
	s_and_b32 s17, s16, exec_lo
	s_delay_alu instid0(SALU_CYCLE_1)
	s_or_b32 s15, s15, s17
	s_and_not1_b32 exec_lo, exec_lo, s14
	s_cbranch_execz .LBB102_41
.LBB102_35:                             ;   Parent Loop BB102_32 Depth=1
                                        ; =>  This Inner Loop Header: Depth=2
	v_mov_b64_e32 v[12:13], v[8:9]
	s_mov_b32 s17, 0
	s_mov_b32 s18, exec_lo
                                        ; implicit-def: $vgpr8_vgpr9
	v_cmpx_ne_u64_e64 s[24:25], v[14:15]
	s_xor_b32 s18, exec_lo, s18
; %bb.36:                               ;   in Loop: Header=BB102_35 Depth=2
	s_delay_alu instid0(VALU_DEP_2) | instskip(SKIP_1) | instid1(VALU_DEP_1)
	v_add_nc_u32_e32 v1, 1, v12
	s_mov_b32 s17, exec_lo
	v_and_b32_e32 v8, 0xff, v1
                                        ; implicit-def: $vgpr1
; %bb.37:                               ;   in Loop: Header=BB102_35 Depth=2
	s_and_not1_saveexec_b32 s18, s18
	s_cbranch_execz .LBB102_39
; %bb.38:                               ;   in Loop: Header=BB102_35 Depth=2
	v_mov_b64_e32 v[8:9], s[24:25]
	s_and_not1_b32 s17, s17, exec_lo
	ds_cmpstore_rtn_b64 v[8:9], v1, v[10:11], v[8:9]
	s_wait_dscnt 0x0
	v_cmp_ne_u64_e32 vcc_lo, s[24:25], v[8:9]
	v_mov_b64_e32 v[8:9], v[12:13]
	s_and_b32 s19, vcc_lo, exec_lo
	s_delay_alu instid0(SALU_CYCLE_1)
	s_or_b32 s17, s17, s19
.LBB102_39:                             ;   in Loop: Header=BB102_35 Depth=2
	s_or_b32 exec_lo, exec_lo, s18
	s_mov_b32 s18, -1
	s_or_b32 s16, s16, exec_lo
                                        ; implicit-def: $vgpr1
                                        ; implicit-def: $vgpr14_vgpr15
	s_and_saveexec_b32 s19, s17
	s_cbranch_execz .LBB102_34
; %bb.40:                               ;   in Loop: Header=BB102_35 Depth=2
	v_lshl_add_u32 v1, v8, 3, 0
	s_and_not1_b32 s16, s16, exec_lo
	ds_load_b64 v[14:15], v1
	s_wait_dscnt 0x0
	v_cmp_eq_u64_e32 vcc_lo, v[14:15], v[10:11]
	s_or_not1_b32 s18, vcc_lo, exec_lo
	s_branch .LBB102_34
.LBB102_41:                             ;   in Loop: Header=BB102_32 Depth=1
	s_or_b32 exec_lo, exec_lo, s14
	s_and_saveexec_b32 s14, s15
	s_delay_alu instid0(SALU_CYCLE_1)
	s_xor_b32 s14, exec_lo, s14
	s_cbranch_execz .LBB102_30
; %bb.42:                               ;   in Loop: Header=BB102_32 Depth=1
	v_mov_b32_e32 v8, v12
	s_branch .LBB102_30
.LBB102_43:
	s_or_b32 exec_lo, exec_lo, s3
.LBB102_44:
	s_wait_dscnt 0x0
	s_barrier_signal -1
	s_barrier_wait -1
	s_and_saveexec_b32 s4, s2
	s_cbranch_execz .LBB102_57
; %bb.45:
	v_mbcnt_lo_u32_b32 v1, -1, 0
	v_dual_mov_b32 v7, 0 :: v_dual_lshrrev_b32 v2, 2, v0
	v_mov_b64_e32 v[8:9], 0
	v_cmp_lt_u32_e64 s0, 31, v0
	s_delay_alu instid0(VALU_DEP_4) | instskip(NEXT) | instid1(VALU_DEP_4)
	v_xor_b32_e32 v1, 31, v1
	v_and_b32_e32 v2, 24, v2
	v_cmp_lt_u32_e64 s1, 63, v0
	v_cmp_lt_u32_e64 s2, 0x5f, v0
	s_mov_b32 s5, 0
	v_lshrrev_b32_e64 v10, v1, -1
	v_add_nc_u32_e32 v1, 0, v2
	v_cmp_eq_u32_e32 vcc_lo, 0x7f, v0
	s_branch .LBB102_47
.LBB102_46:                             ;   in Loop: Header=BB102_47 Depth=1
	s_or_b32 exec_lo, exec_lo, s3
	s_wait_dscnt 0x0
	s_barrier_signal -1
	s_barrier_wait -1
	ds_load_b64 v[2:3], v7 offset:4120
	v_add_co_u32 v26, s3, 0x80, v26
	s_xor_b32 s3, s3, -1
	v_add_nc_u32_e32 v27, 0x400, v27
	s_and_b32 s3, exec_lo, s3
	s_delay_alu instid0(SALU_CYCLE_1)
	s_or_b32 s5, s3, s5
	s_wait_dscnt 0x0
	v_add_nc_u64_e32 v[8:9], v[2:3], v[8:9]
	s_and_not1_b32 exec_lo, exec_lo, s5
	s_cbranch_execz .LBB102_57
.LBB102_47:                             ; =>This Inner Loop Header: Depth=1
	ds_load_2addr_stride64_b64 v[2:5], v27 offset1:4
	s_wait_dscnt 0x0
	s_barrier_signal -1
	s_barrier_wait -1
	v_cmp_gt_i64_e64 s3, s[24:25], v[2:3]
	s_bcnt1_i32_b32 s6, s3
	s_delay_alu instid0(SALU_CYCLE_1) | instskip(NEXT) | instid1(VALU_DEP_1)
	v_dual_mov_b32 v6, s6 :: v_dual_bitop2_b32 v11, s3, v10 bitop3:0x40
	v_bcnt_u32_b32 v12, v11, 0
	ds_store_b64 v1, v[6:7] offset:4096
	s_wait_dscnt 0x0
	s_barrier_signal -1
	s_barrier_wait -1
	s_and_saveexec_b32 s6, s0
	s_cbranch_execnz .LBB102_52
; %bb.48:                               ;   in Loop: Header=BB102_47 Depth=1
	s_or_b32 exec_lo, exec_lo, s6
	s_and_saveexec_b32 s6, s1
	s_cbranch_execnz .LBB102_53
.LBB102_49:                             ;   in Loop: Header=BB102_47 Depth=1
	s_or_b32 exec_lo, exec_lo, s6
	s_and_saveexec_b32 s6, s2
	s_cbranch_execnz .LBB102_54
.LBB102_50:                             ;   in Loop: Header=BB102_47 Depth=1
	s_or_b32 exec_lo, exec_lo, s6
	v_ashrrev_i32_e32 v13, 31, v12
	s_and_saveexec_b32 s6, s3
	s_cbranch_execnz .LBB102_55
.LBB102_51:                             ;   in Loop: Header=BB102_47 Depth=1
	s_or_b32 exec_lo, exec_lo, s6
	s_and_saveexec_b32 s3, vcc_lo
	s_cbranch_execz .LBB102_46
	s_branch .LBB102_56
.LBB102_52:                             ;   in Loop: Header=BB102_47 Depth=1
	ds_load_b32 v6, v7 offset:4096
	s_wait_dscnt 0x0
	v_add_nc_u32_e32 v12, v6, v12
	s_or_b32 exec_lo, exec_lo, s6
	s_and_saveexec_b32 s6, s1
	s_cbranch_execz .LBB102_49
.LBB102_53:                             ;   in Loop: Header=BB102_47 Depth=1
	ds_load_b32 v6, v7 offset:4104
	s_wait_dscnt 0x0
	v_add_nc_u32_e32 v12, v12, v6
	s_or_b32 exec_lo, exec_lo, s6
	s_and_saveexec_b32 s6, s2
	s_cbranch_execz .LBB102_50
.LBB102_54:                             ;   in Loop: Header=BB102_47 Depth=1
	ds_load_b32 v6, v7 offset:4112
	s_wait_dscnt 0x0
	v_add_nc_u32_e32 v12, v12, v6
	s_or_b32 exec_lo, exec_lo, s6
	s_delay_alu instid0(VALU_DEP_1)
	v_ashrrev_i32_e32 v13, 31, v12
	s_and_saveexec_b32 s6, s3
	s_cbranch_execz .LBB102_51
.LBB102_55:                             ;   in Loop: Header=BB102_47 Depth=1
	v_add3_u32 v6, v8, -1, v12
	v_add_nc_u32_e32 v11, v8, v12
	s_delay_alu instid0(VALU_DEP_2) | instskip(NEXT) | instid1(VALU_DEP_2)
	v_lshl_add_u32 v6, v6, 3, 0
	v_lshl_add_u32 v11, v11, 3, 0
	ds_store_b64 v6, v[2:3]
	ds_store_b64 v11, v[4:5] offset:2040
	s_or_b32 exec_lo, exec_lo, s6
	s_and_saveexec_b32 s3, vcc_lo
	s_cbranch_execz .LBB102_46
.LBB102_56:                             ;   in Loop: Header=BB102_47 Depth=1
	ds_store_b64 v7, v[12:13] offset:4120
	s_branch .LBB102_46
.LBB102_57:
	s_or_b32 exec_lo, exec_lo, s4
	s_wait_kmcnt 0x0
	s_lshl_b64 s[0:1], s[26:27], 3
	v_mov_b32_e32 v1, 0
	s_add_nc_u64 s[4:5], s[10:11], s[0:1]
	s_mov_b32 s6, exec_lo
	s_load_b128 s[0:3], s[4:5], 0x0
	s_wait_kmcnt 0x0
	s_sub_nc_u64 s[4:5], s[2:3], s[0:1]
	s_delay_alu instid0(SALU_CYCLE_1)
	v_cmpx_gt_i64_e64 s[4:5], v[0:1]
	s_cbranch_execz .LBB102_67
; %bb.58:
	s_sub_nc_u64 s[8:9], s[0:1], s[2:3]
	s_and_b64 s[6:7], s[4:5], 7
	v_cmp_lt_u64_e64 s10, s[8:9], -7
	s_and_b64 s[2:3], s[4:5], -8
	s_mov_b32 s23, 0
	s_cmp_lg_u64 s[6:7], 0
	s_sub_nc_u64 s[0:1], s[0:1], s[22:23]
	s_cselect_b32 s11, -1, 0
	s_mov_b32 s12, 0
	s_branch .LBB102_60
.LBB102_59:                             ;   in Loop: Header=BB102_60 Depth=1
	v_add_nc_u64_e32 v[0:1], 0x80, v[0:1]
	s_wait_dscnt 0x0
	s_delay_alu instid0(VALU_DEP_2)
	v_lshl_add_u64 v[2:3], v[6:7], 3, s[34:35]
	global_store_b64 v[2:3], v[4:5], off
	v_cmp_le_i64_e32 vcc_lo, s[4:5], v[0:1]
	s_or_b32 s12, vcc_lo, s12
	s_wait_xcnt 0x0
	s_and_not1_b32 exec_lo, exec_lo, s12
	s_cbranch_execz .LBB102_67
.LBB102_60:                             ; =>This Loop Header: Depth=1
                                        ;     Child Loop BB102_62 Depth 2
                                        ;     Child Loop BB102_66 Depth 2
	v_lshl_add_u32 v2, v0, 3, 0
	v_mov_b64_e32 v[6:7], s[0:1]
	s_and_not1_b32 vcc_lo, exec_lo, s10
	s_mov_b64 s[8:9], 0
	ds_load_2addr_stride64_b64 v[2:5], v2 offset1:4
	s_cbranch_vccnz .LBB102_64
; %bb.61:                               ;   in Loop: Header=BB102_60 Depth=1
	v_mov_b64_e32 v[6:7], s[0:1]
	s_mov_b32 s13, 0
.LBB102_62:                             ;   Parent Loop BB102_60 Depth=1
                                        ; =>  This Inner Loop Header: Depth=2
	s_delay_alu instid0(SALU_CYCLE_1)
	v_dual_mov_b32 v20, s13 :: v_dual_mov_b32 v17, s23
	v_mov_b32_e32 v19, s23
	s_add_nc_u64 s[8:9], s[8:9], 8
	s_add_co_i32 s13, s13, 64
	ds_load_2addr_b64 v[8:11], v20 offset1:1
	ds_load_2addr_b64 v[12:15], v20 offset0:2 offset1:3
	s_cmp_eq_u64 s[2:3], s[8:9]
	s_wait_dscnt 0x1
	v_cmp_gt_i64_e32 vcc_lo, v[2:3], v[8:9]
	v_cndmask_b32_e64 v16, 0, 1, vcc_lo
	v_cmp_gt_i64_e32 vcc_lo, v[2:3], v[10:11]
	s_delay_alu instid0(VALU_DEP_2) | instskip(SKIP_4) | instid1(VALU_DEP_2)
	v_add_nc_u64_e32 v[10:11], v[6:7], v[16:17]
	ds_load_2addr_b64 v[6:9], v20 offset0:4 offset1:5
	v_cndmask_b32_e64 v18, 0, 1, vcc_lo
	s_wait_dscnt 0x1
	v_cmp_gt_i64_e32 vcc_lo, v[2:3], v[12:13]
	v_add_nc_u64_e32 v[10:11], v[10:11], v[18:19]
	v_cndmask_b32_e64 v16, 0, 1, vcc_lo
	v_cmp_gt_i64_e32 vcc_lo, v[2:3], v[14:15]
	s_delay_alu instid0(VALU_DEP_2)
	v_add_nc_u64_e32 v[14:15], v[10:11], v[16:17]
	ds_load_2addr_b64 v[10:13], v20 offset0:6 offset1:7
	v_cndmask_b32_e64 v18, 0, 1, vcc_lo
	s_wait_dscnt 0x1
	v_cmp_gt_i64_e32 vcc_lo, v[2:3], v[6:7]
	v_mov_b32_e32 v7, s23
	s_delay_alu instid0(VALU_DEP_3) | instskip(SKIP_3) | instid1(VALU_DEP_3)
	v_add_nc_u64_e32 v[14:15], v[14:15], v[18:19]
	v_cndmask_b32_e64 v16, 0, 1, vcc_lo
	v_cmp_gt_i64_e32 vcc_lo, v[2:3], v[8:9]
	v_mov_b32_e32 v9, s23
	v_add_nc_u64_e32 v[14:15], v[14:15], v[16:17]
	v_cndmask_b32_e64 v6, 0, 1, vcc_lo
	s_wait_dscnt 0x0
	v_cmp_gt_i64_e32 vcc_lo, v[2:3], v[10:11]
	v_mov_b32_e32 v11, s23
	s_delay_alu instid0(VALU_DEP_3) | instskip(SKIP_2) | instid1(VALU_DEP_2)
	v_add_nc_u64_e32 v[6:7], v[14:15], v[6:7]
	v_cndmask_b32_e64 v8, 0, 1, vcc_lo
	v_cmp_gt_i64_e32 vcc_lo, v[2:3], v[12:13]
	v_add_nc_u64_e32 v[6:7], v[6:7], v[8:9]
	v_cndmask_b32_e64 v10, 0, 1, vcc_lo
	s_delay_alu instid0(VALU_DEP_1)
	v_add_nc_u64_e32 v[6:7], v[6:7], v[10:11]
	s_cbranch_scc0 .LBB102_62
; %bb.63:                               ;   in Loop: Header=BB102_60 Depth=1
	s_mov_b64 s[8:9], s[2:3]
.LBB102_64:                             ;   in Loop: Header=BB102_60 Depth=1
	s_and_not1_b32 vcc_lo, exec_lo, s11
	s_cbranch_vccnz .LBB102_59
; %bb.65:                               ;   in Loop: Header=BB102_60 Depth=1
	s_lshl_b32 s8, s8, 3
	s_delay_alu instid0(SALU_CYCLE_1)
	s_add_co_i32 s13, s8, 0
	s_mov_b64 s[8:9], s[6:7]
.LBB102_66:                             ;   Parent Loop BB102_60 Depth=1
                                        ; =>  This Inner Loop Header: Depth=2
	v_dual_mov_b32 v8, s13 :: v_dual_mov_b32 v11, s23
	s_add_nc_u64 s[8:9], s[8:9], -1
	s_add_co_i32 s13, s13, 8
	s_cmp_lg_u64 s[8:9], 0
	ds_load_b64 v[8:9], v8
	s_wait_dscnt 0x0
	v_cmp_gt_i64_e32 vcc_lo, v[2:3], v[8:9]
	v_cndmask_b32_e64 v10, 0, 1, vcc_lo
	s_delay_alu instid0(VALU_DEP_1)
	v_add_nc_u64_e32 v[6:7], v[6:7], v[10:11]
	s_cbranch_scc1 .LBB102_66
	s_branch .LBB102_59
.LBB102_67:
	s_endpgm
	.section	.rodata,"a",@progbits
	.p2align	6, 0x0
	.amdhsa_kernel _ZN9rocsparseL41csrgemm_numeric_fill_block_per_row_kernelILj128ELj16ELj256ELj137ELj32ElldEEvT5_PKS1_S3_NS_24const_host_device_scalarIT6_EEPKT4_S3_PKS5_S9_S3_SB_S6_S9_S3_SB_S9_S3_PS5_21rocsparse_index_base_SD_SD_SD_bbb
		.amdhsa_group_segment_fixed_size 0
		.amdhsa_private_segment_fixed_size 0
		.amdhsa_kernarg_size 156
		.amdhsa_user_sgpr_count 2
		.amdhsa_user_sgpr_dispatch_ptr 0
		.amdhsa_user_sgpr_queue_ptr 0
		.amdhsa_user_sgpr_kernarg_segment_ptr 1
		.amdhsa_user_sgpr_dispatch_id 0
		.amdhsa_user_sgpr_kernarg_preload_length 0
		.amdhsa_user_sgpr_kernarg_preload_offset 0
		.amdhsa_user_sgpr_private_segment_size 0
		.amdhsa_wavefront_size32 1
		.amdhsa_uses_dynamic_stack 0
		.amdhsa_enable_private_segment 0
		.amdhsa_system_sgpr_workgroup_id_x 1
		.amdhsa_system_sgpr_workgroup_id_y 0
		.amdhsa_system_sgpr_workgroup_id_z 0
		.amdhsa_system_sgpr_workgroup_info 0
		.amdhsa_system_vgpr_workitem_id 0
		.amdhsa_next_free_vgpr 28
		.amdhsa_next_free_sgpr 46
		.amdhsa_named_barrier_count 0
		.amdhsa_reserve_vcc 1
		.amdhsa_float_round_mode_32 0
		.amdhsa_float_round_mode_16_64 0
		.amdhsa_float_denorm_mode_32 3
		.amdhsa_float_denorm_mode_16_64 3
		.amdhsa_fp16_overflow 0
		.amdhsa_memory_ordered 1
		.amdhsa_forward_progress 1
		.amdhsa_inst_pref_size 21
		.amdhsa_round_robin_scheduling 0
		.amdhsa_exception_fp_ieee_invalid_op 0
		.amdhsa_exception_fp_denorm_src 0
		.amdhsa_exception_fp_ieee_div_zero 0
		.amdhsa_exception_fp_ieee_overflow 0
		.amdhsa_exception_fp_ieee_underflow 0
		.amdhsa_exception_fp_ieee_inexact 0
		.amdhsa_exception_int_div_zero 0
	.end_amdhsa_kernel
	.section	.text._ZN9rocsparseL41csrgemm_numeric_fill_block_per_row_kernelILj128ELj16ELj256ELj137ELj32ElldEEvT5_PKS1_S3_NS_24const_host_device_scalarIT6_EEPKT4_S3_PKS5_S9_S3_SB_S6_S9_S3_SB_S9_S3_PS5_21rocsparse_index_base_SD_SD_SD_bbb,"axG",@progbits,_ZN9rocsparseL41csrgemm_numeric_fill_block_per_row_kernelILj128ELj16ELj256ELj137ELj32ElldEEvT5_PKS1_S3_NS_24const_host_device_scalarIT6_EEPKT4_S3_PKS5_S9_S3_SB_S6_S9_S3_SB_S9_S3_PS5_21rocsparse_index_base_SD_SD_SD_bbb,comdat
.Lfunc_end102:
	.size	_ZN9rocsparseL41csrgemm_numeric_fill_block_per_row_kernelILj128ELj16ELj256ELj137ELj32ElldEEvT5_PKS1_S3_NS_24const_host_device_scalarIT6_EEPKT4_S3_PKS5_S9_S3_SB_S6_S9_S3_SB_S9_S3_PS5_21rocsparse_index_base_SD_SD_SD_bbb, .Lfunc_end102-_ZN9rocsparseL41csrgemm_numeric_fill_block_per_row_kernelILj128ELj16ELj256ELj137ELj32ElldEEvT5_PKS1_S3_NS_24const_host_device_scalarIT6_EEPKT4_S3_PKS5_S9_S3_SB_S6_S9_S3_SB_S9_S3_PS5_21rocsparse_index_base_SD_SD_SD_bbb
                                        ; -- End function
	.set _ZN9rocsparseL41csrgemm_numeric_fill_block_per_row_kernelILj128ELj16ELj256ELj137ELj32ElldEEvT5_PKS1_S3_NS_24const_host_device_scalarIT6_EEPKT4_S3_PKS5_S9_S3_SB_S6_S9_S3_SB_S9_S3_PS5_21rocsparse_index_base_SD_SD_SD_bbb.num_vgpr, 28
	.set _ZN9rocsparseL41csrgemm_numeric_fill_block_per_row_kernelILj128ELj16ELj256ELj137ELj32ElldEEvT5_PKS1_S3_NS_24const_host_device_scalarIT6_EEPKT4_S3_PKS5_S9_S3_SB_S6_S9_S3_SB_S9_S3_PS5_21rocsparse_index_base_SD_SD_SD_bbb.num_agpr, 0
	.set _ZN9rocsparseL41csrgemm_numeric_fill_block_per_row_kernelILj128ELj16ELj256ELj137ELj32ElldEEvT5_PKS1_S3_NS_24const_host_device_scalarIT6_EEPKT4_S3_PKS5_S9_S3_SB_S6_S9_S3_SB_S9_S3_PS5_21rocsparse_index_base_SD_SD_SD_bbb.numbered_sgpr, 46
	.set _ZN9rocsparseL41csrgemm_numeric_fill_block_per_row_kernelILj128ELj16ELj256ELj137ELj32ElldEEvT5_PKS1_S3_NS_24const_host_device_scalarIT6_EEPKT4_S3_PKS5_S9_S3_SB_S6_S9_S3_SB_S9_S3_PS5_21rocsparse_index_base_SD_SD_SD_bbb.num_named_barrier, 0
	.set _ZN9rocsparseL41csrgemm_numeric_fill_block_per_row_kernelILj128ELj16ELj256ELj137ELj32ElldEEvT5_PKS1_S3_NS_24const_host_device_scalarIT6_EEPKT4_S3_PKS5_S9_S3_SB_S6_S9_S3_SB_S9_S3_PS5_21rocsparse_index_base_SD_SD_SD_bbb.private_seg_size, 0
	.set _ZN9rocsparseL41csrgemm_numeric_fill_block_per_row_kernelILj128ELj16ELj256ELj137ELj32ElldEEvT5_PKS1_S3_NS_24const_host_device_scalarIT6_EEPKT4_S3_PKS5_S9_S3_SB_S6_S9_S3_SB_S9_S3_PS5_21rocsparse_index_base_SD_SD_SD_bbb.uses_vcc, 1
	.set _ZN9rocsparseL41csrgemm_numeric_fill_block_per_row_kernelILj128ELj16ELj256ELj137ELj32ElldEEvT5_PKS1_S3_NS_24const_host_device_scalarIT6_EEPKT4_S3_PKS5_S9_S3_SB_S6_S9_S3_SB_S9_S3_PS5_21rocsparse_index_base_SD_SD_SD_bbb.uses_flat_scratch, 0
	.set _ZN9rocsparseL41csrgemm_numeric_fill_block_per_row_kernelILj128ELj16ELj256ELj137ELj32ElldEEvT5_PKS1_S3_NS_24const_host_device_scalarIT6_EEPKT4_S3_PKS5_S9_S3_SB_S6_S9_S3_SB_S9_S3_PS5_21rocsparse_index_base_SD_SD_SD_bbb.has_dyn_sized_stack, 0
	.set _ZN9rocsparseL41csrgemm_numeric_fill_block_per_row_kernelILj128ELj16ELj256ELj137ELj32ElldEEvT5_PKS1_S3_NS_24const_host_device_scalarIT6_EEPKT4_S3_PKS5_S9_S3_SB_S6_S9_S3_SB_S9_S3_PS5_21rocsparse_index_base_SD_SD_SD_bbb.has_recursion, 0
	.set _ZN9rocsparseL41csrgemm_numeric_fill_block_per_row_kernelILj128ELj16ELj256ELj137ELj32ElldEEvT5_PKS1_S3_NS_24const_host_device_scalarIT6_EEPKT4_S3_PKS5_S9_S3_SB_S6_S9_S3_SB_S9_S3_PS5_21rocsparse_index_base_SD_SD_SD_bbb.has_indirect_call, 0
	.section	.AMDGPU.csdata,"",@progbits
; Kernel info:
; codeLenInByte = 2660
; TotalNumSgprs: 48
; NumVgprs: 28
; ScratchSize: 0
; MemoryBound: 0
; FloatMode: 240
; IeeeMode: 1
; LDSByteSize: 0 bytes/workgroup (compile time only)
; SGPRBlocks: 0
; VGPRBlocks: 1
; NumSGPRsForWavesPerEU: 48
; NumVGPRsForWavesPerEU: 28
; NamedBarCnt: 0
; Occupancy: 16
; WaveLimiterHint : 1
; COMPUTE_PGM_RSRC2:SCRATCH_EN: 0
; COMPUTE_PGM_RSRC2:USER_SGPR: 2
; COMPUTE_PGM_RSRC2:TRAP_HANDLER: 0
; COMPUTE_PGM_RSRC2:TGID_X_EN: 1
; COMPUTE_PGM_RSRC2:TGID_Y_EN: 0
; COMPUTE_PGM_RSRC2:TGID_Z_EN: 0
; COMPUTE_PGM_RSRC2:TIDIG_COMP_CNT: 0
	.section	.text._ZN9rocsparseL41csrgemm_numeric_fill_block_per_row_kernelILj128ELj16ELj256ELj137ELj64ElldEEvT5_PKS1_S3_NS_24const_host_device_scalarIT6_EEPKT4_S3_PKS5_S9_S3_SB_S6_S9_S3_SB_S9_S3_PS5_21rocsparse_index_base_SD_SD_SD_bbb,"axG",@progbits,_ZN9rocsparseL41csrgemm_numeric_fill_block_per_row_kernelILj128ELj16ELj256ELj137ELj64ElldEEvT5_PKS1_S3_NS_24const_host_device_scalarIT6_EEPKT4_S3_PKS5_S9_S3_SB_S6_S9_S3_SB_S9_S3_PS5_21rocsparse_index_base_SD_SD_SD_bbb,comdat
	.globl	_ZN9rocsparseL41csrgemm_numeric_fill_block_per_row_kernelILj128ELj16ELj256ELj137ELj64ElldEEvT5_PKS1_S3_NS_24const_host_device_scalarIT6_EEPKT4_S3_PKS5_S9_S3_SB_S6_S9_S3_SB_S9_S3_PS5_21rocsparse_index_base_SD_SD_SD_bbb ; -- Begin function _ZN9rocsparseL41csrgemm_numeric_fill_block_per_row_kernelILj128ELj16ELj256ELj137ELj64ElldEEvT5_PKS1_S3_NS_24const_host_device_scalarIT6_EEPKT4_S3_PKS5_S9_S3_SB_S6_S9_S3_SB_S9_S3_PS5_21rocsparse_index_base_SD_SD_SD_bbb
	.p2align	8
	.type	_ZN9rocsparseL41csrgemm_numeric_fill_block_per_row_kernelILj128ELj16ELj256ELj137ELj64ElldEEvT5_PKS1_S3_NS_24const_host_device_scalarIT6_EEPKT4_S3_PKS5_S9_S3_SB_S6_S9_S3_SB_S9_S3_PS5_21rocsparse_index_base_SD_SD_SD_bbb,@function
_ZN9rocsparseL41csrgemm_numeric_fill_block_per_row_kernelILj128ELj16ELj256ELj137ELj64ElldEEvT5_PKS1_S3_NS_24const_host_device_scalarIT6_EEPKT4_S3_PKS5_S9_S3_SB_S6_S9_S3_SB_S9_S3_PS5_21rocsparse_index_base_SD_SD_SD_bbb: ; @_ZN9rocsparseL41csrgemm_numeric_fill_block_per_row_kernelILj128ELj16ELj256ELj137ELj64ElldEEvT5_PKS1_S3_NS_24const_host_device_scalarIT6_EEPKT4_S3_PKS5_S9_S3_SB_S6_S9_S3_SB_S9_S3_PS5_21rocsparse_index_base_SD_SD_SD_bbb
; %bb.0:
	s_clause 0x2
	s_load_b32 s6, s[0:1], 0x98
	s_load_b64 s[4:5], s[0:1], 0x18
	s_load_b64 s[2:3], s[0:1], 0x50
	s_wait_kmcnt 0x0
	s_bitcmp1_b32 s6, 0
	s_cselect_b32 s38, -1, 0
	s_bitcmp1_b32 s6, 16
	s_cselect_b32 s7, -1, 0
	s_xor_b32 s8, s38, -1
	s_delay_alu instid0(SALU_CYCLE_1)
	s_or_b32 s10, s7, s8
	s_and_b32 s8, s38, exec_lo
	s_cselect_b32 s9, s5, 0
	s_cselect_b32 s8, s4, 0
	s_and_b32 vcc_lo, exec_lo, s10
	v_mov_b64_e32 v[4:5], s[8:9]
	s_cbranch_vccnz .LBB103_2
; %bb.1:
	v_mov_b32_e32 v1, 0
	flat_load_b64 v[4:5], v1, s[4:5]
.LBB103_2:
	s_load_b128 s[20:23], s[0:1], 0x88
	s_bitcmp1_b32 s6, 8
	s_cselect_b32 s33, -1, 0
	s_delay_alu instid0(SALU_CYCLE_1) | instskip(NEXT) | instid1(SALU_CYCLE_1)
	s_xor_b32 s4, s33, -1
	s_or_b32 s6, s7, s4
	s_and_b32 s4, s33, exec_lo
	s_cselect_b32 s5, s3, 0
	s_cselect_b32 s4, s2, 0
	s_and_b32 vcc_lo, exec_lo, s6
	v_mov_b64_e32 v[2:3], s[4:5]
	s_cbranch_vccnz .LBB103_4
; %bb.3:
	v_mov_b32_e32 v1, 0
	flat_load_b64 v[2:3], v1, s[2:3]
.LBB103_4:
	s_load_b128 s[24:27], s[0:1], 0x0
	v_cmp_gt_u32_e64 s2, 0x100, v0
	v_or_b32_e32 v26, 0xffffff80, v0
	v_lshl_add_u32 v27, v0, 3, 0
	s_and_saveexec_b32 s3, s2
	s_cbranch_execz .LBB103_7
; %bb.5:
	v_mov_b64_e32 v[6:7], 0
	s_wait_kmcnt 0x0
	v_mov_b64_e32 v[8:9], s[24:25]
	v_or_b32_e32 v1, 0xffffff80, v0
	v_lshl_add_u32 v10, v0, 3, 0
	s_mov_b32 s4, 0
.LBB103_6:                              ; =>This Inner Loop Header: Depth=1
	s_delay_alu instid0(VALU_DEP_2) | instskip(SKIP_4) | instid1(SALU_CYCLE_1)
	v_add_co_u32 v1, s5, 0x80, v1
	s_xor_b32 s5, s5, -1
	ds_store_2addr_stride64_b64 v10, v[8:9], v[6:7] offset1:4
	v_add_nc_u32_e32 v10, 0x400, v10
	s_and_b32 s5, exec_lo, s5
	s_or_b32 s4, s5, s4
	s_delay_alu instid0(SALU_CYCLE_1)
	s_and_not1_b32 exec_lo, exec_lo, s4
	s_cbranch_execnz .LBB103_6
.LBB103_7:
	s_or_b32 exec_lo, exec_lo, s3
	s_clause 0x4
	s_load_b64 s[34:35], s[0:1], 0x80
	s_load_b256 s[4:11], s[0:1], 0x58
	s_load_b128 s[28:31], s[0:1], 0x40
	s_load_b64 s[36:37], s[0:1], 0x10
	s_load_b256 s[12:19], s[0:1], 0x20
	s_wait_loadcnt_dscnt 0x0
	s_barrier_signal -1
	s_barrier_wait -1
	s_wait_kmcnt 0x0
	s_load_b64 s[0:1], s[26:27], 0x0
	s_bfe_u32 s3, ttmp6, 0x4000c
	s_wait_xcnt 0x0
	s_and_b32 s26, ttmp6, 15
	s_add_co_i32 s3, s3, 1
	s_getreg_b32 s27, hwreg(HW_REG_IB_STS2, 6, 4)
	s_mul_i32 s3, ttmp9, s3
	s_delay_alu instid0(SALU_CYCLE_1)
	s_add_co_i32 s26, s26, s3
	s_wait_kmcnt 0x0
	s_lshl_b64 s[0:1], s[0:1], 3
	s_cmp_eq_u32 s27, 0
	s_add_nc_u64 s[0:1], s[36:37], s[0:1]
	s_cselect_b32 s3, ttmp9, s26
	s_and_b32 vcc_lo, exec_lo, s38
	s_load_b64 s[26:27], s[0:1], s3 offset:0x0 scale_offset
	s_wait_xcnt 0x0
	s_mov_b32 s1, 0
	s_cbranch_vccz .LBB103_27
; %bb.8:
	s_wait_kmcnt 0x0
	s_lshl_b64 s[36:37], s[26:27], 3
	v_dual_mov_b32 v9, 0 :: v_dual_lshrrev_b32 v8, 4, v0
	s_add_nc_u64 s[12:13], s[12:13], s[36:37]
	s_mov_b32 s0, s20
	s_load_b128 s[36:39], s[12:13], 0x0
	s_mov_b32 s3, exec_lo
	v_sub_nc_u64_e64 v[6:7], v[8:9], s[0:1]
	s_wait_kmcnt 0x0
	s_delay_alu instid0(VALU_DEP_1)
	v_add_nc_u64_e32 v[6:7], s[36:37], v[6:7]
	s_sub_nc_u64 s[12:13], s[38:39], s[0:1]
	s_delay_alu instid0(VALU_DEP_1) | instid1(SALU_CYCLE_1)
	v_cmpx_gt_i64_e64 s[12:13], v[6:7]
	s_cbranch_execz .LBB103_26
; %bb.9:
	v_and_b32_e32 v8, 15, v0
	s_mov_b32 s37, 0
	s_mov_b32 s36, s21
	;; [unrolled: 1-line block ×3, first 2 shown]
	s_delay_alu instid0(VALU_DEP_1)
	v_sub_nc_u64_e64 v[8:9], v[8:9], s[36:37]
	s_branch .LBB103_11
.LBB103_10:                             ;   in Loop: Header=BB103_11 Depth=1
	s_or_b32 exec_lo, exec_lo, s21
	v_add_nc_u64_e32 v[6:7], 8, v[6:7]
	s_delay_alu instid0(VALU_DEP_1) | instskip(SKIP_1) | instid1(SALU_CYCLE_1)
	v_cmp_le_i64_e32 vcc_lo, s[12:13], v[6:7]
	s_or_b32 s20, vcc_lo, s20
	s_and_not1_b32 exec_lo, exec_lo, s20
	s_cbranch_execz .LBB103_26
.LBB103_11:                             ; =>This Loop Header: Depth=1
                                        ;     Child Loop BB103_15 Depth 2
                                        ;       Child Loop BB103_18 Depth 3
	v_lshl_add_u64 v[10:11], v[6:7], 3, s[14:15]
	s_mov_b32 s21, exec_lo
	global_load_b64 v[10:11], v[10:11], off
	s_wait_loadcnt 0x0
	s_wait_xcnt 0x0
	v_sub_nc_u64_e64 v[10:11], v[10:11], s[0:1]
	s_delay_alu instid0(VALU_DEP_1)
	v_lshl_add_u64 v[10:11], v[10:11], 3, s[18:19]
	global_load_b128 v[12:15], v[10:11], off
	s_wait_loadcnt 0x0
	s_wait_xcnt 0x0
	v_sub_nc_u64_e64 v[10:11], v[14:15], s[36:37]
	v_add_nc_u64_e32 v[12:13], v[12:13], v[8:9]
	s_delay_alu instid0(VALU_DEP_1)
	v_cmpx_lt_i64_e64 v[12:13], v[10:11]
	s_cbranch_execz .LBB103_10
; %bb.12:                               ;   in Loop: Header=BB103_11 Depth=1
	v_lshl_add_u64 v[14:15], v[6:7], 3, s[16:17]
	s_mov_b32 s38, 0
	global_load_b64 v[14:15], v[14:15], off
	s_wait_loadcnt 0x0
	s_wait_xcnt 0x0
	v_mul_f64_e32 v[14:15], v[4:5], v[14:15]
	s_branch .LBB103_15
.LBB103_13:                             ;   in Loop: Header=BB103_15 Depth=2
	s_or_b32 exec_lo, exec_lo, s40
.LBB103_14:                             ;   in Loop: Header=BB103_15 Depth=2
	s_delay_alu instid0(SALU_CYCLE_1) | instskip(SKIP_4) | instid1(VALU_DEP_1)
	s_or_b32 exec_lo, exec_lo, s39
	s_wait_loadcnt 0x0
	v_mul_f64_e32 v[16:17], v[14:15], v[16:17]
	v_lshl_add_u32 v1, v18, 3, 0
	v_add_nc_u64_e32 v[12:13], 16, v[12:13]
	v_cmp_ge_i64_e32 vcc_lo, v[12:13], v[10:11]
	s_or_b32 s38, vcc_lo, s38
	ds_add_f64 v1, v[16:17] offset:2048
	s_and_not1_b32 exec_lo, exec_lo, s38
	s_cbranch_execz .LBB103_10
.LBB103_15:                             ;   Parent Loop BB103_11 Depth=1
                                        ; =>  This Loop Header: Depth=2
                                        ;       Child Loop BB103_18 Depth 3
	v_lshlrev_b64_e32 v[16:17], 3, v[12:13]
	s_mov_b32 s39, exec_lo
	s_delay_alu instid0(VALU_DEP_1)
	v_add_nc_u64_e32 v[18:19], s[28:29], v[16:17]
	v_add_nc_u64_e32 v[16:17], s[30:31], v[16:17]
	global_load_b64 v[18:19], v[18:19], off
	global_load_b64 v[16:17], v[16:17], off
	s_wait_loadcnt 0x1
	v_sub_nc_u64_e64 v[20:21], v[18:19], s[36:37]
	s_delay_alu instid0(VALU_DEP_1) | instskip(SKIP_1) | instid1(VALU_DEP_1)
	v_mul_lo_u32 v1, 0x89, v20
	s_wait_xcnt 0x1
	v_and_b32_e32 v18, 0xff, v1
	s_delay_alu instid0(VALU_DEP_1)
	v_lshl_add_u32 v1, v18, 3, 0
	ds_load_b64 v[24:25], v1
	s_wait_dscnt 0x0
	s_wait_xcnt 0x0
	v_cmpx_ne_u64_e64 v[24:25], v[20:21]
	s_cbranch_execz .LBB103_14
; %bb.16:                               ;   in Loop: Header=BB103_15 Depth=2
	s_mov_b32 s40, 0
                                        ; implicit-def: $sgpr41
                                        ; implicit-def: $sgpr42
	s_branch .LBB103_18
.LBB103_17:                             ;   in Loop: Header=BB103_18 Depth=3
	s_or_b32 exec_lo, exec_lo, s45
	s_delay_alu instid0(SALU_CYCLE_1) | instskip(NEXT) | instid1(SALU_CYCLE_1)
	s_and_b32 s43, exec_lo, s44
	s_or_b32 s40, s43, s40
	s_and_not1_b32 s41, s41, exec_lo
	s_and_b32 s43, s42, exec_lo
	s_delay_alu instid0(SALU_CYCLE_1)
	s_or_b32 s41, s41, s43
	s_and_not1_b32 exec_lo, exec_lo, s40
	s_cbranch_execz .LBB103_24
.LBB103_18:                             ;   Parent Loop BB103_11 Depth=1
                                        ;     Parent Loop BB103_15 Depth=2
                                        ; =>    This Inner Loop Header: Depth=3
	v_mov_b64_e32 v[22:23], v[18:19]
	s_mov_b32 s43, 0
	s_mov_b32 s44, exec_lo
                                        ; implicit-def: $vgpr18_vgpr19
	v_cmpx_ne_u64_e64 s[24:25], v[24:25]
	s_xor_b32 s44, exec_lo, s44
; %bb.19:                               ;   in Loop: Header=BB103_18 Depth=3
	s_delay_alu instid0(VALU_DEP_2) | instskip(SKIP_1) | instid1(VALU_DEP_1)
	v_add_nc_u32_e32 v1, 1, v22
	s_mov_b32 s43, exec_lo
	v_and_b32_e32 v18, 0xff, v1
                                        ; implicit-def: $vgpr1
; %bb.20:                               ;   in Loop: Header=BB103_18 Depth=3
	s_and_not1_saveexec_b32 s44, s44
	s_cbranch_execz .LBB103_22
; %bb.21:                               ;   in Loop: Header=BB103_18 Depth=3
	v_mov_b64_e32 v[18:19], s[24:25]
	s_and_not1_b32 s43, s43, exec_lo
	ds_cmpstore_rtn_b64 v[18:19], v1, v[20:21], v[18:19]
	s_wait_dscnt 0x0
	v_cmp_ne_u64_e32 vcc_lo, s[24:25], v[18:19]
	v_mov_b64_e32 v[18:19], v[22:23]
	s_and_b32 s45, vcc_lo, exec_lo
	s_delay_alu instid0(SALU_CYCLE_1)
	s_or_b32 s43, s43, s45
.LBB103_22:                             ;   in Loop: Header=BB103_18 Depth=3
	s_or_b32 exec_lo, exec_lo, s44
	s_mov_b32 s44, -1
	s_or_b32 s42, s42, exec_lo
                                        ; implicit-def: $vgpr1
                                        ; implicit-def: $vgpr24_vgpr25
	s_and_saveexec_b32 s45, s43
	s_cbranch_execz .LBB103_17
; %bb.23:                               ;   in Loop: Header=BB103_18 Depth=3
	v_lshl_add_u32 v1, v18, 3, 0
	s_and_not1_b32 s42, s42, exec_lo
	ds_load_b64 v[24:25], v1
	s_wait_dscnt 0x0
	v_cmp_eq_u64_e32 vcc_lo, v[24:25], v[20:21]
	s_or_not1_b32 s44, vcc_lo, exec_lo
	s_branch .LBB103_17
.LBB103_24:                             ;   in Loop: Header=BB103_15 Depth=2
	s_or_b32 exec_lo, exec_lo, s40
	s_and_saveexec_b32 s40, s41
	s_delay_alu instid0(SALU_CYCLE_1)
	s_xor_b32 s40, exec_lo, s40
	s_cbranch_execz .LBB103_13
; %bb.25:                               ;   in Loop: Header=BB103_15 Depth=2
	v_mov_b32_e32 v18, v22
	s_branch .LBB103_13
.LBB103_26:
	s_or_b32 exec_lo, exec_lo, s3
.LBB103_27:
	s_delay_alu instid0(SALU_CYCLE_1)
	s_and_not1_b32 vcc_lo, exec_lo, s33
	s_cbranch_vccnz .LBB103_44
; %bb.28:
	s_wait_kmcnt 0x0
	s_lshl_b64 s[0:1], s[26:27], 3
	v_mov_b32_e32 v1, 0
	s_add_nc_u64 s[0:1], s[4:5], s[0:1]
	s_mov_b32 s3, exec_lo
	s_load_b128 s[12:15], s[0:1], 0x0
	s_wait_xcnt 0x0
	s_mov_b32 s1, 0
	s_mov_b32 s0, s23
	s_delay_alu instid0(SALU_CYCLE_1) | instskip(SKIP_1) | instid1(VALU_DEP_1)
	v_sub_nc_u64_e64 v[4:5], v[0:1], s[0:1]
	s_wait_kmcnt 0x0
	v_add_nc_u64_e32 v[4:5], s[12:13], v[4:5]
	s_sub_nc_u64 s[4:5], s[14:15], s[0:1]
	s_delay_alu instid0(VALU_DEP_1) | instid1(SALU_CYCLE_1)
	v_cmpx_gt_i64_e64 s[4:5], v[4:5]
	s_cbranch_execz .LBB103_43
; %bb.29:
	s_mov_b32 s12, s1
	s_branch .LBB103_32
.LBB103_30:                             ;   in Loop: Header=BB103_32 Depth=1
	s_or_b32 exec_lo, exec_lo, s14
.LBB103_31:                             ;   in Loop: Header=BB103_32 Depth=1
	s_delay_alu instid0(SALU_CYCLE_1) | instskip(SKIP_4) | instid1(VALU_DEP_1)
	s_or_b32 exec_lo, exec_lo, s13
	s_wait_loadcnt 0x0
	v_mul_f64_e32 v[6:7], v[2:3], v[6:7]
	v_lshl_add_u32 v1, v8, 3, 0
	v_add_nc_u64_e32 v[4:5], 0x80, v[4:5]
	v_cmp_le_i64_e32 vcc_lo, s[4:5], v[4:5]
	s_or_b32 s12, vcc_lo, s12
	ds_add_f64 v1, v[6:7] offset:2048
	s_and_not1_b32 exec_lo, exec_lo, s12
	s_cbranch_execz .LBB103_43
.LBB103_32:                             ; =>This Loop Header: Depth=1
                                        ;     Child Loop BB103_35 Depth 2
	v_lshlrev_b64_e32 v[6:7], 3, v[4:5]
	s_mov_b32 s13, exec_lo
	s_delay_alu instid0(VALU_DEP_1)
	v_add_nc_u64_e32 v[8:9], s[6:7], v[6:7]
	v_add_nc_u64_e32 v[6:7], s[8:9], v[6:7]
	global_load_b64 v[8:9], v[8:9], off
	global_load_b64 v[6:7], v[6:7], off
	s_wait_loadcnt 0x1
	v_sub_nc_u64_e64 v[10:11], v[8:9], s[0:1]
	s_delay_alu instid0(VALU_DEP_1) | instskip(NEXT) | instid1(VALU_DEP_1)
	v_mul_lo_u32 v1, 0x89, v10
	v_and_b32_e32 v8, 0xff, v1
	s_delay_alu instid0(VALU_DEP_1)
	v_lshl_add_u32 v1, v8, 3, 0
	ds_load_b64 v[14:15], v1
	s_wait_dscnt 0x0
	s_wait_xcnt 0x0
	v_cmpx_ne_u64_e64 v[14:15], v[10:11]
	s_cbranch_execz .LBB103_31
; %bb.33:                               ;   in Loop: Header=BB103_32 Depth=1
	s_mov_b32 s14, 0
                                        ; implicit-def: $sgpr15
                                        ; implicit-def: $sgpr16
	s_branch .LBB103_35
.LBB103_34:                             ;   in Loop: Header=BB103_35 Depth=2
	s_or_b32 exec_lo, exec_lo, s19
	s_delay_alu instid0(SALU_CYCLE_1) | instskip(NEXT) | instid1(SALU_CYCLE_1)
	s_and_b32 s17, exec_lo, s18
	s_or_b32 s14, s17, s14
	s_and_not1_b32 s15, s15, exec_lo
	s_and_b32 s17, s16, exec_lo
	s_delay_alu instid0(SALU_CYCLE_1)
	s_or_b32 s15, s15, s17
	s_and_not1_b32 exec_lo, exec_lo, s14
	s_cbranch_execz .LBB103_41
.LBB103_35:                             ;   Parent Loop BB103_32 Depth=1
                                        ; =>  This Inner Loop Header: Depth=2
	v_mov_b64_e32 v[12:13], v[8:9]
	s_mov_b32 s17, 0
	s_mov_b32 s18, exec_lo
                                        ; implicit-def: $vgpr8_vgpr9
	v_cmpx_ne_u64_e64 s[24:25], v[14:15]
	s_xor_b32 s18, exec_lo, s18
; %bb.36:                               ;   in Loop: Header=BB103_35 Depth=2
	s_delay_alu instid0(VALU_DEP_2) | instskip(SKIP_1) | instid1(VALU_DEP_1)
	v_add_nc_u32_e32 v1, 1, v12
	s_mov_b32 s17, exec_lo
	v_and_b32_e32 v8, 0xff, v1
                                        ; implicit-def: $vgpr1
; %bb.37:                               ;   in Loop: Header=BB103_35 Depth=2
	s_and_not1_saveexec_b32 s18, s18
	s_cbranch_execz .LBB103_39
; %bb.38:                               ;   in Loop: Header=BB103_35 Depth=2
	v_mov_b64_e32 v[8:9], s[24:25]
	s_and_not1_b32 s17, s17, exec_lo
	ds_cmpstore_rtn_b64 v[8:9], v1, v[10:11], v[8:9]
	s_wait_dscnt 0x0
	v_cmp_ne_u64_e32 vcc_lo, s[24:25], v[8:9]
	v_mov_b64_e32 v[8:9], v[12:13]
	s_and_b32 s19, vcc_lo, exec_lo
	s_delay_alu instid0(SALU_CYCLE_1)
	s_or_b32 s17, s17, s19
.LBB103_39:                             ;   in Loop: Header=BB103_35 Depth=2
	s_or_b32 exec_lo, exec_lo, s18
	s_mov_b32 s18, -1
	s_or_b32 s16, s16, exec_lo
                                        ; implicit-def: $vgpr1
                                        ; implicit-def: $vgpr14_vgpr15
	s_and_saveexec_b32 s19, s17
	s_cbranch_execz .LBB103_34
; %bb.40:                               ;   in Loop: Header=BB103_35 Depth=2
	v_lshl_add_u32 v1, v8, 3, 0
	s_and_not1_b32 s16, s16, exec_lo
	ds_load_b64 v[14:15], v1
	s_wait_dscnt 0x0
	v_cmp_eq_u64_e32 vcc_lo, v[14:15], v[10:11]
	s_or_not1_b32 s18, vcc_lo, exec_lo
	s_branch .LBB103_34
.LBB103_41:                             ;   in Loop: Header=BB103_32 Depth=1
	s_or_b32 exec_lo, exec_lo, s14
	s_and_saveexec_b32 s14, s15
	s_delay_alu instid0(SALU_CYCLE_1)
	s_xor_b32 s14, exec_lo, s14
	s_cbranch_execz .LBB103_30
; %bb.42:                               ;   in Loop: Header=BB103_32 Depth=1
	v_mov_b32_e32 v8, v12
	s_branch .LBB103_30
.LBB103_43:
	s_or_b32 exec_lo, exec_lo, s3
.LBB103_44:
	s_wait_dscnt 0x0
	s_barrier_signal -1
	s_barrier_wait -1
	s_and_saveexec_b32 s3, s2
	s_cbranch_execz .LBB103_53
; %bb.45:
	v_mbcnt_lo_u32_b32 v1, -1, 0
	v_lshrrev_b32_e32 v2, 3, v0
	v_mov_b64_e32 v[8:9], 0
	v_cmp_eq_u32_e64 s0, 0x7f, v0
	s_mov_b32 s2, 0
	v_xor_b32_e32 v1, 31, v1
	v_dual_mov_b32 v7, 0 :: v_dual_bitop2_b32 v2, 8, v2 bitop3:0x40
	v_cmp_lt_u32_e32 vcc_lo, 63, v0
	s_delay_alu instid0(VALU_DEP_3) | instskip(NEXT) | instid1(VALU_DEP_3)
	v_lshrrev_b32_e64 v10, v1, -1
	v_add_nc_u32_e32 v1, 0, v2
	s_branch .LBB103_47
.LBB103_46:                             ;   in Loop: Header=BB103_47 Depth=1
	s_or_b32 exec_lo, exec_lo, s1
	s_wait_dscnt 0x0
	s_barrier_signal -1
	s_barrier_wait -1
	ds_load_b64 v[2:3], v7 offset:4104
	v_add_co_u32 v26, s1, 0x80, v26
	s_xor_b32 s1, s1, -1
	v_add_nc_u32_e32 v27, 0x400, v27
	s_and_b32 s1, exec_lo, s1
	s_delay_alu instid0(SALU_CYCLE_1)
	s_or_b32 s2, s1, s2
	s_wait_dscnt 0x0
	v_add_nc_u64_e32 v[8:9], v[2:3], v[8:9]
	s_and_not1_b32 exec_lo, exec_lo, s2
	s_cbranch_execz .LBB103_53
.LBB103_47:                             ; =>This Inner Loop Header: Depth=1
	ds_load_2addr_stride64_b64 v[2:5], v27 offset1:4
	s_wait_dscnt 0x0
	s_barrier_signal -1
	s_barrier_wait -1
	v_mov_b32_e32 v13, v7
	v_cmp_gt_i64_e64 s1, s[24:25], v[2:3]
	s_delay_alu instid0(VALU_DEP_1) | instskip(SKIP_1) | instid1(SALU_CYCLE_1)
	v_and_b32_e32 v6, s1, v10
	s_bcnt1_i32_b32 s4, s1
	v_mov_b32_e32 v12, s4
	s_delay_alu instid0(VALU_DEP_2)
	v_bcnt_u32_b32 v6, v6, 0
	ds_store_b64 v1, v[12:13] offset:4096
	s_wait_dscnt 0x0
	v_mov_b64_e32 v[12:13], v[6:7]
	s_barrier_signal -1
	s_barrier_wait -1
	s_and_saveexec_b32 s4, vcc_lo
	s_cbranch_execnz .LBB103_50
; %bb.48:                               ;   in Loop: Header=BB103_47 Depth=1
	s_or_b32 exec_lo, exec_lo, s4
	s_and_saveexec_b32 s4, s1
	s_cbranch_execnz .LBB103_51
.LBB103_49:                             ;   in Loop: Header=BB103_47 Depth=1
	s_or_b32 exec_lo, exec_lo, s4
	s_and_saveexec_b32 s1, s0
	s_cbranch_execz .LBB103_46
	s_branch .LBB103_52
.LBB103_50:                             ;   in Loop: Header=BB103_47 Depth=1
	ds_load_b64 v[12:13], v7 offset:4096
	s_wait_dscnt 0x0
	v_add_nc_u64_e32 v[12:13], v[12:13], v[6:7]
	s_or_b32 exec_lo, exec_lo, s4
	s_and_saveexec_b32 s4, s1
	s_cbranch_execz .LBB103_49
.LBB103_51:                             ;   in Loop: Header=BB103_47 Depth=1
	s_delay_alu instid0(VALU_DEP_1) | instskip(SKIP_1) | instid1(VALU_DEP_2)
	v_add3_u32 v6, v8, -1, v12
	v_add_nc_u32_e32 v11, v8, v12
	v_lshl_add_u32 v6, v6, 3, 0
	s_delay_alu instid0(VALU_DEP_2)
	v_lshl_add_u32 v11, v11, 3, 0
	ds_store_b64 v6, v[2:3]
	ds_store_b64 v11, v[4:5] offset:2040
	s_or_b32 exec_lo, exec_lo, s4
	s_and_saveexec_b32 s1, s0
	s_cbranch_execz .LBB103_46
.LBB103_52:                             ;   in Loop: Header=BB103_47 Depth=1
	v_ashrrev_i32_e32 v13, 31, v12
	ds_store_b64 v7, v[12:13] offset:4104
	s_branch .LBB103_46
.LBB103_53:
	s_or_b32 exec_lo, exec_lo, s3
	s_wait_kmcnt 0x0
	s_lshl_b64 s[0:1], s[26:27], 3
	v_mov_b32_e32 v1, 0
	s_add_nc_u64 s[4:5], s[10:11], s[0:1]
	s_mov_b32 s6, exec_lo
	s_load_b128 s[0:3], s[4:5], 0x0
	s_wait_kmcnt 0x0
	s_sub_nc_u64 s[4:5], s[2:3], s[0:1]
	s_delay_alu instid0(SALU_CYCLE_1)
	v_cmpx_gt_i64_e64 s[4:5], v[0:1]
	s_cbranch_execz .LBB103_63
; %bb.54:
	s_sub_nc_u64 s[8:9], s[0:1], s[2:3]
	s_and_b64 s[6:7], s[4:5], 7
	v_cmp_lt_u64_e64 s10, s[8:9], -7
	s_and_b64 s[2:3], s[4:5], -8
	s_mov_b32 s23, 0
	s_cmp_lg_u64 s[6:7], 0
	s_sub_nc_u64 s[0:1], s[0:1], s[22:23]
	s_cselect_b32 s11, -1, 0
	s_mov_b32 s12, 0
	s_branch .LBB103_56
.LBB103_55:                             ;   in Loop: Header=BB103_56 Depth=1
	v_add_nc_u64_e32 v[0:1], 0x80, v[0:1]
	s_wait_dscnt 0x0
	s_delay_alu instid0(VALU_DEP_2)
	v_lshl_add_u64 v[2:3], v[6:7], 3, s[34:35]
	global_store_b64 v[2:3], v[4:5], off
	v_cmp_le_i64_e32 vcc_lo, s[4:5], v[0:1]
	s_or_b32 s12, vcc_lo, s12
	s_wait_xcnt 0x0
	s_and_not1_b32 exec_lo, exec_lo, s12
	s_cbranch_execz .LBB103_63
.LBB103_56:                             ; =>This Loop Header: Depth=1
                                        ;     Child Loop BB103_58 Depth 2
                                        ;     Child Loop BB103_62 Depth 2
	v_lshl_add_u32 v2, v0, 3, 0
	v_mov_b64_e32 v[6:7], s[0:1]
	s_and_not1_b32 vcc_lo, exec_lo, s10
	s_mov_b64 s[8:9], 0
	ds_load_2addr_stride64_b64 v[2:5], v2 offset1:4
	s_cbranch_vccnz .LBB103_60
; %bb.57:                               ;   in Loop: Header=BB103_56 Depth=1
	v_mov_b64_e32 v[6:7], s[0:1]
	s_mov_b32 s13, 0
.LBB103_58:                             ;   Parent Loop BB103_56 Depth=1
                                        ; =>  This Inner Loop Header: Depth=2
	s_delay_alu instid0(SALU_CYCLE_1)
	v_dual_mov_b32 v20, s13 :: v_dual_mov_b32 v17, s23
	v_mov_b32_e32 v19, s23
	s_add_nc_u64 s[8:9], s[8:9], 8
	s_add_co_i32 s13, s13, 64
	ds_load_2addr_b64 v[8:11], v20 offset1:1
	ds_load_2addr_b64 v[12:15], v20 offset0:2 offset1:3
	s_cmp_eq_u64 s[2:3], s[8:9]
	s_wait_dscnt 0x1
	v_cmp_gt_i64_e32 vcc_lo, v[2:3], v[8:9]
	v_cndmask_b32_e64 v16, 0, 1, vcc_lo
	v_cmp_gt_i64_e32 vcc_lo, v[2:3], v[10:11]
	s_delay_alu instid0(VALU_DEP_2) | instskip(SKIP_4) | instid1(VALU_DEP_2)
	v_add_nc_u64_e32 v[10:11], v[6:7], v[16:17]
	ds_load_2addr_b64 v[6:9], v20 offset0:4 offset1:5
	v_cndmask_b32_e64 v18, 0, 1, vcc_lo
	s_wait_dscnt 0x1
	v_cmp_gt_i64_e32 vcc_lo, v[2:3], v[12:13]
	v_add_nc_u64_e32 v[10:11], v[10:11], v[18:19]
	v_cndmask_b32_e64 v16, 0, 1, vcc_lo
	v_cmp_gt_i64_e32 vcc_lo, v[2:3], v[14:15]
	s_delay_alu instid0(VALU_DEP_2)
	v_add_nc_u64_e32 v[14:15], v[10:11], v[16:17]
	ds_load_2addr_b64 v[10:13], v20 offset0:6 offset1:7
	v_cndmask_b32_e64 v18, 0, 1, vcc_lo
	s_wait_dscnt 0x1
	v_cmp_gt_i64_e32 vcc_lo, v[2:3], v[6:7]
	v_mov_b32_e32 v7, s23
	s_delay_alu instid0(VALU_DEP_3) | instskip(SKIP_3) | instid1(VALU_DEP_3)
	v_add_nc_u64_e32 v[14:15], v[14:15], v[18:19]
	v_cndmask_b32_e64 v16, 0, 1, vcc_lo
	v_cmp_gt_i64_e32 vcc_lo, v[2:3], v[8:9]
	v_mov_b32_e32 v9, s23
	v_add_nc_u64_e32 v[14:15], v[14:15], v[16:17]
	v_cndmask_b32_e64 v6, 0, 1, vcc_lo
	s_wait_dscnt 0x0
	v_cmp_gt_i64_e32 vcc_lo, v[2:3], v[10:11]
	v_mov_b32_e32 v11, s23
	s_delay_alu instid0(VALU_DEP_3) | instskip(SKIP_2) | instid1(VALU_DEP_2)
	v_add_nc_u64_e32 v[6:7], v[14:15], v[6:7]
	v_cndmask_b32_e64 v8, 0, 1, vcc_lo
	v_cmp_gt_i64_e32 vcc_lo, v[2:3], v[12:13]
	v_add_nc_u64_e32 v[6:7], v[6:7], v[8:9]
	v_cndmask_b32_e64 v10, 0, 1, vcc_lo
	s_delay_alu instid0(VALU_DEP_1)
	v_add_nc_u64_e32 v[6:7], v[6:7], v[10:11]
	s_cbranch_scc0 .LBB103_58
; %bb.59:                               ;   in Loop: Header=BB103_56 Depth=1
	s_mov_b64 s[8:9], s[2:3]
.LBB103_60:                             ;   in Loop: Header=BB103_56 Depth=1
	s_and_not1_b32 vcc_lo, exec_lo, s11
	s_cbranch_vccnz .LBB103_55
; %bb.61:                               ;   in Loop: Header=BB103_56 Depth=1
	s_lshl_b32 s8, s8, 3
	s_delay_alu instid0(SALU_CYCLE_1)
	s_add_co_i32 s13, s8, 0
	s_mov_b64 s[8:9], s[6:7]
.LBB103_62:                             ;   Parent Loop BB103_56 Depth=1
                                        ; =>  This Inner Loop Header: Depth=2
	v_dual_mov_b32 v8, s13 :: v_dual_mov_b32 v11, s23
	s_add_nc_u64 s[8:9], s[8:9], -1
	s_add_co_i32 s13, s13, 8
	s_cmp_lg_u64 s[8:9], 0
	ds_load_b64 v[8:9], v8
	s_wait_dscnt 0x0
	v_cmp_gt_i64_e32 vcc_lo, v[2:3], v[8:9]
	v_cndmask_b32_e64 v10, 0, 1, vcc_lo
	s_delay_alu instid0(VALU_DEP_1)
	v_add_nc_u64_e32 v[6:7], v[6:7], v[10:11]
	s_cbranch_scc1 .LBB103_62
	s_branch .LBB103_55
.LBB103_63:
	s_endpgm
	.section	.rodata,"a",@progbits
	.p2align	6, 0x0
	.amdhsa_kernel _ZN9rocsparseL41csrgemm_numeric_fill_block_per_row_kernelILj128ELj16ELj256ELj137ELj64ElldEEvT5_PKS1_S3_NS_24const_host_device_scalarIT6_EEPKT4_S3_PKS5_S9_S3_SB_S6_S9_S3_SB_S9_S3_PS5_21rocsparse_index_base_SD_SD_SD_bbb
		.amdhsa_group_segment_fixed_size 0
		.amdhsa_private_segment_fixed_size 0
		.amdhsa_kernarg_size 156
		.amdhsa_user_sgpr_count 2
		.amdhsa_user_sgpr_dispatch_ptr 0
		.amdhsa_user_sgpr_queue_ptr 0
		.amdhsa_user_sgpr_kernarg_segment_ptr 1
		.amdhsa_user_sgpr_dispatch_id 0
		.amdhsa_user_sgpr_kernarg_preload_length 0
		.amdhsa_user_sgpr_kernarg_preload_offset 0
		.amdhsa_user_sgpr_private_segment_size 0
		.amdhsa_wavefront_size32 1
		.amdhsa_uses_dynamic_stack 0
		.amdhsa_enable_private_segment 0
		.amdhsa_system_sgpr_workgroup_id_x 1
		.amdhsa_system_sgpr_workgroup_id_y 0
		.amdhsa_system_sgpr_workgroup_id_z 0
		.amdhsa_system_sgpr_workgroup_info 0
		.amdhsa_system_vgpr_workitem_id 0
		.amdhsa_next_free_vgpr 28
		.amdhsa_next_free_sgpr 46
		.amdhsa_named_barrier_count 0
		.amdhsa_reserve_vcc 1
		.amdhsa_float_round_mode_32 0
		.amdhsa_float_round_mode_16_64 0
		.amdhsa_float_denorm_mode_32 3
		.amdhsa_float_denorm_mode_16_64 3
		.amdhsa_fp16_overflow 0
		.amdhsa_memory_ordered 1
		.amdhsa_forward_progress 1
		.amdhsa_inst_pref_size 21
		.amdhsa_round_robin_scheduling 0
		.amdhsa_exception_fp_ieee_invalid_op 0
		.amdhsa_exception_fp_denorm_src 0
		.amdhsa_exception_fp_ieee_div_zero 0
		.amdhsa_exception_fp_ieee_overflow 0
		.amdhsa_exception_fp_ieee_underflow 0
		.amdhsa_exception_fp_ieee_inexact 0
		.amdhsa_exception_int_div_zero 0
	.end_amdhsa_kernel
	.section	.text._ZN9rocsparseL41csrgemm_numeric_fill_block_per_row_kernelILj128ELj16ELj256ELj137ELj64ElldEEvT5_PKS1_S3_NS_24const_host_device_scalarIT6_EEPKT4_S3_PKS5_S9_S3_SB_S6_S9_S3_SB_S9_S3_PS5_21rocsparse_index_base_SD_SD_SD_bbb,"axG",@progbits,_ZN9rocsparseL41csrgemm_numeric_fill_block_per_row_kernelILj128ELj16ELj256ELj137ELj64ElldEEvT5_PKS1_S3_NS_24const_host_device_scalarIT6_EEPKT4_S3_PKS5_S9_S3_SB_S6_S9_S3_SB_S9_S3_PS5_21rocsparse_index_base_SD_SD_SD_bbb,comdat
.Lfunc_end103:
	.size	_ZN9rocsparseL41csrgemm_numeric_fill_block_per_row_kernelILj128ELj16ELj256ELj137ELj64ElldEEvT5_PKS1_S3_NS_24const_host_device_scalarIT6_EEPKT4_S3_PKS5_S9_S3_SB_S6_S9_S3_SB_S9_S3_PS5_21rocsparse_index_base_SD_SD_SD_bbb, .Lfunc_end103-_ZN9rocsparseL41csrgemm_numeric_fill_block_per_row_kernelILj128ELj16ELj256ELj137ELj64ElldEEvT5_PKS1_S3_NS_24const_host_device_scalarIT6_EEPKT4_S3_PKS5_S9_S3_SB_S6_S9_S3_SB_S9_S3_PS5_21rocsparse_index_base_SD_SD_SD_bbb
                                        ; -- End function
	.set _ZN9rocsparseL41csrgemm_numeric_fill_block_per_row_kernelILj128ELj16ELj256ELj137ELj64ElldEEvT5_PKS1_S3_NS_24const_host_device_scalarIT6_EEPKT4_S3_PKS5_S9_S3_SB_S6_S9_S3_SB_S9_S3_PS5_21rocsparse_index_base_SD_SD_SD_bbb.num_vgpr, 28
	.set _ZN9rocsparseL41csrgemm_numeric_fill_block_per_row_kernelILj128ELj16ELj256ELj137ELj64ElldEEvT5_PKS1_S3_NS_24const_host_device_scalarIT6_EEPKT4_S3_PKS5_S9_S3_SB_S6_S9_S3_SB_S9_S3_PS5_21rocsparse_index_base_SD_SD_SD_bbb.num_agpr, 0
	.set _ZN9rocsparseL41csrgemm_numeric_fill_block_per_row_kernelILj128ELj16ELj256ELj137ELj64ElldEEvT5_PKS1_S3_NS_24const_host_device_scalarIT6_EEPKT4_S3_PKS5_S9_S3_SB_S6_S9_S3_SB_S9_S3_PS5_21rocsparse_index_base_SD_SD_SD_bbb.numbered_sgpr, 46
	.set _ZN9rocsparseL41csrgemm_numeric_fill_block_per_row_kernelILj128ELj16ELj256ELj137ELj64ElldEEvT5_PKS1_S3_NS_24const_host_device_scalarIT6_EEPKT4_S3_PKS5_S9_S3_SB_S6_S9_S3_SB_S9_S3_PS5_21rocsparse_index_base_SD_SD_SD_bbb.num_named_barrier, 0
	.set _ZN9rocsparseL41csrgemm_numeric_fill_block_per_row_kernelILj128ELj16ELj256ELj137ELj64ElldEEvT5_PKS1_S3_NS_24const_host_device_scalarIT6_EEPKT4_S3_PKS5_S9_S3_SB_S6_S9_S3_SB_S9_S3_PS5_21rocsparse_index_base_SD_SD_SD_bbb.private_seg_size, 0
	.set _ZN9rocsparseL41csrgemm_numeric_fill_block_per_row_kernelILj128ELj16ELj256ELj137ELj64ElldEEvT5_PKS1_S3_NS_24const_host_device_scalarIT6_EEPKT4_S3_PKS5_S9_S3_SB_S6_S9_S3_SB_S9_S3_PS5_21rocsparse_index_base_SD_SD_SD_bbb.uses_vcc, 1
	.set _ZN9rocsparseL41csrgemm_numeric_fill_block_per_row_kernelILj128ELj16ELj256ELj137ELj64ElldEEvT5_PKS1_S3_NS_24const_host_device_scalarIT6_EEPKT4_S3_PKS5_S9_S3_SB_S6_S9_S3_SB_S9_S3_PS5_21rocsparse_index_base_SD_SD_SD_bbb.uses_flat_scratch, 0
	.set _ZN9rocsparseL41csrgemm_numeric_fill_block_per_row_kernelILj128ELj16ELj256ELj137ELj64ElldEEvT5_PKS1_S3_NS_24const_host_device_scalarIT6_EEPKT4_S3_PKS5_S9_S3_SB_S6_S9_S3_SB_S9_S3_PS5_21rocsparse_index_base_SD_SD_SD_bbb.has_dyn_sized_stack, 0
	.set _ZN9rocsparseL41csrgemm_numeric_fill_block_per_row_kernelILj128ELj16ELj256ELj137ELj64ElldEEvT5_PKS1_S3_NS_24const_host_device_scalarIT6_EEPKT4_S3_PKS5_S9_S3_SB_S6_S9_S3_SB_S9_S3_PS5_21rocsparse_index_base_SD_SD_SD_bbb.has_recursion, 0
	.set _ZN9rocsparseL41csrgemm_numeric_fill_block_per_row_kernelILj128ELj16ELj256ELj137ELj64ElldEEvT5_PKS1_S3_NS_24const_host_device_scalarIT6_EEPKT4_S3_PKS5_S9_S3_SB_S6_S9_S3_SB_S9_S3_PS5_21rocsparse_index_base_SD_SD_SD_bbb.has_indirect_call, 0
	.section	.AMDGPU.csdata,"",@progbits
; Kernel info:
; codeLenInByte = 2568
; TotalNumSgprs: 48
; NumVgprs: 28
; ScratchSize: 0
; MemoryBound: 0
; FloatMode: 240
; IeeeMode: 1
; LDSByteSize: 0 bytes/workgroup (compile time only)
; SGPRBlocks: 0
; VGPRBlocks: 1
; NumSGPRsForWavesPerEU: 48
; NumVGPRsForWavesPerEU: 28
; NamedBarCnt: 0
; Occupancy: 16
; WaveLimiterHint : 1
; COMPUTE_PGM_RSRC2:SCRATCH_EN: 0
; COMPUTE_PGM_RSRC2:USER_SGPR: 2
; COMPUTE_PGM_RSRC2:TRAP_HANDLER: 0
; COMPUTE_PGM_RSRC2:TGID_X_EN: 1
; COMPUTE_PGM_RSRC2:TGID_Y_EN: 0
; COMPUTE_PGM_RSRC2:TGID_Z_EN: 0
; COMPUTE_PGM_RSRC2:TIDIG_COMP_CNT: 0
	.section	.text._ZN9rocsparseL41csrgemm_numeric_fill_block_per_row_kernelILj256ELj32ELj512ELj137ELj32ElldEEvT5_PKS1_S3_NS_24const_host_device_scalarIT6_EEPKT4_S3_PKS5_S9_S3_SB_S6_S9_S3_SB_S9_S3_PS5_21rocsparse_index_base_SD_SD_SD_bbb,"axG",@progbits,_ZN9rocsparseL41csrgemm_numeric_fill_block_per_row_kernelILj256ELj32ELj512ELj137ELj32ElldEEvT5_PKS1_S3_NS_24const_host_device_scalarIT6_EEPKT4_S3_PKS5_S9_S3_SB_S6_S9_S3_SB_S9_S3_PS5_21rocsparse_index_base_SD_SD_SD_bbb,comdat
	.globl	_ZN9rocsparseL41csrgemm_numeric_fill_block_per_row_kernelILj256ELj32ELj512ELj137ELj32ElldEEvT5_PKS1_S3_NS_24const_host_device_scalarIT6_EEPKT4_S3_PKS5_S9_S3_SB_S6_S9_S3_SB_S9_S3_PS5_21rocsparse_index_base_SD_SD_SD_bbb ; -- Begin function _ZN9rocsparseL41csrgemm_numeric_fill_block_per_row_kernelILj256ELj32ELj512ELj137ELj32ElldEEvT5_PKS1_S3_NS_24const_host_device_scalarIT6_EEPKT4_S3_PKS5_S9_S3_SB_S6_S9_S3_SB_S9_S3_PS5_21rocsparse_index_base_SD_SD_SD_bbb
	.p2align	8
	.type	_ZN9rocsparseL41csrgemm_numeric_fill_block_per_row_kernelILj256ELj32ELj512ELj137ELj32ElldEEvT5_PKS1_S3_NS_24const_host_device_scalarIT6_EEPKT4_S3_PKS5_S9_S3_SB_S6_S9_S3_SB_S9_S3_PS5_21rocsparse_index_base_SD_SD_SD_bbb,@function
_ZN9rocsparseL41csrgemm_numeric_fill_block_per_row_kernelILj256ELj32ELj512ELj137ELj32ElldEEvT5_PKS1_S3_NS_24const_host_device_scalarIT6_EEPKT4_S3_PKS5_S9_S3_SB_S6_S9_S3_SB_S9_S3_PS5_21rocsparse_index_base_SD_SD_SD_bbb: ; @_ZN9rocsparseL41csrgemm_numeric_fill_block_per_row_kernelILj256ELj32ELj512ELj137ELj32ElldEEvT5_PKS1_S3_NS_24const_host_device_scalarIT6_EEPKT4_S3_PKS5_S9_S3_SB_S6_S9_S3_SB_S9_S3_PS5_21rocsparse_index_base_SD_SD_SD_bbb
; %bb.0:
	s_clause 0x2
	s_load_b32 s6, s[0:1], 0x98
	s_load_b64 s[4:5], s[0:1], 0x18
	s_load_b64 s[2:3], s[0:1], 0x50
	s_wait_kmcnt 0x0
	s_bitcmp1_b32 s6, 0
	s_cselect_b32 s38, -1, 0
	s_bitcmp1_b32 s6, 16
	s_cselect_b32 s7, -1, 0
	s_xor_b32 s8, s38, -1
	s_delay_alu instid0(SALU_CYCLE_1)
	s_or_b32 s10, s7, s8
	s_and_b32 s8, s38, exec_lo
	s_cselect_b32 s9, s5, 0
	s_cselect_b32 s8, s4, 0
	s_and_b32 vcc_lo, exec_lo, s10
	v_mov_b64_e32 v[6:7], s[8:9]
	s_cbranch_vccnz .LBB104_2
; %bb.1:
	v_mov_b32_e32 v1, 0
	flat_load_b64 v[6:7], v1, s[4:5]
.LBB104_2:
	s_load_b128 s[20:23], s[0:1], 0x88
	s_bitcmp1_b32 s6, 8
	s_cselect_b32 s33, -1, 0
	s_delay_alu instid0(SALU_CYCLE_1) | instskip(NEXT) | instid1(SALU_CYCLE_1)
	s_xor_b32 s4, s33, -1
	s_or_b32 s6, s7, s4
	s_and_b32 s4, s33, exec_lo
	s_cselect_b32 s5, s3, 0
	s_cselect_b32 s4, s2, 0
	s_and_b32 vcc_lo, exec_lo, s6
	v_mov_b64_e32 v[2:3], s[4:5]
	s_cbranch_vccnz .LBB104_4
; %bb.3:
	v_mov_b32_e32 v1, 0
	flat_load_b64 v[2:3], v1, s[2:3]
.LBB104_4:
	s_load_b128 s[24:27], s[0:1], 0x0
	v_cmp_gt_u32_e64 s2, 0x200, v0
	v_or_b32_e32 v28, 0xffffff00, v0
	v_lshl_add_u32 v29, v0, 3, 0
	s_and_saveexec_b32 s3, s2
	s_cbranch_execz .LBB104_7
; %bb.5:
	v_mov_b64_e32 v[4:5], 0
	s_wait_kmcnt 0x0
	v_mov_b64_e32 v[8:9], s[24:25]
	v_or_b32_e32 v1, 0xffffff00, v0
	v_lshl_add_u32 v10, v0, 3, 0
	s_mov_b32 s4, 0
.LBB104_6:                              ; =>This Inner Loop Header: Depth=1
	s_delay_alu instid0(VALU_DEP_2) | instskip(SKIP_4) | instid1(SALU_CYCLE_1)
	v_add_co_u32 v1, s5, 0x100, v1
	s_xor_b32 s5, s5, -1
	ds_store_2addr_stride64_b64 v10, v[8:9], v[4:5] offset1:8
	v_add_nc_u32_e32 v10, 0x800, v10
	s_and_b32 s5, exec_lo, s5
	s_or_b32 s4, s5, s4
	s_delay_alu instid0(SALU_CYCLE_1)
	s_and_not1_b32 exec_lo, exec_lo, s4
	s_cbranch_execnz .LBB104_6
.LBB104_7:
	s_or_b32 exec_lo, exec_lo, s3
	s_clause 0x4
	s_load_b64 s[34:35], s[0:1], 0x80
	s_load_b256 s[4:11], s[0:1], 0x58
	s_load_b128 s[28:31], s[0:1], 0x40
	s_load_b64 s[36:37], s[0:1], 0x10
	s_load_b256 s[12:19], s[0:1], 0x20
	s_wait_loadcnt_dscnt 0x0
	s_barrier_signal -1
	s_barrier_wait -1
	s_wait_kmcnt 0x0
	s_load_b64 s[0:1], s[26:27], 0x0
	s_bfe_u32 s3, ttmp6, 0x4000c
	s_wait_xcnt 0x0
	s_and_b32 s26, ttmp6, 15
	s_add_co_i32 s3, s3, 1
	s_getreg_b32 s27, hwreg(HW_REG_IB_STS2, 6, 4)
	s_mul_i32 s3, ttmp9, s3
	v_lshrrev_b32_e32 v4, 5, v0
	s_add_co_i32 s26, s26, s3
	s_wait_kmcnt 0x0
	s_lshl_b64 s[0:1], s[0:1], 3
	s_cmp_eq_u32 s27, 0
	s_add_nc_u64 s[0:1], s[36:37], s[0:1]
	s_cselect_b32 s3, ttmp9, s26
	s_and_b32 vcc_lo, exec_lo, s38
	s_load_b64 s[26:27], s[0:1], s3 offset:0x0 scale_offset
	s_wait_xcnt 0x0
	s_mov_b32 s1, 0
	s_cbranch_vccz .LBB104_27
; %bb.8:
	s_wait_kmcnt 0x0
	s_lshl_b64 s[36:37], s[26:27], 3
	v_mov_b32_e32 v5, 0
	s_add_nc_u64 s[12:13], s[12:13], s[36:37]
	s_mov_b32 s0, s20
	s_load_b128 s[36:39], s[12:13], 0x0
	s_mov_b32 s3, exec_lo
	v_sub_nc_u64_e64 v[8:9], v[4:5], s[0:1]
	s_wait_kmcnt 0x0
	s_delay_alu instid0(VALU_DEP_1)
	v_add_nc_u64_e32 v[8:9], s[36:37], v[8:9]
	s_sub_nc_u64 s[12:13], s[38:39], s[0:1]
	s_delay_alu instid0(VALU_DEP_1) | instid1(SALU_CYCLE_1)
	v_cmpx_gt_i64_e64 s[12:13], v[8:9]
	s_cbranch_execz .LBB104_26
; %bb.9:
	v_dual_mov_b32 v11, v5 :: v_dual_bitop2_b32 v10, 31, v0 bitop3:0x40
	s_mov_b32 s37, 0
	s_mov_b32 s36, s21
	;; [unrolled: 1-line block ×3, first 2 shown]
	s_delay_alu instid0(VALU_DEP_1)
	v_sub_nc_u64_e64 v[10:11], v[10:11], s[36:37]
	s_branch .LBB104_11
.LBB104_10:                             ;   in Loop: Header=BB104_11 Depth=1
	s_or_b32 exec_lo, exec_lo, s21
	v_add_nc_u64_e32 v[8:9], 8, v[8:9]
	s_delay_alu instid0(VALU_DEP_1) | instskip(SKIP_1) | instid1(SALU_CYCLE_1)
	v_cmp_le_i64_e32 vcc_lo, s[12:13], v[8:9]
	s_or_b32 s20, vcc_lo, s20
	s_and_not1_b32 exec_lo, exec_lo, s20
	s_cbranch_execz .LBB104_26
.LBB104_11:                             ; =>This Loop Header: Depth=1
                                        ;     Child Loop BB104_15 Depth 2
                                        ;       Child Loop BB104_18 Depth 3
	v_lshl_add_u64 v[12:13], v[8:9], 3, s[14:15]
	s_mov_b32 s21, exec_lo
	global_load_b64 v[12:13], v[12:13], off
	s_wait_loadcnt 0x0
	s_wait_xcnt 0x0
	v_sub_nc_u64_e64 v[12:13], v[12:13], s[0:1]
	s_delay_alu instid0(VALU_DEP_1)
	v_lshl_add_u64 v[12:13], v[12:13], 3, s[18:19]
	global_load_b128 v[14:17], v[12:13], off
	s_wait_loadcnt 0x0
	s_wait_xcnt 0x0
	v_sub_nc_u64_e64 v[12:13], v[16:17], s[36:37]
	v_add_nc_u64_e32 v[14:15], v[14:15], v[10:11]
	s_delay_alu instid0(VALU_DEP_1)
	v_cmpx_lt_i64_e64 v[14:15], v[12:13]
	s_cbranch_execz .LBB104_10
; %bb.12:                               ;   in Loop: Header=BB104_11 Depth=1
	v_lshl_add_u64 v[16:17], v[8:9], 3, s[16:17]
	s_mov_b32 s38, 0
	global_load_b64 v[16:17], v[16:17], off
	s_wait_loadcnt 0x0
	s_wait_xcnt 0x0
	v_mul_f64_e32 v[16:17], v[6:7], v[16:17]
	s_branch .LBB104_15
.LBB104_13:                             ;   in Loop: Header=BB104_15 Depth=2
	s_or_b32 exec_lo, exec_lo, s40
.LBB104_14:                             ;   in Loop: Header=BB104_15 Depth=2
	s_delay_alu instid0(SALU_CYCLE_1) | instskip(SKIP_4) | instid1(VALU_DEP_1)
	s_or_b32 exec_lo, exec_lo, s39
	s_wait_loadcnt 0x0
	v_mul_f64_e32 v[18:19], v[16:17], v[18:19]
	v_lshl_add_u32 v1, v20, 3, 0
	v_add_nc_u64_e32 v[14:15], 32, v[14:15]
	v_cmp_ge_i64_e32 vcc_lo, v[14:15], v[12:13]
	s_or_b32 s38, vcc_lo, s38
	ds_add_f64 v1, v[18:19] offset:4096
	s_and_not1_b32 exec_lo, exec_lo, s38
	s_cbranch_execz .LBB104_10
.LBB104_15:                             ;   Parent Loop BB104_11 Depth=1
                                        ; =>  This Loop Header: Depth=2
                                        ;       Child Loop BB104_18 Depth 3
	v_lshlrev_b64_e32 v[18:19], 3, v[14:15]
	s_mov_b32 s39, exec_lo
	s_delay_alu instid0(VALU_DEP_1)
	v_add_nc_u64_e32 v[20:21], s[28:29], v[18:19]
	v_add_nc_u64_e32 v[18:19], s[30:31], v[18:19]
	global_load_b64 v[20:21], v[20:21], off
	global_load_b64 v[18:19], v[18:19], off
	s_wait_loadcnt 0x1
	v_sub_nc_u64_e64 v[22:23], v[20:21], s[36:37]
	s_delay_alu instid0(VALU_DEP_1) | instskip(SKIP_1) | instid1(VALU_DEP_1)
	v_mul_lo_u32 v1, 0x89, v22
	s_wait_xcnt 0x1
	v_and_b32_e32 v20, 0x1ff, v1
	s_delay_alu instid0(VALU_DEP_1)
	v_lshl_add_u32 v1, v20, 3, 0
	ds_load_b64 v[26:27], v1
	s_wait_dscnt 0x0
	s_wait_xcnt 0x0
	v_cmpx_ne_u64_e64 v[26:27], v[22:23]
	s_cbranch_execz .LBB104_14
; %bb.16:                               ;   in Loop: Header=BB104_15 Depth=2
	s_mov_b32 s40, 0
                                        ; implicit-def: $sgpr41
                                        ; implicit-def: $sgpr42
	s_branch .LBB104_18
.LBB104_17:                             ;   in Loop: Header=BB104_18 Depth=3
	s_or_b32 exec_lo, exec_lo, s45
	s_delay_alu instid0(SALU_CYCLE_1) | instskip(NEXT) | instid1(SALU_CYCLE_1)
	s_and_b32 s43, exec_lo, s44
	s_or_b32 s40, s43, s40
	s_and_not1_b32 s41, s41, exec_lo
	s_and_b32 s43, s42, exec_lo
	s_delay_alu instid0(SALU_CYCLE_1)
	s_or_b32 s41, s41, s43
	s_and_not1_b32 exec_lo, exec_lo, s40
	s_cbranch_execz .LBB104_24
.LBB104_18:                             ;   Parent Loop BB104_11 Depth=1
                                        ;     Parent Loop BB104_15 Depth=2
                                        ; =>    This Inner Loop Header: Depth=3
	v_mov_b64_e32 v[24:25], v[20:21]
	s_mov_b32 s43, 0
	s_mov_b32 s44, exec_lo
                                        ; implicit-def: $vgpr20_vgpr21
	v_cmpx_ne_u64_e64 s[24:25], v[26:27]
	s_xor_b32 s44, exec_lo, s44
; %bb.19:                               ;   in Loop: Header=BB104_18 Depth=3
	s_delay_alu instid0(VALU_DEP_2) | instskip(SKIP_1) | instid1(VALU_DEP_1)
	v_add_nc_u32_e32 v1, 1, v24
	s_mov_b32 s43, exec_lo
	v_and_b32_e32 v20, 0x1ff, v1
                                        ; implicit-def: $vgpr1
; %bb.20:                               ;   in Loop: Header=BB104_18 Depth=3
	s_and_not1_saveexec_b32 s44, s44
	s_cbranch_execz .LBB104_22
; %bb.21:                               ;   in Loop: Header=BB104_18 Depth=3
	v_mov_b64_e32 v[20:21], s[24:25]
	s_and_not1_b32 s43, s43, exec_lo
	ds_cmpstore_rtn_b64 v[20:21], v1, v[22:23], v[20:21]
	s_wait_dscnt 0x0
	v_cmp_ne_u64_e32 vcc_lo, s[24:25], v[20:21]
	v_mov_b64_e32 v[20:21], v[24:25]
	s_and_b32 s45, vcc_lo, exec_lo
	s_delay_alu instid0(SALU_CYCLE_1)
	s_or_b32 s43, s43, s45
.LBB104_22:                             ;   in Loop: Header=BB104_18 Depth=3
	s_or_b32 exec_lo, exec_lo, s44
	s_mov_b32 s44, -1
	s_or_b32 s42, s42, exec_lo
                                        ; implicit-def: $vgpr1
                                        ; implicit-def: $vgpr26_vgpr27
	s_and_saveexec_b32 s45, s43
	s_cbranch_execz .LBB104_17
; %bb.23:                               ;   in Loop: Header=BB104_18 Depth=3
	v_lshl_add_u32 v1, v20, 3, 0
	s_and_not1_b32 s42, s42, exec_lo
	ds_load_b64 v[26:27], v1
	s_wait_dscnt 0x0
	v_cmp_eq_u64_e32 vcc_lo, v[26:27], v[22:23]
	s_or_not1_b32 s44, vcc_lo, exec_lo
	s_branch .LBB104_17
.LBB104_24:                             ;   in Loop: Header=BB104_15 Depth=2
	s_or_b32 exec_lo, exec_lo, s40
	s_and_saveexec_b32 s40, s41
	s_delay_alu instid0(SALU_CYCLE_1)
	s_xor_b32 s40, exec_lo, s40
	s_cbranch_execz .LBB104_13
; %bb.25:                               ;   in Loop: Header=BB104_15 Depth=2
	v_mov_b32_e32 v20, v24
	s_branch .LBB104_13
.LBB104_26:
	s_or_b32 exec_lo, exec_lo, s3
.LBB104_27:
	s_delay_alu instid0(SALU_CYCLE_1)
	s_and_not1_b32 vcc_lo, exec_lo, s33
	s_cbranch_vccnz .LBB104_44
; %bb.28:
	s_wait_kmcnt 0x0
	s_lshl_b64 s[0:1], s[26:27], 3
	v_mov_b32_e32 v1, 0
	s_add_nc_u64 s[0:1], s[4:5], s[0:1]
	s_mov_b32 s3, exec_lo
	s_load_b128 s[12:15], s[0:1], 0x0
	s_wait_xcnt 0x0
	s_mov_b32 s1, 0
	s_mov_b32 s0, s23
	s_delay_alu instid0(SALU_CYCLE_1) | instskip(SKIP_1) | instid1(VALU_DEP_1)
	v_sub_nc_u64_e64 v[6:7], v[0:1], s[0:1]
	s_wait_kmcnt 0x0
	v_add_nc_u64_e32 v[6:7], s[12:13], v[6:7]
	s_sub_nc_u64 s[4:5], s[14:15], s[0:1]
	s_delay_alu instid0(VALU_DEP_1) | instid1(SALU_CYCLE_1)
	v_cmpx_gt_i64_e64 s[4:5], v[6:7]
	s_cbranch_execz .LBB104_43
; %bb.29:
	s_mov_b32 s12, s1
	s_branch .LBB104_32
.LBB104_30:                             ;   in Loop: Header=BB104_32 Depth=1
	s_or_b32 exec_lo, exec_lo, s14
.LBB104_31:                             ;   in Loop: Header=BB104_32 Depth=1
	s_delay_alu instid0(SALU_CYCLE_1) | instskip(SKIP_4) | instid1(VALU_DEP_1)
	s_or_b32 exec_lo, exec_lo, s13
	s_wait_loadcnt 0x0
	v_mul_f64_e32 v[8:9], v[2:3], v[8:9]
	v_lshl_add_u32 v1, v10, 3, 0
	v_add_nc_u64_e32 v[6:7], 0x100, v[6:7]
	v_cmp_le_i64_e32 vcc_lo, s[4:5], v[6:7]
	s_or_b32 s12, vcc_lo, s12
	ds_add_f64 v1, v[8:9] offset:4096
	s_and_not1_b32 exec_lo, exec_lo, s12
	s_cbranch_execz .LBB104_43
.LBB104_32:                             ; =>This Loop Header: Depth=1
                                        ;     Child Loop BB104_35 Depth 2
	v_lshlrev_b64_e32 v[8:9], 3, v[6:7]
	s_mov_b32 s13, exec_lo
	s_delay_alu instid0(VALU_DEP_1)
	v_add_nc_u64_e32 v[10:11], s[6:7], v[8:9]
	v_add_nc_u64_e32 v[8:9], s[8:9], v[8:9]
	global_load_b64 v[10:11], v[10:11], off
	global_load_b64 v[8:9], v[8:9], off
	s_wait_loadcnt 0x1
	v_sub_nc_u64_e64 v[12:13], v[10:11], s[0:1]
	s_delay_alu instid0(VALU_DEP_1) | instskip(NEXT) | instid1(VALU_DEP_1)
	v_mul_lo_u32 v1, 0x89, v12
	v_and_b32_e32 v10, 0x1ff, v1
	s_delay_alu instid0(VALU_DEP_1)
	v_lshl_add_u32 v1, v10, 3, 0
	ds_load_b64 v[16:17], v1
	s_wait_dscnt 0x0
	s_wait_xcnt 0x0
	v_cmpx_ne_u64_e64 v[16:17], v[12:13]
	s_cbranch_execz .LBB104_31
; %bb.33:                               ;   in Loop: Header=BB104_32 Depth=1
	s_mov_b32 s14, 0
                                        ; implicit-def: $sgpr15
                                        ; implicit-def: $sgpr16
	s_branch .LBB104_35
.LBB104_34:                             ;   in Loop: Header=BB104_35 Depth=2
	s_or_b32 exec_lo, exec_lo, s19
	s_delay_alu instid0(SALU_CYCLE_1) | instskip(NEXT) | instid1(SALU_CYCLE_1)
	s_and_b32 s17, exec_lo, s18
	s_or_b32 s14, s17, s14
	s_and_not1_b32 s15, s15, exec_lo
	s_and_b32 s17, s16, exec_lo
	s_delay_alu instid0(SALU_CYCLE_1)
	s_or_b32 s15, s15, s17
	s_and_not1_b32 exec_lo, exec_lo, s14
	s_cbranch_execz .LBB104_41
.LBB104_35:                             ;   Parent Loop BB104_32 Depth=1
                                        ; =>  This Inner Loop Header: Depth=2
	v_mov_b64_e32 v[14:15], v[10:11]
	s_mov_b32 s17, 0
	s_mov_b32 s18, exec_lo
                                        ; implicit-def: $vgpr10_vgpr11
	v_cmpx_ne_u64_e64 s[24:25], v[16:17]
	s_xor_b32 s18, exec_lo, s18
; %bb.36:                               ;   in Loop: Header=BB104_35 Depth=2
	s_delay_alu instid0(VALU_DEP_2) | instskip(SKIP_1) | instid1(VALU_DEP_1)
	v_add_nc_u32_e32 v1, 1, v14
	s_mov_b32 s17, exec_lo
	v_and_b32_e32 v10, 0x1ff, v1
                                        ; implicit-def: $vgpr1
; %bb.37:                               ;   in Loop: Header=BB104_35 Depth=2
	s_and_not1_saveexec_b32 s18, s18
	s_cbranch_execz .LBB104_39
; %bb.38:                               ;   in Loop: Header=BB104_35 Depth=2
	v_mov_b64_e32 v[10:11], s[24:25]
	s_and_not1_b32 s17, s17, exec_lo
	ds_cmpstore_rtn_b64 v[10:11], v1, v[12:13], v[10:11]
	s_wait_dscnt 0x0
	v_cmp_ne_u64_e32 vcc_lo, s[24:25], v[10:11]
	v_mov_b64_e32 v[10:11], v[14:15]
	s_and_b32 s19, vcc_lo, exec_lo
	s_delay_alu instid0(SALU_CYCLE_1)
	s_or_b32 s17, s17, s19
.LBB104_39:                             ;   in Loop: Header=BB104_35 Depth=2
	s_or_b32 exec_lo, exec_lo, s18
	s_mov_b32 s18, -1
	s_or_b32 s16, s16, exec_lo
                                        ; implicit-def: $vgpr1
                                        ; implicit-def: $vgpr16_vgpr17
	s_and_saveexec_b32 s19, s17
	s_cbranch_execz .LBB104_34
; %bb.40:                               ;   in Loop: Header=BB104_35 Depth=2
	v_lshl_add_u32 v1, v10, 3, 0
	s_and_not1_b32 s16, s16, exec_lo
	ds_load_b64 v[16:17], v1
	s_wait_dscnt 0x0
	v_cmp_eq_u64_e32 vcc_lo, v[16:17], v[12:13]
	s_or_not1_b32 s18, vcc_lo, exec_lo
	s_branch .LBB104_34
.LBB104_41:                             ;   in Loop: Header=BB104_32 Depth=1
	s_or_b32 exec_lo, exec_lo, s14
	s_and_saveexec_b32 s14, s15
	s_delay_alu instid0(SALU_CYCLE_1)
	s_xor_b32 s14, exec_lo, s14
	s_cbranch_execz .LBB104_30
; %bb.42:                               ;   in Loop: Header=BB104_32 Depth=1
	v_mov_b32_e32 v10, v14
	s_branch .LBB104_30
.LBB104_43:
	s_or_b32 exec_lo, exec_lo, s3
.LBB104_44:
	s_wait_dscnt 0x0
	s_barrier_signal -1
	s_barrier_wait -1
	s_and_saveexec_b32 s8, s2
	s_cbranch_execz .LBB104_65
; %bb.45:
	v_mbcnt_lo_u32_b32 v2, -1, 0
	v_mov_b32_e32 v7, 0
	v_mov_b64_e32 v[10:11], 0
	v_lshl_add_u32 v1, v4, 3, 0
	v_cmp_lt_u32_e64 s0, 31, v0
	v_xor_b32_e32 v2, 31, v2
	v_cmp_lt_u32_e64 s1, 63, v0
	v_cmp_lt_u32_e64 s2, 0x5f, v0
	;; [unrolled: 1-line block ×4, first 2 shown]
	v_lshrrev_b32_e64 v8, v2, -1
	v_cmp_lt_u32_e64 s5, 0xbf, v0
	v_cmp_lt_u32_e64 s6, 0xdf, v0
	s_mov_b32 s9, 0
	v_cmp_eq_u32_e32 vcc_lo, 0xff, v0
	s_branch .LBB104_47
.LBB104_46:                             ;   in Loop: Header=BB104_47 Depth=1
	s_or_b32 exec_lo, exec_lo, s7
	s_wait_dscnt 0x0
	s_barrier_signal -1
	s_barrier_wait -1
	ds_load_b64 v[2:3], v7 offset:8248
	v_add_co_u32 v28, s7, 0x100, v28
	s_xor_b32 s7, s7, -1
	v_add_nc_u32_e32 v29, 0x800, v29
	s_and_b32 s7, exec_lo, s7
	s_delay_alu instid0(SALU_CYCLE_1)
	s_or_b32 s9, s7, s9
	s_wait_dscnt 0x0
	v_add_nc_u64_e32 v[10:11], v[2:3], v[10:11]
	s_and_not1_b32 exec_lo, exec_lo, s9
	s_cbranch_execz .LBB104_65
.LBB104_47:                             ; =>This Inner Loop Header: Depth=1
	ds_load_2addr_stride64_b64 v[2:5], v29 offset1:8
	s_wait_dscnt 0x0
	s_barrier_signal -1
	s_barrier_wait -1
	v_cmp_gt_i64_e64 s7, s[24:25], v[2:3]
	s_bcnt1_i32_b32 s12, s7
	s_delay_alu instid0(SALU_CYCLE_1) | instskip(NEXT) | instid1(VALU_DEP_1)
	v_dual_mov_b32 v6, s12 :: v_dual_bitop2_b32 v9, s7, v8 bitop3:0x40
	v_bcnt_u32_b32 v12, v9, 0
	ds_store_b64 v1, v[6:7] offset:8192
	s_wait_dscnt 0x0
	s_barrier_signal -1
	s_barrier_wait -1
	s_and_saveexec_b32 s12, s0
	s_cbranch_execnz .LBB104_56
; %bb.48:                               ;   in Loop: Header=BB104_47 Depth=1
	s_or_b32 exec_lo, exec_lo, s12
	s_and_saveexec_b32 s12, s1
	s_cbranch_execnz .LBB104_57
.LBB104_49:                             ;   in Loop: Header=BB104_47 Depth=1
	s_or_b32 exec_lo, exec_lo, s12
	s_and_saveexec_b32 s12, s2
	s_cbranch_execnz .LBB104_58
.LBB104_50:                             ;   in Loop: Header=BB104_47 Depth=1
	s_or_b32 exec_lo, exec_lo, s12
	s_and_saveexec_b32 s12, s3
	s_cbranch_execnz .LBB104_59
.LBB104_51:                             ;   in Loop: Header=BB104_47 Depth=1
	s_or_b32 exec_lo, exec_lo, s12
	s_and_saveexec_b32 s12, s4
	s_cbranch_execnz .LBB104_60
.LBB104_52:                             ;   in Loop: Header=BB104_47 Depth=1
	s_or_b32 exec_lo, exec_lo, s12
	s_and_saveexec_b32 s12, s5
	s_cbranch_execnz .LBB104_61
.LBB104_53:                             ;   in Loop: Header=BB104_47 Depth=1
	s_or_b32 exec_lo, exec_lo, s12
	s_and_saveexec_b32 s12, s6
	s_cbranch_execnz .LBB104_62
.LBB104_54:                             ;   in Loop: Header=BB104_47 Depth=1
	s_or_b32 exec_lo, exec_lo, s12
	v_ashrrev_i32_e32 v13, 31, v12
	s_and_saveexec_b32 s12, s7
	s_cbranch_execnz .LBB104_63
.LBB104_55:                             ;   in Loop: Header=BB104_47 Depth=1
	s_or_b32 exec_lo, exec_lo, s12
	s_and_saveexec_b32 s7, vcc_lo
	s_cbranch_execz .LBB104_46
	s_branch .LBB104_64
.LBB104_56:                             ;   in Loop: Header=BB104_47 Depth=1
	ds_load_b32 v6, v7 offset:8192
	s_wait_dscnt 0x0
	v_add_nc_u32_e32 v12, v6, v12
	s_or_b32 exec_lo, exec_lo, s12
	s_and_saveexec_b32 s12, s1
	s_cbranch_execz .LBB104_49
.LBB104_57:                             ;   in Loop: Header=BB104_47 Depth=1
	ds_load_b32 v6, v7 offset:8200
	s_wait_dscnt 0x0
	v_add_nc_u32_e32 v12, v12, v6
	s_or_b32 exec_lo, exec_lo, s12
	s_and_saveexec_b32 s12, s2
	s_cbranch_execz .LBB104_50
.LBB104_58:                             ;   in Loop: Header=BB104_47 Depth=1
	ds_load_b32 v6, v7 offset:8208
	s_wait_dscnt 0x0
	v_add_nc_u32_e32 v12, v12, v6
	s_or_b32 exec_lo, exec_lo, s12
	s_and_saveexec_b32 s12, s3
	s_cbranch_execz .LBB104_51
.LBB104_59:                             ;   in Loop: Header=BB104_47 Depth=1
	ds_load_b32 v6, v7 offset:8216
	s_wait_dscnt 0x0
	v_add_nc_u32_e32 v12, v12, v6
	s_or_b32 exec_lo, exec_lo, s12
	s_and_saveexec_b32 s12, s4
	s_cbranch_execz .LBB104_52
.LBB104_60:                             ;   in Loop: Header=BB104_47 Depth=1
	ds_load_b32 v6, v7 offset:8224
	s_wait_dscnt 0x0
	v_add_nc_u32_e32 v12, v12, v6
	s_or_b32 exec_lo, exec_lo, s12
	s_and_saveexec_b32 s12, s5
	s_cbranch_execz .LBB104_53
.LBB104_61:                             ;   in Loop: Header=BB104_47 Depth=1
	ds_load_b32 v6, v7 offset:8232
	s_wait_dscnt 0x0
	v_add_nc_u32_e32 v12, v12, v6
	s_or_b32 exec_lo, exec_lo, s12
	s_and_saveexec_b32 s12, s6
	s_cbranch_execz .LBB104_54
.LBB104_62:                             ;   in Loop: Header=BB104_47 Depth=1
	ds_load_b32 v6, v7 offset:8240
	s_wait_dscnt 0x0
	v_add_nc_u32_e32 v12, v12, v6
	s_or_b32 exec_lo, exec_lo, s12
	s_delay_alu instid0(VALU_DEP_1)
	v_ashrrev_i32_e32 v13, 31, v12
	s_and_saveexec_b32 s12, s7
	s_cbranch_execz .LBB104_55
.LBB104_63:                             ;   in Loop: Header=BB104_47 Depth=1
	v_add3_u32 v6, v10, -1, v12
	v_add_nc_u32_e32 v9, v10, v12
	s_delay_alu instid0(VALU_DEP_2) | instskip(NEXT) | instid1(VALU_DEP_2)
	v_lshl_add_u32 v6, v6, 3, 0
	v_lshl_add_u32 v9, v9, 3, 0
	ds_store_b64 v6, v[2:3]
	ds_store_b64 v9, v[4:5] offset:4088
	s_or_b32 exec_lo, exec_lo, s12
	s_and_saveexec_b32 s7, vcc_lo
	s_cbranch_execz .LBB104_46
.LBB104_64:                             ;   in Loop: Header=BB104_47 Depth=1
	ds_store_b64 v7, v[12:13] offset:8248
	s_branch .LBB104_46
.LBB104_65:
	s_or_b32 exec_lo, exec_lo, s8
	s_wait_kmcnt 0x0
	s_lshl_b64 s[0:1], s[26:27], 3
	v_mov_b32_e32 v1, 0
	s_add_nc_u64 s[4:5], s[10:11], s[0:1]
	s_mov_b32 s6, exec_lo
	s_load_b128 s[0:3], s[4:5], 0x0
	s_wait_kmcnt 0x0
	s_sub_nc_u64 s[4:5], s[2:3], s[0:1]
	s_delay_alu instid0(SALU_CYCLE_1)
	v_cmpx_gt_i64_e64 s[4:5], v[0:1]
	s_cbranch_execz .LBB104_75
; %bb.66:
	s_sub_nc_u64 s[8:9], s[0:1], s[2:3]
	s_and_b64 s[6:7], s[4:5], 7
	v_cmp_lt_u64_e64 s10, s[8:9], -7
	s_and_b64 s[2:3], s[4:5], -8
	s_mov_b32 s23, 0
	s_cmp_lg_u64 s[6:7], 0
	s_sub_nc_u64 s[0:1], s[0:1], s[22:23]
	s_cselect_b32 s11, -1, 0
	s_mov_b32 s12, 0
	s_branch .LBB104_68
.LBB104_67:                             ;   in Loop: Header=BB104_68 Depth=1
	v_add_nc_u64_e32 v[0:1], 0x100, v[0:1]
	s_wait_dscnt 0x0
	s_delay_alu instid0(VALU_DEP_2)
	v_lshl_add_u64 v[2:3], v[6:7], 3, s[34:35]
	global_store_b64 v[2:3], v[4:5], off
	v_cmp_le_i64_e32 vcc_lo, s[4:5], v[0:1]
	s_or_b32 s12, vcc_lo, s12
	s_wait_xcnt 0x0
	s_and_not1_b32 exec_lo, exec_lo, s12
	s_cbranch_execz .LBB104_75
.LBB104_68:                             ; =>This Loop Header: Depth=1
                                        ;     Child Loop BB104_70 Depth 2
                                        ;     Child Loop BB104_74 Depth 2
	v_lshl_add_u32 v2, v0, 3, 0
	v_mov_b64_e32 v[6:7], s[0:1]
	s_and_not1_b32 vcc_lo, exec_lo, s10
	s_mov_b64 s[8:9], 0
	ds_load_2addr_stride64_b64 v[2:5], v2 offset1:8
	s_cbranch_vccnz .LBB104_72
; %bb.69:                               ;   in Loop: Header=BB104_68 Depth=1
	v_mov_b64_e32 v[6:7], s[0:1]
	s_mov_b32 s13, 0
.LBB104_70:                             ;   Parent Loop BB104_68 Depth=1
                                        ; =>  This Inner Loop Header: Depth=2
	s_delay_alu instid0(SALU_CYCLE_1)
	v_dual_mov_b32 v20, s13 :: v_dual_mov_b32 v17, s23
	v_mov_b32_e32 v19, s23
	s_add_nc_u64 s[8:9], s[8:9], 8
	s_add_co_i32 s13, s13, 64
	ds_load_2addr_b64 v[8:11], v20 offset1:1
	ds_load_2addr_b64 v[12:15], v20 offset0:2 offset1:3
	s_cmp_eq_u64 s[2:3], s[8:9]
	s_wait_dscnt 0x1
	v_cmp_gt_i64_e32 vcc_lo, v[2:3], v[8:9]
	v_cndmask_b32_e64 v16, 0, 1, vcc_lo
	v_cmp_gt_i64_e32 vcc_lo, v[2:3], v[10:11]
	s_delay_alu instid0(VALU_DEP_2) | instskip(SKIP_4) | instid1(VALU_DEP_2)
	v_add_nc_u64_e32 v[10:11], v[6:7], v[16:17]
	ds_load_2addr_b64 v[6:9], v20 offset0:4 offset1:5
	v_cndmask_b32_e64 v18, 0, 1, vcc_lo
	s_wait_dscnt 0x1
	v_cmp_gt_i64_e32 vcc_lo, v[2:3], v[12:13]
	v_add_nc_u64_e32 v[10:11], v[10:11], v[18:19]
	v_cndmask_b32_e64 v16, 0, 1, vcc_lo
	v_cmp_gt_i64_e32 vcc_lo, v[2:3], v[14:15]
	s_delay_alu instid0(VALU_DEP_2)
	v_add_nc_u64_e32 v[14:15], v[10:11], v[16:17]
	ds_load_2addr_b64 v[10:13], v20 offset0:6 offset1:7
	v_cndmask_b32_e64 v18, 0, 1, vcc_lo
	s_wait_dscnt 0x1
	v_cmp_gt_i64_e32 vcc_lo, v[2:3], v[6:7]
	v_mov_b32_e32 v7, s23
	s_delay_alu instid0(VALU_DEP_3) | instskip(SKIP_3) | instid1(VALU_DEP_3)
	v_add_nc_u64_e32 v[14:15], v[14:15], v[18:19]
	v_cndmask_b32_e64 v16, 0, 1, vcc_lo
	v_cmp_gt_i64_e32 vcc_lo, v[2:3], v[8:9]
	v_mov_b32_e32 v9, s23
	v_add_nc_u64_e32 v[14:15], v[14:15], v[16:17]
	v_cndmask_b32_e64 v6, 0, 1, vcc_lo
	s_wait_dscnt 0x0
	v_cmp_gt_i64_e32 vcc_lo, v[2:3], v[10:11]
	v_mov_b32_e32 v11, s23
	s_delay_alu instid0(VALU_DEP_3) | instskip(SKIP_2) | instid1(VALU_DEP_2)
	v_add_nc_u64_e32 v[6:7], v[14:15], v[6:7]
	v_cndmask_b32_e64 v8, 0, 1, vcc_lo
	v_cmp_gt_i64_e32 vcc_lo, v[2:3], v[12:13]
	v_add_nc_u64_e32 v[6:7], v[6:7], v[8:9]
	v_cndmask_b32_e64 v10, 0, 1, vcc_lo
	s_delay_alu instid0(VALU_DEP_1)
	v_add_nc_u64_e32 v[6:7], v[6:7], v[10:11]
	s_cbranch_scc0 .LBB104_70
; %bb.71:                               ;   in Loop: Header=BB104_68 Depth=1
	s_mov_b64 s[8:9], s[2:3]
.LBB104_72:                             ;   in Loop: Header=BB104_68 Depth=1
	s_and_not1_b32 vcc_lo, exec_lo, s11
	s_cbranch_vccnz .LBB104_67
; %bb.73:                               ;   in Loop: Header=BB104_68 Depth=1
	s_lshl_b32 s8, s8, 3
	s_delay_alu instid0(SALU_CYCLE_1)
	s_add_co_i32 s13, s8, 0
	s_mov_b64 s[8:9], s[6:7]
.LBB104_74:                             ;   Parent Loop BB104_68 Depth=1
                                        ; =>  This Inner Loop Header: Depth=2
	v_dual_mov_b32 v8, s13 :: v_dual_mov_b32 v11, s23
	s_add_nc_u64 s[8:9], s[8:9], -1
	s_add_co_i32 s13, s13, 8
	s_cmp_lg_u64 s[8:9], 0
	ds_load_b64 v[8:9], v8
	s_wait_dscnt 0x0
	v_cmp_gt_i64_e32 vcc_lo, v[2:3], v[8:9]
	v_cndmask_b32_e64 v10, 0, 1, vcc_lo
	s_delay_alu instid0(VALU_DEP_1)
	v_add_nc_u64_e32 v[6:7], v[6:7], v[10:11]
	s_cbranch_scc1 .LBB104_74
	s_branch .LBB104_67
.LBB104_75:
	s_endpgm
	.section	.rodata,"a",@progbits
	.p2align	6, 0x0
	.amdhsa_kernel _ZN9rocsparseL41csrgemm_numeric_fill_block_per_row_kernelILj256ELj32ELj512ELj137ELj32ElldEEvT5_PKS1_S3_NS_24const_host_device_scalarIT6_EEPKT4_S3_PKS5_S9_S3_SB_S6_S9_S3_SB_S9_S3_PS5_21rocsparse_index_base_SD_SD_SD_bbb
		.amdhsa_group_segment_fixed_size 0
		.amdhsa_private_segment_fixed_size 0
		.amdhsa_kernarg_size 156
		.amdhsa_user_sgpr_count 2
		.amdhsa_user_sgpr_dispatch_ptr 0
		.amdhsa_user_sgpr_queue_ptr 0
		.amdhsa_user_sgpr_kernarg_segment_ptr 1
		.amdhsa_user_sgpr_dispatch_id 0
		.amdhsa_user_sgpr_kernarg_preload_length 0
		.amdhsa_user_sgpr_kernarg_preload_offset 0
		.amdhsa_user_sgpr_private_segment_size 0
		.amdhsa_wavefront_size32 1
		.amdhsa_uses_dynamic_stack 0
		.amdhsa_enable_private_segment 0
		.amdhsa_system_sgpr_workgroup_id_x 1
		.amdhsa_system_sgpr_workgroup_id_y 0
		.amdhsa_system_sgpr_workgroup_id_z 0
		.amdhsa_system_sgpr_workgroup_info 0
		.amdhsa_system_vgpr_workitem_id 0
		.amdhsa_next_free_vgpr 30
		.amdhsa_next_free_sgpr 46
		.amdhsa_named_barrier_count 0
		.amdhsa_reserve_vcc 1
		.amdhsa_float_round_mode_32 0
		.amdhsa_float_round_mode_16_64 0
		.amdhsa_float_denorm_mode_32 3
		.amdhsa_float_denorm_mode_16_64 3
		.amdhsa_fp16_overflow 0
		.amdhsa_memory_ordered 1
		.amdhsa_forward_progress 1
		.amdhsa_inst_pref_size 23
		.amdhsa_round_robin_scheduling 0
		.amdhsa_exception_fp_ieee_invalid_op 0
		.amdhsa_exception_fp_denorm_src 0
		.amdhsa_exception_fp_ieee_div_zero 0
		.amdhsa_exception_fp_ieee_overflow 0
		.amdhsa_exception_fp_ieee_underflow 0
		.amdhsa_exception_fp_ieee_inexact 0
		.amdhsa_exception_int_div_zero 0
	.end_amdhsa_kernel
	.section	.text._ZN9rocsparseL41csrgemm_numeric_fill_block_per_row_kernelILj256ELj32ELj512ELj137ELj32ElldEEvT5_PKS1_S3_NS_24const_host_device_scalarIT6_EEPKT4_S3_PKS5_S9_S3_SB_S6_S9_S3_SB_S9_S3_PS5_21rocsparse_index_base_SD_SD_SD_bbb,"axG",@progbits,_ZN9rocsparseL41csrgemm_numeric_fill_block_per_row_kernelILj256ELj32ELj512ELj137ELj32ElldEEvT5_PKS1_S3_NS_24const_host_device_scalarIT6_EEPKT4_S3_PKS5_S9_S3_SB_S6_S9_S3_SB_S9_S3_PS5_21rocsparse_index_base_SD_SD_SD_bbb,comdat
.Lfunc_end104:
	.size	_ZN9rocsparseL41csrgemm_numeric_fill_block_per_row_kernelILj256ELj32ELj512ELj137ELj32ElldEEvT5_PKS1_S3_NS_24const_host_device_scalarIT6_EEPKT4_S3_PKS5_S9_S3_SB_S6_S9_S3_SB_S9_S3_PS5_21rocsparse_index_base_SD_SD_SD_bbb, .Lfunc_end104-_ZN9rocsparseL41csrgemm_numeric_fill_block_per_row_kernelILj256ELj32ELj512ELj137ELj32ElldEEvT5_PKS1_S3_NS_24const_host_device_scalarIT6_EEPKT4_S3_PKS5_S9_S3_SB_S6_S9_S3_SB_S9_S3_PS5_21rocsparse_index_base_SD_SD_SD_bbb
                                        ; -- End function
	.set _ZN9rocsparseL41csrgemm_numeric_fill_block_per_row_kernelILj256ELj32ELj512ELj137ELj32ElldEEvT5_PKS1_S3_NS_24const_host_device_scalarIT6_EEPKT4_S3_PKS5_S9_S3_SB_S6_S9_S3_SB_S9_S3_PS5_21rocsparse_index_base_SD_SD_SD_bbb.num_vgpr, 30
	.set _ZN9rocsparseL41csrgemm_numeric_fill_block_per_row_kernelILj256ELj32ELj512ELj137ELj32ElldEEvT5_PKS1_S3_NS_24const_host_device_scalarIT6_EEPKT4_S3_PKS5_S9_S3_SB_S6_S9_S3_SB_S9_S3_PS5_21rocsparse_index_base_SD_SD_SD_bbb.num_agpr, 0
	.set _ZN9rocsparseL41csrgemm_numeric_fill_block_per_row_kernelILj256ELj32ELj512ELj137ELj32ElldEEvT5_PKS1_S3_NS_24const_host_device_scalarIT6_EEPKT4_S3_PKS5_S9_S3_SB_S6_S9_S3_SB_S9_S3_PS5_21rocsparse_index_base_SD_SD_SD_bbb.numbered_sgpr, 46
	.set _ZN9rocsparseL41csrgemm_numeric_fill_block_per_row_kernelILj256ELj32ELj512ELj137ELj32ElldEEvT5_PKS1_S3_NS_24const_host_device_scalarIT6_EEPKT4_S3_PKS5_S9_S3_SB_S6_S9_S3_SB_S9_S3_PS5_21rocsparse_index_base_SD_SD_SD_bbb.num_named_barrier, 0
	.set _ZN9rocsparseL41csrgemm_numeric_fill_block_per_row_kernelILj256ELj32ELj512ELj137ELj32ElldEEvT5_PKS1_S3_NS_24const_host_device_scalarIT6_EEPKT4_S3_PKS5_S9_S3_SB_S6_S9_S3_SB_S9_S3_PS5_21rocsparse_index_base_SD_SD_SD_bbb.private_seg_size, 0
	.set _ZN9rocsparseL41csrgemm_numeric_fill_block_per_row_kernelILj256ELj32ELj512ELj137ELj32ElldEEvT5_PKS1_S3_NS_24const_host_device_scalarIT6_EEPKT4_S3_PKS5_S9_S3_SB_S6_S9_S3_SB_S9_S3_PS5_21rocsparse_index_base_SD_SD_SD_bbb.uses_vcc, 1
	.set _ZN9rocsparseL41csrgemm_numeric_fill_block_per_row_kernelILj256ELj32ELj512ELj137ELj32ElldEEvT5_PKS1_S3_NS_24const_host_device_scalarIT6_EEPKT4_S3_PKS5_S9_S3_SB_S6_S9_S3_SB_S9_S3_PS5_21rocsparse_index_base_SD_SD_SD_bbb.uses_flat_scratch, 0
	.set _ZN9rocsparseL41csrgemm_numeric_fill_block_per_row_kernelILj256ELj32ELj512ELj137ELj32ElldEEvT5_PKS1_S3_NS_24const_host_device_scalarIT6_EEPKT4_S3_PKS5_S9_S3_SB_S6_S9_S3_SB_S9_S3_PS5_21rocsparse_index_base_SD_SD_SD_bbb.has_dyn_sized_stack, 0
	.set _ZN9rocsparseL41csrgemm_numeric_fill_block_per_row_kernelILj256ELj32ELj512ELj137ELj32ElldEEvT5_PKS1_S3_NS_24const_host_device_scalarIT6_EEPKT4_S3_PKS5_S9_S3_SB_S6_S9_S3_SB_S9_S3_PS5_21rocsparse_index_base_SD_SD_SD_bbb.has_recursion, 0
	.set _ZN9rocsparseL41csrgemm_numeric_fill_block_per_row_kernelILj256ELj32ELj512ELj137ELj32ElldEEvT5_PKS1_S3_NS_24const_host_device_scalarIT6_EEPKT4_S3_PKS5_S9_S3_SB_S6_S9_S3_SB_S9_S3_PS5_21rocsparse_index_base_SD_SD_SD_bbb.has_indirect_call, 0
	.section	.AMDGPU.csdata,"",@progbits
; Kernel info:
; codeLenInByte = 2864
; TotalNumSgprs: 48
; NumVgprs: 30
; ScratchSize: 0
; MemoryBound: 0
; FloatMode: 240
; IeeeMode: 1
; LDSByteSize: 0 bytes/workgroup (compile time only)
; SGPRBlocks: 0
; VGPRBlocks: 1
; NumSGPRsForWavesPerEU: 48
; NumVGPRsForWavesPerEU: 30
; NamedBarCnt: 0
; Occupancy: 16
; WaveLimiterHint : 1
; COMPUTE_PGM_RSRC2:SCRATCH_EN: 0
; COMPUTE_PGM_RSRC2:USER_SGPR: 2
; COMPUTE_PGM_RSRC2:TRAP_HANDLER: 0
; COMPUTE_PGM_RSRC2:TGID_X_EN: 1
; COMPUTE_PGM_RSRC2:TGID_Y_EN: 0
; COMPUTE_PGM_RSRC2:TGID_Z_EN: 0
; COMPUTE_PGM_RSRC2:TIDIG_COMP_CNT: 0
	.section	.text._ZN9rocsparseL41csrgemm_numeric_fill_block_per_row_kernelILj256ELj32ELj512ELj137ELj64ElldEEvT5_PKS1_S3_NS_24const_host_device_scalarIT6_EEPKT4_S3_PKS5_S9_S3_SB_S6_S9_S3_SB_S9_S3_PS5_21rocsparse_index_base_SD_SD_SD_bbb,"axG",@progbits,_ZN9rocsparseL41csrgemm_numeric_fill_block_per_row_kernelILj256ELj32ELj512ELj137ELj64ElldEEvT5_PKS1_S3_NS_24const_host_device_scalarIT6_EEPKT4_S3_PKS5_S9_S3_SB_S6_S9_S3_SB_S9_S3_PS5_21rocsparse_index_base_SD_SD_SD_bbb,comdat
	.globl	_ZN9rocsparseL41csrgemm_numeric_fill_block_per_row_kernelILj256ELj32ELj512ELj137ELj64ElldEEvT5_PKS1_S3_NS_24const_host_device_scalarIT6_EEPKT4_S3_PKS5_S9_S3_SB_S6_S9_S3_SB_S9_S3_PS5_21rocsparse_index_base_SD_SD_SD_bbb ; -- Begin function _ZN9rocsparseL41csrgemm_numeric_fill_block_per_row_kernelILj256ELj32ELj512ELj137ELj64ElldEEvT5_PKS1_S3_NS_24const_host_device_scalarIT6_EEPKT4_S3_PKS5_S9_S3_SB_S6_S9_S3_SB_S9_S3_PS5_21rocsparse_index_base_SD_SD_SD_bbb
	.p2align	8
	.type	_ZN9rocsparseL41csrgemm_numeric_fill_block_per_row_kernelILj256ELj32ELj512ELj137ELj64ElldEEvT5_PKS1_S3_NS_24const_host_device_scalarIT6_EEPKT4_S3_PKS5_S9_S3_SB_S6_S9_S3_SB_S9_S3_PS5_21rocsparse_index_base_SD_SD_SD_bbb,@function
_ZN9rocsparseL41csrgemm_numeric_fill_block_per_row_kernelILj256ELj32ELj512ELj137ELj64ElldEEvT5_PKS1_S3_NS_24const_host_device_scalarIT6_EEPKT4_S3_PKS5_S9_S3_SB_S6_S9_S3_SB_S9_S3_PS5_21rocsparse_index_base_SD_SD_SD_bbb: ; @_ZN9rocsparseL41csrgemm_numeric_fill_block_per_row_kernelILj256ELj32ELj512ELj137ELj64ElldEEvT5_PKS1_S3_NS_24const_host_device_scalarIT6_EEPKT4_S3_PKS5_S9_S3_SB_S6_S9_S3_SB_S9_S3_PS5_21rocsparse_index_base_SD_SD_SD_bbb
; %bb.0:
	s_clause 0x2
	s_load_b32 s6, s[0:1], 0x98
	s_load_b64 s[4:5], s[0:1], 0x18
	s_load_b64 s[2:3], s[0:1], 0x50
	s_wait_kmcnt 0x0
	s_bitcmp1_b32 s6, 0
	s_cselect_b32 s38, -1, 0
	s_bitcmp1_b32 s6, 16
	s_cselect_b32 s7, -1, 0
	s_xor_b32 s8, s38, -1
	s_delay_alu instid0(SALU_CYCLE_1)
	s_or_b32 s10, s7, s8
	s_and_b32 s8, s38, exec_lo
	s_cselect_b32 s9, s5, 0
	s_cselect_b32 s8, s4, 0
	s_and_b32 vcc_lo, exec_lo, s10
	v_mov_b64_e32 v[4:5], s[8:9]
	s_cbranch_vccnz .LBB105_2
; %bb.1:
	v_mov_b32_e32 v1, 0
	flat_load_b64 v[4:5], v1, s[4:5]
.LBB105_2:
	s_load_b128 s[20:23], s[0:1], 0x88
	s_bitcmp1_b32 s6, 8
	s_cselect_b32 s33, -1, 0
	s_delay_alu instid0(SALU_CYCLE_1) | instskip(NEXT) | instid1(SALU_CYCLE_1)
	s_xor_b32 s4, s33, -1
	s_or_b32 s6, s7, s4
	s_and_b32 s4, s33, exec_lo
	s_cselect_b32 s5, s3, 0
	s_cselect_b32 s4, s2, 0
	s_and_b32 vcc_lo, exec_lo, s6
	v_mov_b64_e32 v[2:3], s[4:5]
	s_cbranch_vccnz .LBB105_4
; %bb.3:
	v_mov_b32_e32 v1, 0
	flat_load_b64 v[2:3], v1, s[2:3]
.LBB105_4:
	s_load_b128 s[24:27], s[0:1], 0x0
	v_cmp_gt_u32_e64 s2, 0x200, v0
	v_or_b32_e32 v26, 0xffffff00, v0
	v_lshl_add_u32 v27, v0, 3, 0
	s_and_saveexec_b32 s3, s2
	s_cbranch_execz .LBB105_7
; %bb.5:
	v_mov_b64_e32 v[6:7], 0
	s_wait_kmcnt 0x0
	v_mov_b64_e32 v[8:9], s[24:25]
	v_or_b32_e32 v1, 0xffffff00, v0
	v_lshl_add_u32 v10, v0, 3, 0
	s_mov_b32 s4, 0
.LBB105_6:                              ; =>This Inner Loop Header: Depth=1
	s_delay_alu instid0(VALU_DEP_2) | instskip(SKIP_4) | instid1(SALU_CYCLE_1)
	v_add_co_u32 v1, s5, 0x100, v1
	s_xor_b32 s5, s5, -1
	ds_store_2addr_stride64_b64 v10, v[8:9], v[6:7] offset1:8
	v_add_nc_u32_e32 v10, 0x800, v10
	s_and_b32 s5, exec_lo, s5
	s_or_b32 s4, s5, s4
	s_delay_alu instid0(SALU_CYCLE_1)
	s_and_not1_b32 exec_lo, exec_lo, s4
	s_cbranch_execnz .LBB105_6
.LBB105_7:
	s_or_b32 exec_lo, exec_lo, s3
	s_clause 0x4
	s_load_b64 s[34:35], s[0:1], 0x80
	s_load_b256 s[4:11], s[0:1], 0x58
	s_load_b128 s[28:31], s[0:1], 0x40
	s_load_b64 s[36:37], s[0:1], 0x10
	s_load_b256 s[12:19], s[0:1], 0x20
	s_wait_loadcnt_dscnt 0x0
	s_barrier_signal -1
	s_barrier_wait -1
	s_wait_kmcnt 0x0
	s_load_b64 s[0:1], s[26:27], 0x0
	s_bfe_u32 s3, ttmp6, 0x4000c
	s_wait_xcnt 0x0
	s_and_b32 s26, ttmp6, 15
	s_add_co_i32 s3, s3, 1
	s_getreg_b32 s27, hwreg(HW_REG_IB_STS2, 6, 4)
	s_mul_i32 s3, ttmp9, s3
	s_delay_alu instid0(SALU_CYCLE_1)
	s_add_co_i32 s26, s26, s3
	s_wait_kmcnt 0x0
	s_lshl_b64 s[0:1], s[0:1], 3
	s_cmp_eq_u32 s27, 0
	s_add_nc_u64 s[0:1], s[36:37], s[0:1]
	s_cselect_b32 s3, ttmp9, s26
	s_and_b32 vcc_lo, exec_lo, s38
	s_load_b64 s[26:27], s[0:1], s3 offset:0x0 scale_offset
	s_wait_xcnt 0x0
	s_mov_b32 s1, 0
	s_cbranch_vccz .LBB105_27
; %bb.8:
	s_wait_kmcnt 0x0
	s_lshl_b64 s[36:37], s[26:27], 3
	v_dual_mov_b32 v9, 0 :: v_dual_lshrrev_b32 v8, 5, v0
	s_add_nc_u64 s[12:13], s[12:13], s[36:37]
	s_mov_b32 s0, s20
	s_load_b128 s[36:39], s[12:13], 0x0
	s_mov_b32 s3, exec_lo
	v_sub_nc_u64_e64 v[6:7], v[8:9], s[0:1]
	s_wait_kmcnt 0x0
	s_delay_alu instid0(VALU_DEP_1)
	v_add_nc_u64_e32 v[6:7], s[36:37], v[6:7]
	s_sub_nc_u64 s[12:13], s[38:39], s[0:1]
	s_delay_alu instid0(VALU_DEP_1) | instid1(SALU_CYCLE_1)
	v_cmpx_gt_i64_e64 s[12:13], v[6:7]
	s_cbranch_execz .LBB105_26
; %bb.9:
	v_and_b32_e32 v8, 31, v0
	s_mov_b32 s37, 0
	s_mov_b32 s36, s21
	;; [unrolled: 1-line block ×3, first 2 shown]
	s_delay_alu instid0(VALU_DEP_1)
	v_sub_nc_u64_e64 v[8:9], v[8:9], s[36:37]
	s_branch .LBB105_11
.LBB105_10:                             ;   in Loop: Header=BB105_11 Depth=1
	s_or_b32 exec_lo, exec_lo, s21
	v_add_nc_u64_e32 v[6:7], 8, v[6:7]
	s_delay_alu instid0(VALU_DEP_1) | instskip(SKIP_1) | instid1(SALU_CYCLE_1)
	v_cmp_le_i64_e32 vcc_lo, s[12:13], v[6:7]
	s_or_b32 s20, vcc_lo, s20
	s_and_not1_b32 exec_lo, exec_lo, s20
	s_cbranch_execz .LBB105_26
.LBB105_11:                             ; =>This Loop Header: Depth=1
                                        ;     Child Loop BB105_15 Depth 2
                                        ;       Child Loop BB105_18 Depth 3
	v_lshl_add_u64 v[10:11], v[6:7], 3, s[14:15]
	s_mov_b32 s21, exec_lo
	global_load_b64 v[10:11], v[10:11], off
	s_wait_loadcnt 0x0
	s_wait_xcnt 0x0
	v_sub_nc_u64_e64 v[10:11], v[10:11], s[0:1]
	s_delay_alu instid0(VALU_DEP_1)
	v_lshl_add_u64 v[10:11], v[10:11], 3, s[18:19]
	global_load_b128 v[12:15], v[10:11], off
	s_wait_loadcnt 0x0
	s_wait_xcnt 0x0
	v_sub_nc_u64_e64 v[10:11], v[14:15], s[36:37]
	v_add_nc_u64_e32 v[12:13], v[12:13], v[8:9]
	s_delay_alu instid0(VALU_DEP_1)
	v_cmpx_lt_i64_e64 v[12:13], v[10:11]
	s_cbranch_execz .LBB105_10
; %bb.12:                               ;   in Loop: Header=BB105_11 Depth=1
	v_lshl_add_u64 v[14:15], v[6:7], 3, s[16:17]
	s_mov_b32 s38, 0
	global_load_b64 v[14:15], v[14:15], off
	s_wait_loadcnt 0x0
	s_wait_xcnt 0x0
	v_mul_f64_e32 v[14:15], v[4:5], v[14:15]
	s_branch .LBB105_15
.LBB105_13:                             ;   in Loop: Header=BB105_15 Depth=2
	s_or_b32 exec_lo, exec_lo, s40
.LBB105_14:                             ;   in Loop: Header=BB105_15 Depth=2
	s_delay_alu instid0(SALU_CYCLE_1) | instskip(SKIP_4) | instid1(VALU_DEP_1)
	s_or_b32 exec_lo, exec_lo, s39
	s_wait_loadcnt 0x0
	v_mul_f64_e32 v[16:17], v[14:15], v[16:17]
	v_lshl_add_u32 v1, v18, 3, 0
	v_add_nc_u64_e32 v[12:13], 32, v[12:13]
	v_cmp_ge_i64_e32 vcc_lo, v[12:13], v[10:11]
	s_or_b32 s38, vcc_lo, s38
	ds_add_f64 v1, v[16:17] offset:4096
	s_and_not1_b32 exec_lo, exec_lo, s38
	s_cbranch_execz .LBB105_10
.LBB105_15:                             ;   Parent Loop BB105_11 Depth=1
                                        ; =>  This Loop Header: Depth=2
                                        ;       Child Loop BB105_18 Depth 3
	v_lshlrev_b64_e32 v[16:17], 3, v[12:13]
	s_mov_b32 s39, exec_lo
	s_delay_alu instid0(VALU_DEP_1)
	v_add_nc_u64_e32 v[18:19], s[28:29], v[16:17]
	v_add_nc_u64_e32 v[16:17], s[30:31], v[16:17]
	global_load_b64 v[18:19], v[18:19], off
	global_load_b64 v[16:17], v[16:17], off
	s_wait_loadcnt 0x1
	v_sub_nc_u64_e64 v[20:21], v[18:19], s[36:37]
	s_delay_alu instid0(VALU_DEP_1) | instskip(SKIP_1) | instid1(VALU_DEP_1)
	v_mul_lo_u32 v1, 0x89, v20
	s_wait_xcnt 0x1
	v_and_b32_e32 v18, 0x1ff, v1
	s_delay_alu instid0(VALU_DEP_1)
	v_lshl_add_u32 v1, v18, 3, 0
	ds_load_b64 v[24:25], v1
	s_wait_dscnt 0x0
	s_wait_xcnt 0x0
	v_cmpx_ne_u64_e64 v[24:25], v[20:21]
	s_cbranch_execz .LBB105_14
; %bb.16:                               ;   in Loop: Header=BB105_15 Depth=2
	s_mov_b32 s40, 0
                                        ; implicit-def: $sgpr41
                                        ; implicit-def: $sgpr42
	s_branch .LBB105_18
.LBB105_17:                             ;   in Loop: Header=BB105_18 Depth=3
	s_or_b32 exec_lo, exec_lo, s45
	s_delay_alu instid0(SALU_CYCLE_1) | instskip(NEXT) | instid1(SALU_CYCLE_1)
	s_and_b32 s43, exec_lo, s44
	s_or_b32 s40, s43, s40
	s_and_not1_b32 s41, s41, exec_lo
	s_and_b32 s43, s42, exec_lo
	s_delay_alu instid0(SALU_CYCLE_1)
	s_or_b32 s41, s41, s43
	s_and_not1_b32 exec_lo, exec_lo, s40
	s_cbranch_execz .LBB105_24
.LBB105_18:                             ;   Parent Loop BB105_11 Depth=1
                                        ;     Parent Loop BB105_15 Depth=2
                                        ; =>    This Inner Loop Header: Depth=3
	v_mov_b64_e32 v[22:23], v[18:19]
	s_mov_b32 s43, 0
	s_mov_b32 s44, exec_lo
                                        ; implicit-def: $vgpr18_vgpr19
	v_cmpx_ne_u64_e64 s[24:25], v[24:25]
	s_xor_b32 s44, exec_lo, s44
; %bb.19:                               ;   in Loop: Header=BB105_18 Depth=3
	s_delay_alu instid0(VALU_DEP_2) | instskip(SKIP_1) | instid1(VALU_DEP_1)
	v_add_nc_u32_e32 v1, 1, v22
	s_mov_b32 s43, exec_lo
	v_and_b32_e32 v18, 0x1ff, v1
                                        ; implicit-def: $vgpr1
; %bb.20:                               ;   in Loop: Header=BB105_18 Depth=3
	s_and_not1_saveexec_b32 s44, s44
	s_cbranch_execz .LBB105_22
; %bb.21:                               ;   in Loop: Header=BB105_18 Depth=3
	v_mov_b64_e32 v[18:19], s[24:25]
	s_and_not1_b32 s43, s43, exec_lo
	ds_cmpstore_rtn_b64 v[18:19], v1, v[20:21], v[18:19]
	s_wait_dscnt 0x0
	v_cmp_ne_u64_e32 vcc_lo, s[24:25], v[18:19]
	v_mov_b64_e32 v[18:19], v[22:23]
	s_and_b32 s45, vcc_lo, exec_lo
	s_delay_alu instid0(SALU_CYCLE_1)
	s_or_b32 s43, s43, s45
.LBB105_22:                             ;   in Loop: Header=BB105_18 Depth=3
	s_or_b32 exec_lo, exec_lo, s44
	s_mov_b32 s44, -1
	s_or_b32 s42, s42, exec_lo
                                        ; implicit-def: $vgpr1
                                        ; implicit-def: $vgpr24_vgpr25
	s_and_saveexec_b32 s45, s43
	s_cbranch_execz .LBB105_17
; %bb.23:                               ;   in Loop: Header=BB105_18 Depth=3
	v_lshl_add_u32 v1, v18, 3, 0
	s_and_not1_b32 s42, s42, exec_lo
	ds_load_b64 v[24:25], v1
	s_wait_dscnt 0x0
	v_cmp_eq_u64_e32 vcc_lo, v[24:25], v[20:21]
	s_or_not1_b32 s44, vcc_lo, exec_lo
	s_branch .LBB105_17
.LBB105_24:                             ;   in Loop: Header=BB105_15 Depth=2
	s_or_b32 exec_lo, exec_lo, s40
	s_and_saveexec_b32 s40, s41
	s_delay_alu instid0(SALU_CYCLE_1)
	s_xor_b32 s40, exec_lo, s40
	s_cbranch_execz .LBB105_13
; %bb.25:                               ;   in Loop: Header=BB105_15 Depth=2
	v_mov_b32_e32 v18, v22
	s_branch .LBB105_13
.LBB105_26:
	s_or_b32 exec_lo, exec_lo, s3
.LBB105_27:
	s_delay_alu instid0(SALU_CYCLE_1)
	s_and_not1_b32 vcc_lo, exec_lo, s33
	s_cbranch_vccnz .LBB105_44
; %bb.28:
	s_wait_kmcnt 0x0
	s_lshl_b64 s[0:1], s[26:27], 3
	v_mov_b32_e32 v1, 0
	s_add_nc_u64 s[0:1], s[4:5], s[0:1]
	s_mov_b32 s3, exec_lo
	s_load_b128 s[12:15], s[0:1], 0x0
	s_wait_xcnt 0x0
	s_mov_b32 s1, 0
	s_mov_b32 s0, s23
	s_delay_alu instid0(SALU_CYCLE_1) | instskip(SKIP_1) | instid1(VALU_DEP_1)
	v_sub_nc_u64_e64 v[4:5], v[0:1], s[0:1]
	s_wait_kmcnt 0x0
	v_add_nc_u64_e32 v[4:5], s[12:13], v[4:5]
	s_sub_nc_u64 s[4:5], s[14:15], s[0:1]
	s_delay_alu instid0(VALU_DEP_1) | instid1(SALU_CYCLE_1)
	v_cmpx_gt_i64_e64 s[4:5], v[4:5]
	s_cbranch_execz .LBB105_43
; %bb.29:
	s_mov_b32 s12, s1
	s_branch .LBB105_32
.LBB105_30:                             ;   in Loop: Header=BB105_32 Depth=1
	s_or_b32 exec_lo, exec_lo, s14
.LBB105_31:                             ;   in Loop: Header=BB105_32 Depth=1
	s_delay_alu instid0(SALU_CYCLE_1) | instskip(SKIP_4) | instid1(VALU_DEP_1)
	s_or_b32 exec_lo, exec_lo, s13
	s_wait_loadcnt 0x0
	v_mul_f64_e32 v[6:7], v[2:3], v[6:7]
	v_lshl_add_u32 v1, v8, 3, 0
	v_add_nc_u64_e32 v[4:5], 0x100, v[4:5]
	v_cmp_le_i64_e32 vcc_lo, s[4:5], v[4:5]
	s_or_b32 s12, vcc_lo, s12
	ds_add_f64 v1, v[6:7] offset:4096
	s_and_not1_b32 exec_lo, exec_lo, s12
	s_cbranch_execz .LBB105_43
.LBB105_32:                             ; =>This Loop Header: Depth=1
                                        ;     Child Loop BB105_35 Depth 2
	v_lshlrev_b64_e32 v[6:7], 3, v[4:5]
	s_mov_b32 s13, exec_lo
	s_delay_alu instid0(VALU_DEP_1)
	v_add_nc_u64_e32 v[8:9], s[6:7], v[6:7]
	v_add_nc_u64_e32 v[6:7], s[8:9], v[6:7]
	global_load_b64 v[8:9], v[8:9], off
	global_load_b64 v[6:7], v[6:7], off
	s_wait_loadcnt 0x1
	v_sub_nc_u64_e64 v[10:11], v[8:9], s[0:1]
	s_delay_alu instid0(VALU_DEP_1) | instskip(NEXT) | instid1(VALU_DEP_1)
	v_mul_lo_u32 v1, 0x89, v10
	v_and_b32_e32 v8, 0x1ff, v1
	s_delay_alu instid0(VALU_DEP_1)
	v_lshl_add_u32 v1, v8, 3, 0
	ds_load_b64 v[14:15], v1
	s_wait_dscnt 0x0
	s_wait_xcnt 0x0
	v_cmpx_ne_u64_e64 v[14:15], v[10:11]
	s_cbranch_execz .LBB105_31
; %bb.33:                               ;   in Loop: Header=BB105_32 Depth=1
	s_mov_b32 s14, 0
                                        ; implicit-def: $sgpr15
                                        ; implicit-def: $sgpr16
	s_branch .LBB105_35
.LBB105_34:                             ;   in Loop: Header=BB105_35 Depth=2
	s_or_b32 exec_lo, exec_lo, s19
	s_delay_alu instid0(SALU_CYCLE_1) | instskip(NEXT) | instid1(SALU_CYCLE_1)
	s_and_b32 s17, exec_lo, s18
	s_or_b32 s14, s17, s14
	s_and_not1_b32 s15, s15, exec_lo
	s_and_b32 s17, s16, exec_lo
	s_delay_alu instid0(SALU_CYCLE_1)
	s_or_b32 s15, s15, s17
	s_and_not1_b32 exec_lo, exec_lo, s14
	s_cbranch_execz .LBB105_41
.LBB105_35:                             ;   Parent Loop BB105_32 Depth=1
                                        ; =>  This Inner Loop Header: Depth=2
	v_mov_b64_e32 v[12:13], v[8:9]
	s_mov_b32 s17, 0
	s_mov_b32 s18, exec_lo
                                        ; implicit-def: $vgpr8_vgpr9
	v_cmpx_ne_u64_e64 s[24:25], v[14:15]
	s_xor_b32 s18, exec_lo, s18
; %bb.36:                               ;   in Loop: Header=BB105_35 Depth=2
	s_delay_alu instid0(VALU_DEP_2) | instskip(SKIP_1) | instid1(VALU_DEP_1)
	v_add_nc_u32_e32 v1, 1, v12
	s_mov_b32 s17, exec_lo
	v_and_b32_e32 v8, 0x1ff, v1
                                        ; implicit-def: $vgpr1
; %bb.37:                               ;   in Loop: Header=BB105_35 Depth=2
	s_and_not1_saveexec_b32 s18, s18
	s_cbranch_execz .LBB105_39
; %bb.38:                               ;   in Loop: Header=BB105_35 Depth=2
	v_mov_b64_e32 v[8:9], s[24:25]
	s_and_not1_b32 s17, s17, exec_lo
	ds_cmpstore_rtn_b64 v[8:9], v1, v[10:11], v[8:9]
	s_wait_dscnt 0x0
	v_cmp_ne_u64_e32 vcc_lo, s[24:25], v[8:9]
	v_mov_b64_e32 v[8:9], v[12:13]
	s_and_b32 s19, vcc_lo, exec_lo
	s_delay_alu instid0(SALU_CYCLE_1)
	s_or_b32 s17, s17, s19
.LBB105_39:                             ;   in Loop: Header=BB105_35 Depth=2
	s_or_b32 exec_lo, exec_lo, s18
	s_mov_b32 s18, -1
	s_or_b32 s16, s16, exec_lo
                                        ; implicit-def: $vgpr1
                                        ; implicit-def: $vgpr14_vgpr15
	s_and_saveexec_b32 s19, s17
	s_cbranch_execz .LBB105_34
; %bb.40:                               ;   in Loop: Header=BB105_35 Depth=2
	v_lshl_add_u32 v1, v8, 3, 0
	s_and_not1_b32 s16, s16, exec_lo
	ds_load_b64 v[14:15], v1
	s_wait_dscnt 0x0
	v_cmp_eq_u64_e32 vcc_lo, v[14:15], v[10:11]
	s_or_not1_b32 s18, vcc_lo, exec_lo
	s_branch .LBB105_34
.LBB105_41:                             ;   in Loop: Header=BB105_32 Depth=1
	s_or_b32 exec_lo, exec_lo, s14
	s_and_saveexec_b32 s14, s15
	s_delay_alu instid0(SALU_CYCLE_1)
	s_xor_b32 s14, exec_lo, s14
	s_cbranch_execz .LBB105_30
; %bb.42:                               ;   in Loop: Header=BB105_32 Depth=1
	v_mov_b32_e32 v8, v12
	s_branch .LBB105_30
.LBB105_43:
	s_or_b32 exec_lo, exec_lo, s3
.LBB105_44:
	s_wait_dscnt 0x0
	s_barrier_signal -1
	s_barrier_wait -1
	s_and_saveexec_b32 s4, s2
	s_cbranch_execz .LBB105_57
; %bb.45:
	v_mbcnt_lo_u32_b32 v1, -1, 0
	v_dual_mov_b32 v7, 0 :: v_dual_lshrrev_b32 v2, 3, v0
	v_mov_b64_e32 v[8:9], 0
	v_cmp_lt_u32_e64 s0, 63, v0
	s_delay_alu instid0(VALU_DEP_4) | instskip(NEXT) | instid1(VALU_DEP_4)
	v_xor_b32_e32 v1, 31, v1
	v_and_b32_e32 v2, 24, v2
	v_cmp_lt_u32_e64 s1, 0x7f, v0
	v_cmp_lt_u32_e64 s2, 0xbf, v0
	s_mov_b32 s5, 0
	v_lshrrev_b32_e64 v10, v1, -1
	v_add_nc_u32_e32 v1, 0, v2
	v_cmp_eq_u32_e32 vcc_lo, 0xff, v0
	s_branch .LBB105_47
.LBB105_46:                             ;   in Loop: Header=BB105_47 Depth=1
	s_or_b32 exec_lo, exec_lo, s3
	s_wait_dscnt 0x0
	s_barrier_signal -1
	s_barrier_wait -1
	ds_load_b64 v[2:3], v7 offset:8216
	v_add_co_u32 v26, s3, 0x100, v26
	s_xor_b32 s3, s3, -1
	v_add_nc_u32_e32 v27, 0x800, v27
	s_and_b32 s3, exec_lo, s3
	s_delay_alu instid0(SALU_CYCLE_1)
	s_or_b32 s5, s3, s5
	s_wait_dscnt 0x0
	v_add_nc_u64_e32 v[8:9], v[2:3], v[8:9]
	s_and_not1_b32 exec_lo, exec_lo, s5
	s_cbranch_execz .LBB105_57
.LBB105_47:                             ; =>This Inner Loop Header: Depth=1
	ds_load_2addr_stride64_b64 v[2:5], v27 offset1:8
	s_wait_dscnt 0x0
	s_barrier_signal -1
	s_barrier_wait -1
	v_cmp_gt_i64_e64 s3, s[24:25], v[2:3]
	s_bcnt1_i32_b32 s6, s3
	s_delay_alu instid0(SALU_CYCLE_1) | instskip(NEXT) | instid1(VALU_DEP_1)
	v_dual_mov_b32 v6, s6 :: v_dual_bitop2_b32 v11, s3, v10 bitop3:0x40
	v_bcnt_u32_b32 v12, v11, 0
	ds_store_b64 v1, v[6:7] offset:8192
	s_wait_dscnt 0x0
	s_barrier_signal -1
	s_barrier_wait -1
	s_and_saveexec_b32 s6, s0
	s_cbranch_execnz .LBB105_52
; %bb.48:                               ;   in Loop: Header=BB105_47 Depth=1
	s_or_b32 exec_lo, exec_lo, s6
	s_and_saveexec_b32 s6, s1
	s_cbranch_execnz .LBB105_53
.LBB105_49:                             ;   in Loop: Header=BB105_47 Depth=1
	s_or_b32 exec_lo, exec_lo, s6
	s_and_saveexec_b32 s6, s2
	s_cbranch_execnz .LBB105_54
.LBB105_50:                             ;   in Loop: Header=BB105_47 Depth=1
	s_or_b32 exec_lo, exec_lo, s6
	v_ashrrev_i32_e32 v13, 31, v12
	s_and_saveexec_b32 s6, s3
	s_cbranch_execnz .LBB105_55
.LBB105_51:                             ;   in Loop: Header=BB105_47 Depth=1
	s_or_b32 exec_lo, exec_lo, s6
	s_and_saveexec_b32 s3, vcc_lo
	s_cbranch_execz .LBB105_46
	s_branch .LBB105_56
.LBB105_52:                             ;   in Loop: Header=BB105_47 Depth=1
	ds_load_b32 v6, v7 offset:8192
	s_wait_dscnt 0x0
	v_add_nc_u32_e32 v12, v6, v12
	s_or_b32 exec_lo, exec_lo, s6
	s_and_saveexec_b32 s6, s1
	s_cbranch_execz .LBB105_49
.LBB105_53:                             ;   in Loop: Header=BB105_47 Depth=1
	ds_load_b32 v6, v7 offset:8200
	s_wait_dscnt 0x0
	v_add_nc_u32_e32 v12, v12, v6
	s_or_b32 exec_lo, exec_lo, s6
	s_and_saveexec_b32 s6, s2
	s_cbranch_execz .LBB105_50
.LBB105_54:                             ;   in Loop: Header=BB105_47 Depth=1
	ds_load_b32 v6, v7 offset:8208
	s_wait_dscnt 0x0
	v_add_nc_u32_e32 v12, v12, v6
	s_or_b32 exec_lo, exec_lo, s6
	s_delay_alu instid0(VALU_DEP_1)
	v_ashrrev_i32_e32 v13, 31, v12
	s_and_saveexec_b32 s6, s3
	s_cbranch_execz .LBB105_51
.LBB105_55:                             ;   in Loop: Header=BB105_47 Depth=1
	v_add3_u32 v6, v8, -1, v12
	v_add_nc_u32_e32 v11, v8, v12
	s_delay_alu instid0(VALU_DEP_2) | instskip(NEXT) | instid1(VALU_DEP_2)
	v_lshl_add_u32 v6, v6, 3, 0
	v_lshl_add_u32 v11, v11, 3, 0
	ds_store_b64 v6, v[2:3]
	ds_store_b64 v11, v[4:5] offset:4088
	s_or_b32 exec_lo, exec_lo, s6
	s_and_saveexec_b32 s3, vcc_lo
	s_cbranch_execz .LBB105_46
.LBB105_56:                             ;   in Loop: Header=BB105_47 Depth=1
	ds_store_b64 v7, v[12:13] offset:8216
	s_branch .LBB105_46
.LBB105_57:
	s_or_b32 exec_lo, exec_lo, s4
	s_wait_kmcnt 0x0
	s_lshl_b64 s[0:1], s[26:27], 3
	v_mov_b32_e32 v1, 0
	s_add_nc_u64 s[4:5], s[10:11], s[0:1]
	s_mov_b32 s6, exec_lo
	s_load_b128 s[0:3], s[4:5], 0x0
	s_wait_kmcnt 0x0
	s_sub_nc_u64 s[4:5], s[2:3], s[0:1]
	s_delay_alu instid0(SALU_CYCLE_1)
	v_cmpx_gt_i64_e64 s[4:5], v[0:1]
	s_cbranch_execz .LBB105_67
; %bb.58:
	s_sub_nc_u64 s[8:9], s[0:1], s[2:3]
	s_and_b64 s[6:7], s[4:5], 7
	v_cmp_lt_u64_e64 s10, s[8:9], -7
	s_and_b64 s[2:3], s[4:5], -8
	s_mov_b32 s23, 0
	s_cmp_lg_u64 s[6:7], 0
	s_sub_nc_u64 s[0:1], s[0:1], s[22:23]
	s_cselect_b32 s11, -1, 0
	s_mov_b32 s12, 0
	s_branch .LBB105_60
.LBB105_59:                             ;   in Loop: Header=BB105_60 Depth=1
	v_add_nc_u64_e32 v[0:1], 0x100, v[0:1]
	s_wait_dscnt 0x0
	s_delay_alu instid0(VALU_DEP_2)
	v_lshl_add_u64 v[2:3], v[6:7], 3, s[34:35]
	global_store_b64 v[2:3], v[4:5], off
	v_cmp_le_i64_e32 vcc_lo, s[4:5], v[0:1]
	s_or_b32 s12, vcc_lo, s12
	s_wait_xcnt 0x0
	s_and_not1_b32 exec_lo, exec_lo, s12
	s_cbranch_execz .LBB105_67
.LBB105_60:                             ; =>This Loop Header: Depth=1
                                        ;     Child Loop BB105_62 Depth 2
                                        ;     Child Loop BB105_66 Depth 2
	v_lshl_add_u32 v2, v0, 3, 0
	v_mov_b64_e32 v[6:7], s[0:1]
	s_and_not1_b32 vcc_lo, exec_lo, s10
	s_mov_b64 s[8:9], 0
	ds_load_2addr_stride64_b64 v[2:5], v2 offset1:8
	s_cbranch_vccnz .LBB105_64
; %bb.61:                               ;   in Loop: Header=BB105_60 Depth=1
	v_mov_b64_e32 v[6:7], s[0:1]
	s_mov_b32 s13, 0
.LBB105_62:                             ;   Parent Loop BB105_60 Depth=1
                                        ; =>  This Inner Loop Header: Depth=2
	s_delay_alu instid0(SALU_CYCLE_1)
	v_dual_mov_b32 v20, s13 :: v_dual_mov_b32 v17, s23
	v_mov_b32_e32 v19, s23
	s_add_nc_u64 s[8:9], s[8:9], 8
	s_add_co_i32 s13, s13, 64
	ds_load_2addr_b64 v[8:11], v20 offset1:1
	ds_load_2addr_b64 v[12:15], v20 offset0:2 offset1:3
	s_cmp_eq_u64 s[2:3], s[8:9]
	s_wait_dscnt 0x1
	v_cmp_gt_i64_e32 vcc_lo, v[2:3], v[8:9]
	v_cndmask_b32_e64 v16, 0, 1, vcc_lo
	v_cmp_gt_i64_e32 vcc_lo, v[2:3], v[10:11]
	s_delay_alu instid0(VALU_DEP_2) | instskip(SKIP_4) | instid1(VALU_DEP_2)
	v_add_nc_u64_e32 v[10:11], v[6:7], v[16:17]
	ds_load_2addr_b64 v[6:9], v20 offset0:4 offset1:5
	v_cndmask_b32_e64 v18, 0, 1, vcc_lo
	s_wait_dscnt 0x1
	v_cmp_gt_i64_e32 vcc_lo, v[2:3], v[12:13]
	v_add_nc_u64_e32 v[10:11], v[10:11], v[18:19]
	v_cndmask_b32_e64 v16, 0, 1, vcc_lo
	v_cmp_gt_i64_e32 vcc_lo, v[2:3], v[14:15]
	s_delay_alu instid0(VALU_DEP_2)
	v_add_nc_u64_e32 v[14:15], v[10:11], v[16:17]
	ds_load_2addr_b64 v[10:13], v20 offset0:6 offset1:7
	v_cndmask_b32_e64 v18, 0, 1, vcc_lo
	s_wait_dscnt 0x1
	v_cmp_gt_i64_e32 vcc_lo, v[2:3], v[6:7]
	v_mov_b32_e32 v7, s23
	s_delay_alu instid0(VALU_DEP_3) | instskip(SKIP_3) | instid1(VALU_DEP_3)
	v_add_nc_u64_e32 v[14:15], v[14:15], v[18:19]
	v_cndmask_b32_e64 v16, 0, 1, vcc_lo
	v_cmp_gt_i64_e32 vcc_lo, v[2:3], v[8:9]
	v_mov_b32_e32 v9, s23
	v_add_nc_u64_e32 v[14:15], v[14:15], v[16:17]
	v_cndmask_b32_e64 v6, 0, 1, vcc_lo
	s_wait_dscnt 0x0
	v_cmp_gt_i64_e32 vcc_lo, v[2:3], v[10:11]
	v_mov_b32_e32 v11, s23
	s_delay_alu instid0(VALU_DEP_3) | instskip(SKIP_2) | instid1(VALU_DEP_2)
	v_add_nc_u64_e32 v[6:7], v[14:15], v[6:7]
	v_cndmask_b32_e64 v8, 0, 1, vcc_lo
	v_cmp_gt_i64_e32 vcc_lo, v[2:3], v[12:13]
	v_add_nc_u64_e32 v[6:7], v[6:7], v[8:9]
	v_cndmask_b32_e64 v10, 0, 1, vcc_lo
	s_delay_alu instid0(VALU_DEP_1)
	v_add_nc_u64_e32 v[6:7], v[6:7], v[10:11]
	s_cbranch_scc0 .LBB105_62
; %bb.63:                               ;   in Loop: Header=BB105_60 Depth=1
	s_mov_b64 s[8:9], s[2:3]
.LBB105_64:                             ;   in Loop: Header=BB105_60 Depth=1
	s_and_not1_b32 vcc_lo, exec_lo, s11
	s_cbranch_vccnz .LBB105_59
; %bb.65:                               ;   in Loop: Header=BB105_60 Depth=1
	s_lshl_b32 s8, s8, 3
	s_delay_alu instid0(SALU_CYCLE_1)
	s_add_co_i32 s13, s8, 0
	s_mov_b64 s[8:9], s[6:7]
.LBB105_66:                             ;   Parent Loop BB105_60 Depth=1
                                        ; =>  This Inner Loop Header: Depth=2
	v_dual_mov_b32 v8, s13 :: v_dual_mov_b32 v11, s23
	s_add_nc_u64 s[8:9], s[8:9], -1
	s_add_co_i32 s13, s13, 8
	s_cmp_lg_u64 s[8:9], 0
	ds_load_b64 v[8:9], v8
	s_wait_dscnt 0x0
	v_cmp_gt_i64_e32 vcc_lo, v[2:3], v[8:9]
	v_cndmask_b32_e64 v10, 0, 1, vcc_lo
	s_delay_alu instid0(VALU_DEP_1)
	v_add_nc_u64_e32 v[6:7], v[6:7], v[10:11]
	s_cbranch_scc1 .LBB105_66
	s_branch .LBB105_59
.LBB105_67:
	s_endpgm
	.section	.rodata,"a",@progbits
	.p2align	6, 0x0
	.amdhsa_kernel _ZN9rocsparseL41csrgemm_numeric_fill_block_per_row_kernelILj256ELj32ELj512ELj137ELj64ElldEEvT5_PKS1_S3_NS_24const_host_device_scalarIT6_EEPKT4_S3_PKS5_S9_S3_SB_S6_S9_S3_SB_S9_S3_PS5_21rocsparse_index_base_SD_SD_SD_bbb
		.amdhsa_group_segment_fixed_size 0
		.amdhsa_private_segment_fixed_size 0
		.amdhsa_kernarg_size 156
		.amdhsa_user_sgpr_count 2
		.amdhsa_user_sgpr_dispatch_ptr 0
		.amdhsa_user_sgpr_queue_ptr 0
		.amdhsa_user_sgpr_kernarg_segment_ptr 1
		.amdhsa_user_sgpr_dispatch_id 0
		.amdhsa_user_sgpr_kernarg_preload_length 0
		.amdhsa_user_sgpr_kernarg_preload_offset 0
		.amdhsa_user_sgpr_private_segment_size 0
		.amdhsa_wavefront_size32 1
		.amdhsa_uses_dynamic_stack 0
		.amdhsa_enable_private_segment 0
		.amdhsa_system_sgpr_workgroup_id_x 1
		.amdhsa_system_sgpr_workgroup_id_y 0
		.amdhsa_system_sgpr_workgroup_id_z 0
		.amdhsa_system_sgpr_workgroup_info 0
		.amdhsa_system_vgpr_workitem_id 0
		.amdhsa_next_free_vgpr 28
		.amdhsa_next_free_sgpr 46
		.amdhsa_named_barrier_count 0
		.amdhsa_reserve_vcc 1
		.amdhsa_float_round_mode_32 0
		.amdhsa_float_round_mode_16_64 0
		.amdhsa_float_denorm_mode_32 3
		.amdhsa_float_denorm_mode_16_64 3
		.amdhsa_fp16_overflow 0
		.amdhsa_memory_ordered 1
		.amdhsa_forward_progress 1
		.amdhsa_inst_pref_size 21
		.amdhsa_round_robin_scheduling 0
		.amdhsa_exception_fp_ieee_invalid_op 0
		.amdhsa_exception_fp_denorm_src 0
		.amdhsa_exception_fp_ieee_div_zero 0
		.amdhsa_exception_fp_ieee_overflow 0
		.amdhsa_exception_fp_ieee_underflow 0
		.amdhsa_exception_fp_ieee_inexact 0
		.amdhsa_exception_int_div_zero 0
	.end_amdhsa_kernel
	.section	.text._ZN9rocsparseL41csrgemm_numeric_fill_block_per_row_kernelILj256ELj32ELj512ELj137ELj64ElldEEvT5_PKS1_S3_NS_24const_host_device_scalarIT6_EEPKT4_S3_PKS5_S9_S3_SB_S6_S9_S3_SB_S9_S3_PS5_21rocsparse_index_base_SD_SD_SD_bbb,"axG",@progbits,_ZN9rocsparseL41csrgemm_numeric_fill_block_per_row_kernelILj256ELj32ELj512ELj137ELj64ElldEEvT5_PKS1_S3_NS_24const_host_device_scalarIT6_EEPKT4_S3_PKS5_S9_S3_SB_S6_S9_S3_SB_S9_S3_PS5_21rocsparse_index_base_SD_SD_SD_bbb,comdat
.Lfunc_end105:
	.size	_ZN9rocsparseL41csrgemm_numeric_fill_block_per_row_kernelILj256ELj32ELj512ELj137ELj64ElldEEvT5_PKS1_S3_NS_24const_host_device_scalarIT6_EEPKT4_S3_PKS5_S9_S3_SB_S6_S9_S3_SB_S9_S3_PS5_21rocsparse_index_base_SD_SD_SD_bbb, .Lfunc_end105-_ZN9rocsparseL41csrgemm_numeric_fill_block_per_row_kernelILj256ELj32ELj512ELj137ELj64ElldEEvT5_PKS1_S3_NS_24const_host_device_scalarIT6_EEPKT4_S3_PKS5_S9_S3_SB_S6_S9_S3_SB_S9_S3_PS5_21rocsparse_index_base_SD_SD_SD_bbb
                                        ; -- End function
	.set _ZN9rocsparseL41csrgemm_numeric_fill_block_per_row_kernelILj256ELj32ELj512ELj137ELj64ElldEEvT5_PKS1_S3_NS_24const_host_device_scalarIT6_EEPKT4_S3_PKS5_S9_S3_SB_S6_S9_S3_SB_S9_S3_PS5_21rocsparse_index_base_SD_SD_SD_bbb.num_vgpr, 28
	.set _ZN9rocsparseL41csrgemm_numeric_fill_block_per_row_kernelILj256ELj32ELj512ELj137ELj64ElldEEvT5_PKS1_S3_NS_24const_host_device_scalarIT6_EEPKT4_S3_PKS5_S9_S3_SB_S6_S9_S3_SB_S9_S3_PS5_21rocsparse_index_base_SD_SD_SD_bbb.num_agpr, 0
	.set _ZN9rocsparseL41csrgemm_numeric_fill_block_per_row_kernelILj256ELj32ELj512ELj137ELj64ElldEEvT5_PKS1_S3_NS_24const_host_device_scalarIT6_EEPKT4_S3_PKS5_S9_S3_SB_S6_S9_S3_SB_S9_S3_PS5_21rocsparse_index_base_SD_SD_SD_bbb.numbered_sgpr, 46
	.set _ZN9rocsparseL41csrgemm_numeric_fill_block_per_row_kernelILj256ELj32ELj512ELj137ELj64ElldEEvT5_PKS1_S3_NS_24const_host_device_scalarIT6_EEPKT4_S3_PKS5_S9_S3_SB_S6_S9_S3_SB_S9_S3_PS5_21rocsparse_index_base_SD_SD_SD_bbb.num_named_barrier, 0
	.set _ZN9rocsparseL41csrgemm_numeric_fill_block_per_row_kernelILj256ELj32ELj512ELj137ELj64ElldEEvT5_PKS1_S3_NS_24const_host_device_scalarIT6_EEPKT4_S3_PKS5_S9_S3_SB_S6_S9_S3_SB_S9_S3_PS5_21rocsparse_index_base_SD_SD_SD_bbb.private_seg_size, 0
	.set _ZN9rocsparseL41csrgemm_numeric_fill_block_per_row_kernelILj256ELj32ELj512ELj137ELj64ElldEEvT5_PKS1_S3_NS_24const_host_device_scalarIT6_EEPKT4_S3_PKS5_S9_S3_SB_S6_S9_S3_SB_S9_S3_PS5_21rocsparse_index_base_SD_SD_SD_bbb.uses_vcc, 1
	.set _ZN9rocsparseL41csrgemm_numeric_fill_block_per_row_kernelILj256ELj32ELj512ELj137ELj64ElldEEvT5_PKS1_S3_NS_24const_host_device_scalarIT6_EEPKT4_S3_PKS5_S9_S3_SB_S6_S9_S3_SB_S9_S3_PS5_21rocsparse_index_base_SD_SD_SD_bbb.uses_flat_scratch, 0
	.set _ZN9rocsparseL41csrgemm_numeric_fill_block_per_row_kernelILj256ELj32ELj512ELj137ELj64ElldEEvT5_PKS1_S3_NS_24const_host_device_scalarIT6_EEPKT4_S3_PKS5_S9_S3_SB_S6_S9_S3_SB_S9_S3_PS5_21rocsparse_index_base_SD_SD_SD_bbb.has_dyn_sized_stack, 0
	.set _ZN9rocsparseL41csrgemm_numeric_fill_block_per_row_kernelILj256ELj32ELj512ELj137ELj64ElldEEvT5_PKS1_S3_NS_24const_host_device_scalarIT6_EEPKT4_S3_PKS5_S9_S3_SB_S6_S9_S3_SB_S9_S3_PS5_21rocsparse_index_base_SD_SD_SD_bbb.has_recursion, 0
	.set _ZN9rocsparseL41csrgemm_numeric_fill_block_per_row_kernelILj256ELj32ELj512ELj137ELj64ElldEEvT5_PKS1_S3_NS_24const_host_device_scalarIT6_EEPKT4_S3_PKS5_S9_S3_SB_S6_S9_S3_SB_S9_S3_PS5_21rocsparse_index_base_SD_SD_SD_bbb.has_indirect_call, 0
	.section	.AMDGPU.csdata,"",@progbits
; Kernel info:
; codeLenInByte = 2664
; TotalNumSgprs: 48
; NumVgprs: 28
; ScratchSize: 0
; MemoryBound: 0
; FloatMode: 240
; IeeeMode: 1
; LDSByteSize: 0 bytes/workgroup (compile time only)
; SGPRBlocks: 0
; VGPRBlocks: 1
; NumSGPRsForWavesPerEU: 48
; NumVGPRsForWavesPerEU: 28
; NamedBarCnt: 0
; Occupancy: 16
; WaveLimiterHint : 1
; COMPUTE_PGM_RSRC2:SCRATCH_EN: 0
; COMPUTE_PGM_RSRC2:USER_SGPR: 2
; COMPUTE_PGM_RSRC2:TRAP_HANDLER: 0
; COMPUTE_PGM_RSRC2:TGID_X_EN: 1
; COMPUTE_PGM_RSRC2:TGID_Y_EN: 0
; COMPUTE_PGM_RSRC2:TGID_Z_EN: 0
; COMPUTE_PGM_RSRC2:TIDIG_COMP_CNT: 0
	.section	.text._ZN9rocsparseL41csrgemm_numeric_fill_block_per_row_kernelILj512ELj32ELj1024ELj137ELj32ElldEEvT5_PKS1_S3_NS_24const_host_device_scalarIT6_EEPKT4_S3_PKS5_S9_S3_SB_S6_S9_S3_SB_S9_S3_PS5_21rocsparse_index_base_SD_SD_SD_bbb,"axG",@progbits,_ZN9rocsparseL41csrgemm_numeric_fill_block_per_row_kernelILj512ELj32ELj1024ELj137ELj32ElldEEvT5_PKS1_S3_NS_24const_host_device_scalarIT6_EEPKT4_S3_PKS5_S9_S3_SB_S6_S9_S3_SB_S9_S3_PS5_21rocsparse_index_base_SD_SD_SD_bbb,comdat
	.globl	_ZN9rocsparseL41csrgemm_numeric_fill_block_per_row_kernelILj512ELj32ELj1024ELj137ELj32ElldEEvT5_PKS1_S3_NS_24const_host_device_scalarIT6_EEPKT4_S3_PKS5_S9_S3_SB_S6_S9_S3_SB_S9_S3_PS5_21rocsparse_index_base_SD_SD_SD_bbb ; -- Begin function _ZN9rocsparseL41csrgemm_numeric_fill_block_per_row_kernelILj512ELj32ELj1024ELj137ELj32ElldEEvT5_PKS1_S3_NS_24const_host_device_scalarIT6_EEPKT4_S3_PKS5_S9_S3_SB_S6_S9_S3_SB_S9_S3_PS5_21rocsparse_index_base_SD_SD_SD_bbb
	.p2align	8
	.type	_ZN9rocsparseL41csrgemm_numeric_fill_block_per_row_kernelILj512ELj32ELj1024ELj137ELj32ElldEEvT5_PKS1_S3_NS_24const_host_device_scalarIT6_EEPKT4_S3_PKS5_S9_S3_SB_S6_S9_S3_SB_S9_S3_PS5_21rocsparse_index_base_SD_SD_SD_bbb,@function
_ZN9rocsparseL41csrgemm_numeric_fill_block_per_row_kernelILj512ELj32ELj1024ELj137ELj32ElldEEvT5_PKS1_S3_NS_24const_host_device_scalarIT6_EEPKT4_S3_PKS5_S9_S3_SB_S6_S9_S3_SB_S9_S3_PS5_21rocsparse_index_base_SD_SD_SD_bbb: ; @_ZN9rocsparseL41csrgemm_numeric_fill_block_per_row_kernelILj512ELj32ELj1024ELj137ELj32ElldEEvT5_PKS1_S3_NS_24const_host_device_scalarIT6_EEPKT4_S3_PKS5_S9_S3_SB_S6_S9_S3_SB_S9_S3_PS5_21rocsparse_index_base_SD_SD_SD_bbb
; %bb.0:
	s_clause 0x3
	s_load_b32 s6, s[0:1], 0x98
	s_load_b64 s[2:3], s[0:1], 0x18
	s_load_b128 s[20:23], s[0:1], 0x88
	s_load_b64 s[4:5], s[0:1], 0x50
	s_wait_kmcnt 0x0
	s_bitcmp1_b32 s6, 0
	s_cselect_b32 s36, -1, 0
	s_bitcmp1_b32 s6, 16
	s_cselect_b32 s7, -1, 0
	s_xor_b32 s8, s36, -1
	s_delay_alu instid0(SALU_CYCLE_1)
	s_or_b32 s10, s7, s8
	s_and_b32 s8, s36, exec_lo
	s_cselect_b32 s9, s3, 0
	s_cselect_b32 s8, s2, 0
	s_and_b32 vcc_lo, exec_lo, s10
	v_mov_b64_e32 v[6:7], s[8:9]
	s_cbranch_vccnz .LBB106_2
; %bb.1:
	v_mov_b32_e32 v1, 0
	flat_load_b64 v[6:7], v1, s[2:3]
.LBB106_2:
	s_wait_xcnt 0x0
	s_load_b64 s[2:3], s[0:1], 0x8
	s_bitcmp1_b32 s6, 8
	s_cselect_b32 s33, -1, 0
	s_delay_alu instid0(SALU_CYCLE_1) | instskip(NEXT) | instid1(SALU_CYCLE_1)
	s_xor_b32 s6, s33, -1
	s_or_b32 s8, s7, s6
	s_and_b32 s6, s33, exec_lo
	s_cselect_b32 s7, s5, 0
	s_cselect_b32 s6, s4, 0
	s_and_b32 vcc_lo, exec_lo, s8
	v_mov_b64_e32 v[2:3], s[6:7]
	s_cbranch_vccnz .LBB106_4
; %bb.3:
	v_mov_b32_e32 v1, 0
	flat_load_b64 v[2:3], v1, s[4:5]
.LBB106_4:
	s_clause 0x5
	s_load_b64 s[30:31], s[0:1], 0x0
	s_load_b64 s[34:35], s[0:1], 0x10
	;; [unrolled: 1-line block ×3, first 2 shown]
	s_load_b256 s[12:19], s[0:1], 0x58
	s_load_b128 s[24:27], s[0:1], 0x40
	s_load_b256 s[4:11], s[0:1], 0x20
	v_lshl_add_u32 v28, v0, 3, 0
	v_or_b32_e32 v29, 0xfffffe00, v0
	v_mov_b64_e32 v[4:5], 0
	s_wait_xcnt 0x0
	s_mov_b32 s0, 0
	s_delay_alu instid0(VALU_DEP_2)
	v_dual_mov_b32 v1, v28 :: v_dual_mov_b32 v10, v29
	s_wait_kmcnt 0x0
	v_mov_b64_e32 v[8:9], s[30:31]
.LBB106_5:                              ; =>This Inner Loop Header: Depth=1
	s_delay_alu instid0(VALU_DEP_2) | instskip(SKIP_4) | instid1(SALU_CYCLE_1)
	v_add_co_u32 v10, s1, 0x200, v10
	s_xor_b32 s1, s1, -1
	ds_store_2addr_stride64_b64 v1, v[8:9], v[4:5] offset1:16
	v_add_nc_u32_e32 v1, 0x1000, v1
	s_and_b32 s1, exec_lo, s1
	s_or_b32 s0, s1, s0
	s_delay_alu instid0(SALU_CYCLE_1)
	s_and_not1_b32 exec_lo, exec_lo, s0
	s_cbranch_execnz .LBB106_5
; %bb.6:
	s_or_b32 exec_lo, exec_lo, s0
	s_wait_loadcnt_dscnt 0x0
	s_barrier_signal -1
	s_barrier_wait -1
	s_load_b64 s[0:1], s[2:3], 0x0
	s_wait_xcnt 0x0
	s_bfe_u32 s2, ttmp6, 0x4000c
	s_and_b32 s3, ttmp6, 15
	s_add_co_i32 s2, s2, 1
	s_getreg_b32 s37, hwreg(HW_REG_IB_STS2, 6, 4)
	s_mul_i32 s2, ttmp9, s2
	v_lshrrev_b32_e32 v4, 5, v0
	s_add_co_i32 s3, s3, s2
	s_wait_kmcnt 0x0
	s_lshl_b64 s[0:1], s[0:1], 3
	s_cmp_eq_u32 s37, 0
	s_add_nc_u64 s[0:1], s[34:35], s[0:1]
	s_cselect_b32 s2, ttmp9, s3
	s_and_b32 vcc_lo, exec_lo, s36
	s_load_b64 s[34:35], s[0:1], s2 offset:0x0 scale_offset
	s_wait_xcnt 0x0
	s_mov_b32 s1, 0
	s_cbranch_vccz .LBB106_26
; %bb.7:
	s_wait_kmcnt 0x0
	s_lshl_b64 s[2:3], s[34:35], 3
	v_mov_b32_e32 v5, 0
	s_add_nc_u64 s[2:3], s[4:5], s[2:3]
	s_mov_b32 s0, s20
	s_load_b128 s[36:39], s[2:3], 0x0
	s_mov_b32 s20, exec_lo
	v_sub_nc_u64_e64 v[8:9], v[4:5], s[0:1]
	s_wait_kmcnt 0x0
	s_delay_alu instid0(VALU_DEP_1)
	v_add_nc_u64_e32 v[8:9], s[36:37], v[8:9]
	s_sub_nc_u64 s[2:3], s[38:39], s[0:1]
	s_delay_alu instid0(VALU_DEP_1) | instid1(SALU_CYCLE_1)
	v_cmpx_gt_i64_e64 s[2:3], v[8:9]
	s_cbranch_execz .LBB106_25
; %bb.8:
	v_dual_mov_b32 v11, v5 :: v_dual_bitop2_b32 v10, 31, v0 bitop3:0x40
	s_mov_b32 s5, 0
	s_mov_b32 s4, s21
	;; [unrolled: 1-line block ×3, first 2 shown]
	s_delay_alu instid0(VALU_DEP_1)
	v_sub_nc_u64_e64 v[10:11], v[10:11], s[4:5]
	s_branch .LBB106_10
.LBB106_9:                              ;   in Loop: Header=BB106_10 Depth=1
	s_or_b32 exec_lo, exec_lo, s36
	v_add_nc_u64_e32 v[8:9], 16, v[8:9]
	s_delay_alu instid0(VALU_DEP_1) | instskip(SKIP_1) | instid1(SALU_CYCLE_1)
	v_cmp_le_i64_e32 vcc_lo, s[2:3], v[8:9]
	s_or_b32 s21, vcc_lo, s21
	s_and_not1_b32 exec_lo, exec_lo, s21
	s_cbranch_execz .LBB106_25
.LBB106_10:                             ; =>This Loop Header: Depth=1
                                        ;     Child Loop BB106_14 Depth 2
                                        ;       Child Loop BB106_17 Depth 3
	v_lshl_add_u64 v[12:13], v[8:9], 3, s[6:7]
	s_mov_b32 s36, exec_lo
	global_load_b64 v[12:13], v[12:13], off
	s_wait_loadcnt 0x0
	s_wait_xcnt 0x0
	v_sub_nc_u64_e64 v[12:13], v[12:13], s[0:1]
	s_delay_alu instid0(VALU_DEP_1)
	v_lshl_add_u64 v[12:13], v[12:13], 3, s[10:11]
	global_load_b128 v[14:17], v[12:13], off
	s_wait_loadcnt 0x0
	s_wait_xcnt 0x0
	v_sub_nc_u64_e64 v[12:13], v[16:17], s[4:5]
	v_add_nc_u64_e32 v[14:15], v[14:15], v[10:11]
	s_delay_alu instid0(VALU_DEP_1)
	v_cmpx_lt_i64_e64 v[14:15], v[12:13]
	s_cbranch_execz .LBB106_9
; %bb.11:                               ;   in Loop: Header=BB106_10 Depth=1
	v_lshl_add_u64 v[16:17], v[8:9], 3, s[8:9]
	s_mov_b32 s37, 0
	global_load_b64 v[16:17], v[16:17], off
	s_wait_loadcnt 0x0
	s_wait_xcnt 0x0
	v_mul_f64_e32 v[16:17], v[6:7], v[16:17]
	s_branch .LBB106_14
.LBB106_12:                             ;   in Loop: Header=BB106_14 Depth=2
	s_or_b32 exec_lo, exec_lo, s39
.LBB106_13:                             ;   in Loop: Header=BB106_14 Depth=2
	s_delay_alu instid0(SALU_CYCLE_1) | instskip(SKIP_4) | instid1(VALU_DEP_1)
	s_or_b32 exec_lo, exec_lo, s38
	s_wait_loadcnt 0x0
	v_mul_f64_e32 v[18:19], v[16:17], v[18:19]
	v_lshl_add_u32 v1, v20, 3, 0
	v_add_nc_u64_e32 v[14:15], 32, v[14:15]
	v_cmp_ge_i64_e32 vcc_lo, v[14:15], v[12:13]
	s_or_b32 s37, vcc_lo, s37
	ds_add_f64 v1, v[18:19] offset:8192
	s_and_not1_b32 exec_lo, exec_lo, s37
	s_cbranch_execz .LBB106_9
.LBB106_14:                             ;   Parent Loop BB106_10 Depth=1
                                        ; =>  This Loop Header: Depth=2
                                        ;       Child Loop BB106_17 Depth 3
	v_lshlrev_b64_e32 v[18:19], 3, v[14:15]
	s_mov_b32 s38, exec_lo
	s_delay_alu instid0(VALU_DEP_1)
	v_add_nc_u64_e32 v[20:21], s[24:25], v[18:19]
	v_add_nc_u64_e32 v[18:19], s[26:27], v[18:19]
	global_load_b64 v[20:21], v[20:21], off
	global_load_b64 v[18:19], v[18:19], off
	s_wait_loadcnt 0x1
	v_sub_nc_u64_e64 v[22:23], v[20:21], s[4:5]
	s_delay_alu instid0(VALU_DEP_1) | instskip(SKIP_1) | instid1(VALU_DEP_1)
	v_mul_lo_u32 v1, 0x89, v22
	s_wait_xcnt 0x1
	v_and_b32_e32 v20, 0x3ff, v1
	s_delay_alu instid0(VALU_DEP_1)
	v_lshl_add_u32 v1, v20, 3, 0
	ds_load_b64 v[26:27], v1
	s_wait_dscnt 0x0
	s_wait_xcnt 0x0
	v_cmpx_ne_u64_e64 v[26:27], v[22:23]
	s_cbranch_execz .LBB106_13
; %bb.15:                               ;   in Loop: Header=BB106_14 Depth=2
	s_mov_b32 s39, 0
                                        ; implicit-def: $sgpr40
                                        ; implicit-def: $sgpr41
	s_branch .LBB106_17
.LBB106_16:                             ;   in Loop: Header=BB106_17 Depth=3
	s_or_b32 exec_lo, exec_lo, s44
	s_delay_alu instid0(SALU_CYCLE_1) | instskip(NEXT) | instid1(SALU_CYCLE_1)
	s_and_b32 s42, exec_lo, s43
	s_or_b32 s39, s42, s39
	s_and_not1_b32 s40, s40, exec_lo
	s_and_b32 s42, s41, exec_lo
	s_delay_alu instid0(SALU_CYCLE_1)
	s_or_b32 s40, s40, s42
	s_and_not1_b32 exec_lo, exec_lo, s39
	s_cbranch_execz .LBB106_23
.LBB106_17:                             ;   Parent Loop BB106_10 Depth=1
                                        ;     Parent Loop BB106_14 Depth=2
                                        ; =>    This Inner Loop Header: Depth=3
	v_mov_b64_e32 v[24:25], v[20:21]
	s_mov_b32 s42, 0
	s_mov_b32 s43, exec_lo
                                        ; implicit-def: $vgpr20_vgpr21
	v_cmpx_ne_u64_e64 s[30:31], v[26:27]
	s_xor_b32 s43, exec_lo, s43
; %bb.18:                               ;   in Loop: Header=BB106_17 Depth=3
	s_delay_alu instid0(VALU_DEP_2) | instskip(SKIP_1) | instid1(VALU_DEP_1)
	v_add_nc_u32_e32 v1, 1, v24
	s_mov_b32 s42, exec_lo
	v_and_b32_e32 v20, 0x3ff, v1
                                        ; implicit-def: $vgpr1
; %bb.19:                               ;   in Loop: Header=BB106_17 Depth=3
	s_and_not1_saveexec_b32 s43, s43
	s_cbranch_execz .LBB106_21
; %bb.20:                               ;   in Loop: Header=BB106_17 Depth=3
	v_mov_b64_e32 v[20:21], s[30:31]
	s_and_not1_b32 s42, s42, exec_lo
	ds_cmpstore_rtn_b64 v[20:21], v1, v[22:23], v[20:21]
	s_wait_dscnt 0x0
	v_cmp_ne_u64_e32 vcc_lo, s[30:31], v[20:21]
	v_mov_b64_e32 v[20:21], v[24:25]
	s_and_b32 s44, vcc_lo, exec_lo
	s_delay_alu instid0(SALU_CYCLE_1)
	s_or_b32 s42, s42, s44
.LBB106_21:                             ;   in Loop: Header=BB106_17 Depth=3
	s_or_b32 exec_lo, exec_lo, s43
	s_mov_b32 s43, -1
	s_or_b32 s41, s41, exec_lo
                                        ; implicit-def: $vgpr1
                                        ; implicit-def: $vgpr26_vgpr27
	s_and_saveexec_b32 s44, s42
	s_cbranch_execz .LBB106_16
; %bb.22:                               ;   in Loop: Header=BB106_17 Depth=3
	v_lshl_add_u32 v1, v20, 3, 0
	s_and_not1_b32 s41, s41, exec_lo
	ds_load_b64 v[26:27], v1
	s_wait_dscnt 0x0
	v_cmp_eq_u64_e32 vcc_lo, v[26:27], v[22:23]
	s_or_not1_b32 s43, vcc_lo, exec_lo
	s_branch .LBB106_16
.LBB106_23:                             ;   in Loop: Header=BB106_14 Depth=2
	s_or_b32 exec_lo, exec_lo, s39
	s_and_saveexec_b32 s39, s40
	s_delay_alu instid0(SALU_CYCLE_1)
	s_xor_b32 s39, exec_lo, s39
	s_cbranch_execz .LBB106_12
; %bb.24:                               ;   in Loop: Header=BB106_14 Depth=2
	v_mov_b32_e32 v20, v24
	s_branch .LBB106_12
.LBB106_25:
	s_or_b32 exec_lo, exec_lo, s20
.LBB106_26:
	s_delay_alu instid0(SALU_CYCLE_1)
	s_and_not1_b32 vcc_lo, exec_lo, s33
	s_cbranch_vccnz .LBB106_43
; %bb.27:
	s_wait_kmcnt 0x0
	s_lshl_b64 s[0:1], s[34:35], 3
	v_mov_b32_e32 v1, 0
	s_add_nc_u64 s[0:1], s[12:13], s[0:1]
	s_load_b128 s[4:7], s[0:1], 0x0
	s_wait_xcnt 0x0
	s_mov_b32 s1, 0
	s_mov_b32 s0, s23
	s_delay_alu instid0(SALU_CYCLE_1) | instskip(SKIP_1) | instid1(VALU_DEP_1)
	v_sub_nc_u64_e64 v[6:7], v[0:1], s[0:1]
	s_wait_kmcnt 0x0
	v_add_nc_u64_e32 v[6:7], s[4:5], v[6:7]
	s_sub_nc_u64 s[2:3], s[6:7], s[0:1]
	s_mov_b32 s4, exec_lo
	s_delay_alu instid0(VALU_DEP_1)
	v_cmpx_gt_i64_e64 s[2:3], v[6:7]
	s_cbranch_execz .LBB106_42
; %bb.28:
	s_mov_b32 s5, s1
	s_branch .LBB106_31
.LBB106_29:                             ;   in Loop: Header=BB106_31 Depth=1
	s_or_b32 exec_lo, exec_lo, s7
.LBB106_30:                             ;   in Loop: Header=BB106_31 Depth=1
	s_delay_alu instid0(SALU_CYCLE_1) | instskip(SKIP_4) | instid1(VALU_DEP_1)
	s_or_b32 exec_lo, exec_lo, s6
	s_wait_loadcnt 0x0
	v_mul_f64_e32 v[8:9], v[2:3], v[8:9]
	v_lshl_add_u32 v1, v10, 3, 0
	v_add_nc_u64_e32 v[6:7], 0x200, v[6:7]
	v_cmp_le_i64_e32 vcc_lo, s[2:3], v[6:7]
	s_or_b32 s5, vcc_lo, s5
	ds_add_f64 v1, v[8:9] offset:8192
	s_and_not1_b32 exec_lo, exec_lo, s5
	s_cbranch_execz .LBB106_42
.LBB106_31:                             ; =>This Loop Header: Depth=1
                                        ;     Child Loop BB106_34 Depth 2
	v_lshlrev_b64_e32 v[8:9], 3, v[6:7]
	s_mov_b32 s6, exec_lo
	s_delay_alu instid0(VALU_DEP_1)
	v_add_nc_u64_e32 v[10:11], s[14:15], v[8:9]
	v_add_nc_u64_e32 v[8:9], s[16:17], v[8:9]
	global_load_b64 v[10:11], v[10:11], off
	global_load_b64 v[8:9], v[8:9], off
	s_wait_loadcnt 0x1
	v_sub_nc_u64_e64 v[12:13], v[10:11], s[0:1]
	s_delay_alu instid0(VALU_DEP_1) | instskip(NEXT) | instid1(VALU_DEP_1)
	v_mul_lo_u32 v1, 0x89, v12
	v_and_b32_e32 v10, 0x3ff, v1
	s_delay_alu instid0(VALU_DEP_1)
	v_lshl_add_u32 v1, v10, 3, 0
	ds_load_b64 v[16:17], v1
	s_wait_dscnt 0x0
	s_wait_xcnt 0x0
	v_cmpx_ne_u64_e64 v[16:17], v[12:13]
	s_cbranch_execz .LBB106_30
; %bb.32:                               ;   in Loop: Header=BB106_31 Depth=1
	s_mov_b32 s7, 0
                                        ; implicit-def: $sgpr8
                                        ; implicit-def: $sgpr9
	s_branch .LBB106_34
.LBB106_33:                             ;   in Loop: Header=BB106_34 Depth=2
	s_or_b32 exec_lo, exec_lo, s12
	s_delay_alu instid0(SALU_CYCLE_1) | instskip(NEXT) | instid1(SALU_CYCLE_1)
	s_and_b32 s10, exec_lo, s11
	s_or_b32 s7, s10, s7
	s_and_not1_b32 s8, s8, exec_lo
	s_and_b32 s10, s9, exec_lo
	s_delay_alu instid0(SALU_CYCLE_1)
	s_or_b32 s8, s8, s10
	s_and_not1_b32 exec_lo, exec_lo, s7
	s_cbranch_execz .LBB106_40
.LBB106_34:                             ;   Parent Loop BB106_31 Depth=1
                                        ; =>  This Inner Loop Header: Depth=2
	v_mov_b64_e32 v[14:15], v[10:11]
	s_mov_b32 s10, 0
	s_mov_b32 s11, exec_lo
                                        ; implicit-def: $vgpr10_vgpr11
	v_cmpx_ne_u64_e64 s[30:31], v[16:17]
	s_xor_b32 s11, exec_lo, s11
; %bb.35:                               ;   in Loop: Header=BB106_34 Depth=2
	s_delay_alu instid0(VALU_DEP_2) | instskip(SKIP_1) | instid1(VALU_DEP_1)
	v_add_nc_u32_e32 v1, 1, v14
	s_mov_b32 s10, exec_lo
	v_and_b32_e32 v10, 0x3ff, v1
                                        ; implicit-def: $vgpr1
; %bb.36:                               ;   in Loop: Header=BB106_34 Depth=2
	s_and_not1_saveexec_b32 s11, s11
	s_cbranch_execz .LBB106_38
; %bb.37:                               ;   in Loop: Header=BB106_34 Depth=2
	v_mov_b64_e32 v[10:11], s[30:31]
	s_and_not1_b32 s10, s10, exec_lo
	ds_cmpstore_rtn_b64 v[10:11], v1, v[12:13], v[10:11]
	s_wait_dscnt 0x0
	v_cmp_ne_u64_e32 vcc_lo, s[30:31], v[10:11]
	v_mov_b64_e32 v[10:11], v[14:15]
	s_and_b32 s12, vcc_lo, exec_lo
	s_delay_alu instid0(SALU_CYCLE_1)
	s_or_b32 s10, s10, s12
.LBB106_38:                             ;   in Loop: Header=BB106_34 Depth=2
	s_or_b32 exec_lo, exec_lo, s11
	s_mov_b32 s11, -1
	s_or_b32 s9, s9, exec_lo
                                        ; implicit-def: $vgpr1
                                        ; implicit-def: $vgpr16_vgpr17
	s_and_saveexec_b32 s12, s10
	s_cbranch_execz .LBB106_33
; %bb.39:                               ;   in Loop: Header=BB106_34 Depth=2
	v_lshl_add_u32 v1, v10, 3, 0
	s_and_not1_b32 s9, s9, exec_lo
	ds_load_b64 v[16:17], v1
	s_wait_dscnt 0x0
	v_cmp_eq_u64_e32 vcc_lo, v[16:17], v[12:13]
	s_or_not1_b32 s11, vcc_lo, exec_lo
	s_branch .LBB106_33
.LBB106_40:                             ;   in Loop: Header=BB106_31 Depth=1
	s_or_b32 exec_lo, exec_lo, s7
	s_and_saveexec_b32 s7, s8
	s_delay_alu instid0(SALU_CYCLE_1)
	s_xor_b32 s7, exec_lo, s7
	s_cbranch_execz .LBB106_29
; %bb.41:                               ;   in Loop: Header=BB106_31 Depth=1
	v_mov_b32_e32 v10, v14
	s_branch .LBB106_29
.LBB106_42:
	s_or_b32 exec_lo, exec_lo, s4
.LBB106_43:
	v_mbcnt_lo_u32_b32 v2, -1, 0
	v_mov_b32_e32 v7, 0
	v_mov_b64_e32 v[10:11], 0
	v_lshl_add_u32 v1, v4, 3, 0
	v_cmp_lt_u32_e64 s0, 31, v0
	v_xor_b32_e32 v2, 31, v2
	v_cmp_lt_u32_e64 s1, 63, v0
	v_cmp_lt_u32_e64 s2, 0x5f, v0
	;; [unrolled: 1-line block ×4, first 2 shown]
	v_lshrrev_b32_e64 v8, v2, -1
	v_cmp_lt_u32_e64 s5, 0xbf, v0
	v_cmp_lt_u32_e64 s6, 0xdf, v0
	;; [unrolled: 1-line block ×10, first 2 shown]
	s_mov_b32 s16, 0
	s_wait_dscnt 0x0
	v_cmp_eq_u32_e32 vcc_lo, 0x1ff, v0
	s_barrier_signal -1
	s_barrier_wait -1
	s_branch .LBB106_45
.LBB106_44:                             ;   in Loop: Header=BB106_45 Depth=1
	s_or_b32 exec_lo, exec_lo, s15
	s_wait_dscnt 0x0
	s_barrier_signal -1
	s_barrier_wait -1
	ds_load_b64 v[2:3], v7 offset:16504
	v_add_co_u32 v29, s15, 0x200, v29
	s_xor_b32 s15, s15, -1
	v_add_nc_u32_e32 v28, 0x1000, v28
	s_and_b32 s15, exec_lo, s15
	s_delay_alu instid0(SALU_CYCLE_1)
	s_or_b32 s16, s15, s16
	s_wait_dscnt 0x0
	v_add_nc_u64_e32 v[10:11], v[2:3], v[10:11]
	s_and_not1_b32 exec_lo, exec_lo, s16
	s_cbranch_execz .LBB106_79
.LBB106_45:                             ; =>This Inner Loop Header: Depth=1
	ds_load_2addr_stride64_b64 v[2:5], v28 offset1:16
	s_wait_dscnt 0x0
	s_barrier_signal -1
	s_barrier_wait -1
	v_cmp_gt_i64_e64 s15, s[30:31], v[2:3]
	s_bcnt1_i32_b32 s17, s15
	s_delay_alu instid0(SALU_CYCLE_1) | instskip(NEXT) | instid1(VALU_DEP_1)
	v_dual_mov_b32 v6, s17 :: v_dual_bitop2_b32 v9, s15, v8 bitop3:0x40
	v_bcnt_u32_b32 v12, v9, 0
	ds_store_b64 v1, v[6:7] offset:16384
	s_wait_dscnt 0x0
	s_barrier_signal -1
	s_barrier_wait -1
	s_and_saveexec_b32 s17, s0
	s_cbranch_execnz .LBB106_62
; %bb.46:                               ;   in Loop: Header=BB106_45 Depth=1
	s_or_b32 exec_lo, exec_lo, s17
	s_and_saveexec_b32 s17, s1
	s_cbranch_execnz .LBB106_63
.LBB106_47:                             ;   in Loop: Header=BB106_45 Depth=1
	s_or_b32 exec_lo, exec_lo, s17
	s_and_saveexec_b32 s17, s2
	s_cbranch_execnz .LBB106_64
.LBB106_48:                             ;   in Loop: Header=BB106_45 Depth=1
	s_or_b32 exec_lo, exec_lo, s17
	s_and_saveexec_b32 s17, s3
	s_cbranch_execnz .LBB106_65
.LBB106_49:                             ;   in Loop: Header=BB106_45 Depth=1
	s_or_b32 exec_lo, exec_lo, s17
	s_and_saveexec_b32 s17, s4
	s_cbranch_execnz .LBB106_66
.LBB106_50:                             ;   in Loop: Header=BB106_45 Depth=1
	s_or_b32 exec_lo, exec_lo, s17
	s_and_saveexec_b32 s17, s5
	s_cbranch_execnz .LBB106_67
.LBB106_51:                             ;   in Loop: Header=BB106_45 Depth=1
	s_or_b32 exec_lo, exec_lo, s17
	s_and_saveexec_b32 s17, s6
	s_cbranch_execnz .LBB106_68
.LBB106_52:                             ;   in Loop: Header=BB106_45 Depth=1
	s_or_b32 exec_lo, exec_lo, s17
	s_and_saveexec_b32 s17, s7
	s_cbranch_execnz .LBB106_69
.LBB106_53:                             ;   in Loop: Header=BB106_45 Depth=1
	s_or_b32 exec_lo, exec_lo, s17
	s_and_saveexec_b32 s17, s8
	s_cbranch_execnz .LBB106_70
.LBB106_54:                             ;   in Loop: Header=BB106_45 Depth=1
	s_or_b32 exec_lo, exec_lo, s17
	s_and_saveexec_b32 s17, s9
	s_cbranch_execnz .LBB106_71
.LBB106_55:                             ;   in Loop: Header=BB106_45 Depth=1
	s_or_b32 exec_lo, exec_lo, s17
	s_and_saveexec_b32 s17, s10
	s_cbranch_execnz .LBB106_72
.LBB106_56:                             ;   in Loop: Header=BB106_45 Depth=1
	s_or_b32 exec_lo, exec_lo, s17
	s_and_saveexec_b32 s17, s11
	s_cbranch_execnz .LBB106_73
.LBB106_57:                             ;   in Loop: Header=BB106_45 Depth=1
	s_or_b32 exec_lo, exec_lo, s17
	s_and_saveexec_b32 s17, s12
	s_cbranch_execnz .LBB106_74
.LBB106_58:                             ;   in Loop: Header=BB106_45 Depth=1
	s_or_b32 exec_lo, exec_lo, s17
	s_and_saveexec_b32 s17, s13
	s_cbranch_execnz .LBB106_75
.LBB106_59:                             ;   in Loop: Header=BB106_45 Depth=1
	s_or_b32 exec_lo, exec_lo, s17
	s_and_saveexec_b32 s17, s14
	s_cbranch_execnz .LBB106_76
.LBB106_60:                             ;   in Loop: Header=BB106_45 Depth=1
	s_or_b32 exec_lo, exec_lo, s17
	v_ashrrev_i32_e32 v13, 31, v12
	s_and_saveexec_b32 s17, s15
	s_cbranch_execnz .LBB106_77
.LBB106_61:                             ;   in Loop: Header=BB106_45 Depth=1
	s_or_b32 exec_lo, exec_lo, s17
	s_and_saveexec_b32 s15, vcc_lo
	s_cbranch_execz .LBB106_44
	s_branch .LBB106_78
.LBB106_62:                             ;   in Loop: Header=BB106_45 Depth=1
	ds_load_b32 v6, v7 offset:16384
	s_wait_dscnt 0x0
	v_add_nc_u32_e32 v12, v6, v12
	s_or_b32 exec_lo, exec_lo, s17
	s_and_saveexec_b32 s17, s1
	s_cbranch_execz .LBB106_47
.LBB106_63:                             ;   in Loop: Header=BB106_45 Depth=1
	ds_load_b32 v6, v7 offset:16392
	s_wait_dscnt 0x0
	v_add_nc_u32_e32 v12, v12, v6
	s_or_b32 exec_lo, exec_lo, s17
	s_and_saveexec_b32 s17, s2
	s_cbranch_execz .LBB106_48
.LBB106_64:                             ;   in Loop: Header=BB106_45 Depth=1
	ds_load_b32 v6, v7 offset:16400
	s_wait_dscnt 0x0
	v_add_nc_u32_e32 v12, v12, v6
	s_or_b32 exec_lo, exec_lo, s17
	s_and_saveexec_b32 s17, s3
	s_cbranch_execz .LBB106_49
.LBB106_65:                             ;   in Loop: Header=BB106_45 Depth=1
	ds_load_b32 v6, v7 offset:16408
	s_wait_dscnt 0x0
	v_add_nc_u32_e32 v12, v12, v6
	s_or_b32 exec_lo, exec_lo, s17
	s_and_saveexec_b32 s17, s4
	s_cbranch_execz .LBB106_50
.LBB106_66:                             ;   in Loop: Header=BB106_45 Depth=1
	ds_load_b32 v6, v7 offset:16416
	s_wait_dscnt 0x0
	v_add_nc_u32_e32 v12, v12, v6
	s_or_b32 exec_lo, exec_lo, s17
	s_and_saveexec_b32 s17, s5
	s_cbranch_execz .LBB106_51
.LBB106_67:                             ;   in Loop: Header=BB106_45 Depth=1
	ds_load_b32 v6, v7 offset:16424
	s_wait_dscnt 0x0
	v_add_nc_u32_e32 v12, v12, v6
	s_or_b32 exec_lo, exec_lo, s17
	s_and_saveexec_b32 s17, s6
	s_cbranch_execz .LBB106_52
.LBB106_68:                             ;   in Loop: Header=BB106_45 Depth=1
	ds_load_b32 v6, v7 offset:16432
	s_wait_dscnt 0x0
	v_add_nc_u32_e32 v12, v12, v6
	s_or_b32 exec_lo, exec_lo, s17
	s_and_saveexec_b32 s17, s7
	s_cbranch_execz .LBB106_53
.LBB106_69:                             ;   in Loop: Header=BB106_45 Depth=1
	ds_load_b32 v6, v7 offset:16440
	s_wait_dscnt 0x0
	v_add_nc_u32_e32 v12, v12, v6
	s_or_b32 exec_lo, exec_lo, s17
	s_and_saveexec_b32 s17, s8
	s_cbranch_execz .LBB106_54
.LBB106_70:                             ;   in Loop: Header=BB106_45 Depth=1
	ds_load_b32 v6, v7 offset:16448
	s_wait_dscnt 0x0
	v_add_nc_u32_e32 v12, v12, v6
	s_or_b32 exec_lo, exec_lo, s17
	s_and_saveexec_b32 s17, s9
	s_cbranch_execz .LBB106_55
.LBB106_71:                             ;   in Loop: Header=BB106_45 Depth=1
	ds_load_b32 v6, v7 offset:16456
	s_wait_dscnt 0x0
	v_add_nc_u32_e32 v12, v12, v6
	s_or_b32 exec_lo, exec_lo, s17
	s_and_saveexec_b32 s17, s10
	s_cbranch_execz .LBB106_56
.LBB106_72:                             ;   in Loop: Header=BB106_45 Depth=1
	ds_load_b32 v6, v7 offset:16464
	s_wait_dscnt 0x0
	v_add_nc_u32_e32 v12, v12, v6
	s_or_b32 exec_lo, exec_lo, s17
	s_and_saveexec_b32 s17, s11
	s_cbranch_execz .LBB106_57
.LBB106_73:                             ;   in Loop: Header=BB106_45 Depth=1
	ds_load_b32 v6, v7 offset:16472
	s_wait_dscnt 0x0
	v_add_nc_u32_e32 v12, v12, v6
	s_or_b32 exec_lo, exec_lo, s17
	s_and_saveexec_b32 s17, s12
	s_cbranch_execz .LBB106_58
.LBB106_74:                             ;   in Loop: Header=BB106_45 Depth=1
	ds_load_b32 v6, v7 offset:16480
	s_wait_dscnt 0x0
	v_add_nc_u32_e32 v12, v12, v6
	s_or_b32 exec_lo, exec_lo, s17
	s_and_saveexec_b32 s17, s13
	s_cbranch_execz .LBB106_59
.LBB106_75:                             ;   in Loop: Header=BB106_45 Depth=1
	ds_load_b32 v6, v7 offset:16488
	s_wait_dscnt 0x0
	v_add_nc_u32_e32 v12, v12, v6
	s_or_b32 exec_lo, exec_lo, s17
	s_and_saveexec_b32 s17, s14
	s_cbranch_execz .LBB106_60
.LBB106_76:                             ;   in Loop: Header=BB106_45 Depth=1
	ds_load_b32 v6, v7 offset:16496
	s_wait_dscnt 0x0
	v_add_nc_u32_e32 v12, v12, v6
	s_or_b32 exec_lo, exec_lo, s17
	s_delay_alu instid0(VALU_DEP_1)
	v_ashrrev_i32_e32 v13, 31, v12
	s_and_saveexec_b32 s17, s15
	s_cbranch_execz .LBB106_61
.LBB106_77:                             ;   in Loop: Header=BB106_45 Depth=1
	v_add3_u32 v6, v10, -1, v12
	v_add_nc_u32_e32 v9, v10, v12
	s_delay_alu instid0(VALU_DEP_2) | instskip(NEXT) | instid1(VALU_DEP_2)
	v_lshl_add_u32 v6, v6, 3, 0
	v_lshl_add_u32 v9, v9, 3, 0
	ds_store_b64 v6, v[2:3]
	ds_store_b64 v9, v[4:5] offset:8184
	s_or_b32 exec_lo, exec_lo, s17
	s_and_saveexec_b32 s15, vcc_lo
	s_cbranch_execz .LBB106_44
.LBB106_78:                             ;   in Loop: Header=BB106_45 Depth=1
	ds_store_b64 v7, v[12:13] offset:16504
	s_branch .LBB106_44
.LBB106_79:
	s_or_b32 exec_lo, exec_lo, s16
	s_wait_kmcnt 0x0
	s_lshl_b64 s[0:1], s[34:35], 3
	v_mov_b32_e32 v1, 0
	s_add_nc_u64 s[4:5], s[18:19], s[0:1]
	s_mov_b32 s6, exec_lo
	s_load_b128 s[0:3], s[4:5], 0x0
	s_wait_kmcnt 0x0
	s_sub_nc_u64 s[4:5], s[2:3], s[0:1]
	s_delay_alu instid0(SALU_CYCLE_1)
	v_cmpx_gt_i64_e64 s[4:5], v[0:1]
	s_cbranch_execz .LBB106_89
; %bb.80:
	s_sub_nc_u64 s[8:9], s[0:1], s[2:3]
	s_and_b64 s[6:7], s[4:5], 7
	v_cmp_lt_u64_e64 s10, s[8:9], -7
	s_and_b64 s[2:3], s[4:5], -8
	s_mov_b32 s23, 0
	s_cmp_lg_u64 s[6:7], 0
	s_sub_nc_u64 s[0:1], s[0:1], s[22:23]
	s_cselect_b32 s11, -1, 0
	s_mov_b32 s12, 0
	s_branch .LBB106_82
.LBB106_81:                             ;   in Loop: Header=BB106_82 Depth=1
	v_add_nc_u64_e32 v[0:1], 0x200, v[0:1]
	s_wait_dscnt 0x0
	s_delay_alu instid0(VALU_DEP_2)
	v_lshl_add_u64 v[2:3], v[6:7], 3, s[28:29]
	global_store_b64 v[2:3], v[4:5], off
	v_cmp_le_i64_e32 vcc_lo, s[4:5], v[0:1]
	s_or_b32 s12, vcc_lo, s12
	s_wait_xcnt 0x0
	s_and_not1_b32 exec_lo, exec_lo, s12
	s_cbranch_execz .LBB106_89
.LBB106_82:                             ; =>This Loop Header: Depth=1
                                        ;     Child Loop BB106_84 Depth 2
                                        ;     Child Loop BB106_88 Depth 2
	v_lshl_add_u32 v2, v0, 3, 0
	v_mov_b64_e32 v[6:7], s[0:1]
	s_and_not1_b32 vcc_lo, exec_lo, s10
	s_mov_b64 s[8:9], 0
	ds_load_2addr_stride64_b64 v[2:5], v2 offset1:16
	s_cbranch_vccnz .LBB106_86
; %bb.83:                               ;   in Loop: Header=BB106_82 Depth=1
	v_mov_b64_e32 v[6:7], s[0:1]
	s_mov_b32 s13, 0
.LBB106_84:                             ;   Parent Loop BB106_82 Depth=1
                                        ; =>  This Inner Loop Header: Depth=2
	s_delay_alu instid0(SALU_CYCLE_1)
	v_dual_mov_b32 v20, s13 :: v_dual_mov_b32 v17, s23
	v_mov_b32_e32 v19, s23
	s_add_nc_u64 s[8:9], s[8:9], 8
	s_add_co_i32 s13, s13, 64
	ds_load_2addr_b64 v[8:11], v20 offset1:1
	ds_load_2addr_b64 v[12:15], v20 offset0:2 offset1:3
	s_cmp_eq_u64 s[2:3], s[8:9]
	s_wait_dscnt 0x1
	v_cmp_gt_i64_e32 vcc_lo, v[2:3], v[8:9]
	v_cndmask_b32_e64 v16, 0, 1, vcc_lo
	v_cmp_gt_i64_e32 vcc_lo, v[2:3], v[10:11]
	s_delay_alu instid0(VALU_DEP_2) | instskip(SKIP_4) | instid1(VALU_DEP_2)
	v_add_nc_u64_e32 v[10:11], v[6:7], v[16:17]
	ds_load_2addr_b64 v[6:9], v20 offset0:4 offset1:5
	v_cndmask_b32_e64 v18, 0, 1, vcc_lo
	s_wait_dscnt 0x1
	v_cmp_gt_i64_e32 vcc_lo, v[2:3], v[12:13]
	v_add_nc_u64_e32 v[10:11], v[10:11], v[18:19]
	v_cndmask_b32_e64 v16, 0, 1, vcc_lo
	v_cmp_gt_i64_e32 vcc_lo, v[2:3], v[14:15]
	s_delay_alu instid0(VALU_DEP_2)
	v_add_nc_u64_e32 v[14:15], v[10:11], v[16:17]
	ds_load_2addr_b64 v[10:13], v20 offset0:6 offset1:7
	v_cndmask_b32_e64 v18, 0, 1, vcc_lo
	s_wait_dscnt 0x1
	v_cmp_gt_i64_e32 vcc_lo, v[2:3], v[6:7]
	v_mov_b32_e32 v7, s23
	s_delay_alu instid0(VALU_DEP_3) | instskip(SKIP_3) | instid1(VALU_DEP_3)
	v_add_nc_u64_e32 v[14:15], v[14:15], v[18:19]
	v_cndmask_b32_e64 v16, 0, 1, vcc_lo
	v_cmp_gt_i64_e32 vcc_lo, v[2:3], v[8:9]
	v_mov_b32_e32 v9, s23
	v_add_nc_u64_e32 v[14:15], v[14:15], v[16:17]
	v_cndmask_b32_e64 v6, 0, 1, vcc_lo
	s_wait_dscnt 0x0
	v_cmp_gt_i64_e32 vcc_lo, v[2:3], v[10:11]
	v_mov_b32_e32 v11, s23
	s_delay_alu instid0(VALU_DEP_3) | instskip(SKIP_2) | instid1(VALU_DEP_2)
	v_add_nc_u64_e32 v[6:7], v[14:15], v[6:7]
	v_cndmask_b32_e64 v8, 0, 1, vcc_lo
	v_cmp_gt_i64_e32 vcc_lo, v[2:3], v[12:13]
	v_add_nc_u64_e32 v[6:7], v[6:7], v[8:9]
	v_cndmask_b32_e64 v10, 0, 1, vcc_lo
	s_delay_alu instid0(VALU_DEP_1)
	v_add_nc_u64_e32 v[6:7], v[6:7], v[10:11]
	s_cbranch_scc0 .LBB106_84
; %bb.85:                               ;   in Loop: Header=BB106_82 Depth=1
	s_mov_b64 s[8:9], s[2:3]
.LBB106_86:                             ;   in Loop: Header=BB106_82 Depth=1
	s_and_not1_b32 vcc_lo, exec_lo, s11
	s_cbranch_vccnz .LBB106_81
; %bb.87:                               ;   in Loop: Header=BB106_82 Depth=1
	s_lshl_b32 s8, s8, 3
	s_delay_alu instid0(SALU_CYCLE_1)
	s_add_co_i32 s13, s8, 0
	s_mov_b64 s[8:9], s[6:7]
.LBB106_88:                             ;   Parent Loop BB106_82 Depth=1
                                        ; =>  This Inner Loop Header: Depth=2
	v_dual_mov_b32 v8, s13 :: v_dual_mov_b32 v11, s23
	s_add_nc_u64 s[8:9], s[8:9], -1
	s_add_co_i32 s13, s13, 8
	s_cmp_lg_u64 s[8:9], 0
	ds_load_b64 v[8:9], v8
	s_wait_dscnt 0x0
	v_cmp_gt_i64_e32 vcc_lo, v[2:3], v[8:9]
	v_cndmask_b32_e64 v10, 0, 1, vcc_lo
	s_delay_alu instid0(VALU_DEP_1)
	v_add_nc_u64_e32 v[6:7], v[6:7], v[10:11]
	s_cbranch_scc1 .LBB106_88
	s_branch .LBB106_81
.LBB106_89:
	s_endpgm
	.section	.rodata,"a",@progbits
	.p2align	6, 0x0
	.amdhsa_kernel _ZN9rocsparseL41csrgemm_numeric_fill_block_per_row_kernelILj512ELj32ELj1024ELj137ELj32ElldEEvT5_PKS1_S3_NS_24const_host_device_scalarIT6_EEPKT4_S3_PKS5_S9_S3_SB_S6_S9_S3_SB_S9_S3_PS5_21rocsparse_index_base_SD_SD_SD_bbb
		.amdhsa_group_segment_fixed_size 0
		.amdhsa_private_segment_fixed_size 0
		.amdhsa_kernarg_size 156
		.amdhsa_user_sgpr_count 2
		.amdhsa_user_sgpr_dispatch_ptr 0
		.amdhsa_user_sgpr_queue_ptr 0
		.amdhsa_user_sgpr_kernarg_segment_ptr 1
		.amdhsa_user_sgpr_dispatch_id 0
		.amdhsa_user_sgpr_kernarg_preload_length 0
		.amdhsa_user_sgpr_kernarg_preload_offset 0
		.amdhsa_user_sgpr_private_segment_size 0
		.amdhsa_wavefront_size32 1
		.amdhsa_uses_dynamic_stack 0
		.amdhsa_enable_private_segment 0
		.amdhsa_system_sgpr_workgroup_id_x 1
		.amdhsa_system_sgpr_workgroup_id_y 0
		.amdhsa_system_sgpr_workgroup_id_z 0
		.amdhsa_system_sgpr_workgroup_info 0
		.amdhsa_system_vgpr_workitem_id 0
		.amdhsa_next_free_vgpr 30
		.amdhsa_next_free_sgpr 45
		.amdhsa_named_barrier_count 0
		.amdhsa_reserve_vcc 1
		.amdhsa_float_round_mode_32 0
		.amdhsa_float_round_mode_16_64 0
		.amdhsa_float_denorm_mode_32 3
		.amdhsa_float_denorm_mode_16_64 3
		.amdhsa_fp16_overflow 0
		.amdhsa_memory_ordered 1
		.amdhsa_forward_progress 1
		.amdhsa_inst_pref_size 26
		.amdhsa_round_robin_scheduling 0
		.amdhsa_exception_fp_ieee_invalid_op 0
		.amdhsa_exception_fp_denorm_src 0
		.amdhsa_exception_fp_ieee_div_zero 0
		.amdhsa_exception_fp_ieee_overflow 0
		.amdhsa_exception_fp_ieee_underflow 0
		.amdhsa_exception_fp_ieee_inexact 0
		.amdhsa_exception_int_div_zero 0
	.end_amdhsa_kernel
	.section	.text._ZN9rocsparseL41csrgemm_numeric_fill_block_per_row_kernelILj512ELj32ELj1024ELj137ELj32ElldEEvT5_PKS1_S3_NS_24const_host_device_scalarIT6_EEPKT4_S3_PKS5_S9_S3_SB_S6_S9_S3_SB_S9_S3_PS5_21rocsparse_index_base_SD_SD_SD_bbb,"axG",@progbits,_ZN9rocsparseL41csrgemm_numeric_fill_block_per_row_kernelILj512ELj32ELj1024ELj137ELj32ElldEEvT5_PKS1_S3_NS_24const_host_device_scalarIT6_EEPKT4_S3_PKS5_S9_S3_SB_S6_S9_S3_SB_S9_S3_PS5_21rocsparse_index_base_SD_SD_SD_bbb,comdat
.Lfunc_end106:
	.size	_ZN9rocsparseL41csrgemm_numeric_fill_block_per_row_kernelILj512ELj32ELj1024ELj137ELj32ElldEEvT5_PKS1_S3_NS_24const_host_device_scalarIT6_EEPKT4_S3_PKS5_S9_S3_SB_S6_S9_S3_SB_S9_S3_PS5_21rocsparse_index_base_SD_SD_SD_bbb, .Lfunc_end106-_ZN9rocsparseL41csrgemm_numeric_fill_block_per_row_kernelILj512ELj32ELj1024ELj137ELj32ElldEEvT5_PKS1_S3_NS_24const_host_device_scalarIT6_EEPKT4_S3_PKS5_S9_S3_SB_S6_S9_S3_SB_S9_S3_PS5_21rocsparse_index_base_SD_SD_SD_bbb
                                        ; -- End function
	.set _ZN9rocsparseL41csrgemm_numeric_fill_block_per_row_kernelILj512ELj32ELj1024ELj137ELj32ElldEEvT5_PKS1_S3_NS_24const_host_device_scalarIT6_EEPKT4_S3_PKS5_S9_S3_SB_S6_S9_S3_SB_S9_S3_PS5_21rocsparse_index_base_SD_SD_SD_bbb.num_vgpr, 30
	.set _ZN9rocsparseL41csrgemm_numeric_fill_block_per_row_kernelILj512ELj32ELj1024ELj137ELj32ElldEEvT5_PKS1_S3_NS_24const_host_device_scalarIT6_EEPKT4_S3_PKS5_S9_S3_SB_S6_S9_S3_SB_S9_S3_PS5_21rocsparse_index_base_SD_SD_SD_bbb.num_agpr, 0
	.set _ZN9rocsparseL41csrgemm_numeric_fill_block_per_row_kernelILj512ELj32ELj1024ELj137ELj32ElldEEvT5_PKS1_S3_NS_24const_host_device_scalarIT6_EEPKT4_S3_PKS5_S9_S3_SB_S6_S9_S3_SB_S9_S3_PS5_21rocsparse_index_base_SD_SD_SD_bbb.numbered_sgpr, 45
	.set _ZN9rocsparseL41csrgemm_numeric_fill_block_per_row_kernelILj512ELj32ELj1024ELj137ELj32ElldEEvT5_PKS1_S3_NS_24const_host_device_scalarIT6_EEPKT4_S3_PKS5_S9_S3_SB_S6_S9_S3_SB_S9_S3_PS5_21rocsparse_index_base_SD_SD_SD_bbb.num_named_barrier, 0
	.set _ZN9rocsparseL41csrgemm_numeric_fill_block_per_row_kernelILj512ELj32ELj1024ELj137ELj32ElldEEvT5_PKS1_S3_NS_24const_host_device_scalarIT6_EEPKT4_S3_PKS5_S9_S3_SB_S6_S9_S3_SB_S9_S3_PS5_21rocsparse_index_base_SD_SD_SD_bbb.private_seg_size, 0
	.set _ZN9rocsparseL41csrgemm_numeric_fill_block_per_row_kernelILj512ELj32ELj1024ELj137ELj32ElldEEvT5_PKS1_S3_NS_24const_host_device_scalarIT6_EEPKT4_S3_PKS5_S9_S3_SB_S6_S9_S3_SB_S9_S3_PS5_21rocsparse_index_base_SD_SD_SD_bbb.uses_vcc, 1
	.set _ZN9rocsparseL41csrgemm_numeric_fill_block_per_row_kernelILj512ELj32ELj1024ELj137ELj32ElldEEvT5_PKS1_S3_NS_24const_host_device_scalarIT6_EEPKT4_S3_PKS5_S9_S3_SB_S6_S9_S3_SB_S9_S3_PS5_21rocsparse_index_base_SD_SD_SD_bbb.uses_flat_scratch, 0
	.set _ZN9rocsparseL41csrgemm_numeric_fill_block_per_row_kernelILj512ELj32ELj1024ELj137ELj32ElldEEvT5_PKS1_S3_NS_24const_host_device_scalarIT6_EEPKT4_S3_PKS5_S9_S3_SB_S6_S9_S3_SB_S9_S3_PS5_21rocsparse_index_base_SD_SD_SD_bbb.has_dyn_sized_stack, 0
	.set _ZN9rocsparseL41csrgemm_numeric_fill_block_per_row_kernelILj512ELj32ELj1024ELj137ELj32ElldEEvT5_PKS1_S3_NS_24const_host_device_scalarIT6_EEPKT4_S3_PKS5_S9_S3_SB_S6_S9_S3_SB_S9_S3_PS5_21rocsparse_index_base_SD_SD_SD_bbb.has_recursion, 0
	.set _ZN9rocsparseL41csrgemm_numeric_fill_block_per_row_kernelILj512ELj32ELj1024ELj137ELj32ElldEEvT5_PKS1_S3_NS_24const_host_device_scalarIT6_EEPKT4_S3_PKS5_S9_S3_SB_S6_S9_S3_SB_S9_S3_PS5_21rocsparse_index_base_SD_SD_SD_bbb.has_indirect_call, 0
	.section	.AMDGPU.csdata,"",@progbits
; Kernel info:
; codeLenInByte = 3260
; TotalNumSgprs: 47
; NumVgprs: 30
; ScratchSize: 0
; MemoryBound: 0
; FloatMode: 240
; IeeeMode: 1
; LDSByteSize: 0 bytes/workgroup (compile time only)
; SGPRBlocks: 0
; VGPRBlocks: 1
; NumSGPRsForWavesPerEU: 47
; NumVGPRsForWavesPerEU: 30
; NamedBarCnt: 0
; Occupancy: 16
; WaveLimiterHint : 1
; COMPUTE_PGM_RSRC2:SCRATCH_EN: 0
; COMPUTE_PGM_RSRC2:USER_SGPR: 2
; COMPUTE_PGM_RSRC2:TRAP_HANDLER: 0
; COMPUTE_PGM_RSRC2:TGID_X_EN: 1
; COMPUTE_PGM_RSRC2:TGID_Y_EN: 0
; COMPUTE_PGM_RSRC2:TGID_Z_EN: 0
; COMPUTE_PGM_RSRC2:TIDIG_COMP_CNT: 0
	.section	.text._ZN9rocsparseL41csrgemm_numeric_fill_block_per_row_kernelILj512ELj32ELj1024ELj137ELj64ElldEEvT5_PKS1_S3_NS_24const_host_device_scalarIT6_EEPKT4_S3_PKS5_S9_S3_SB_S6_S9_S3_SB_S9_S3_PS5_21rocsparse_index_base_SD_SD_SD_bbb,"axG",@progbits,_ZN9rocsparseL41csrgemm_numeric_fill_block_per_row_kernelILj512ELj32ELj1024ELj137ELj64ElldEEvT5_PKS1_S3_NS_24const_host_device_scalarIT6_EEPKT4_S3_PKS5_S9_S3_SB_S6_S9_S3_SB_S9_S3_PS5_21rocsparse_index_base_SD_SD_SD_bbb,comdat
	.globl	_ZN9rocsparseL41csrgemm_numeric_fill_block_per_row_kernelILj512ELj32ELj1024ELj137ELj64ElldEEvT5_PKS1_S3_NS_24const_host_device_scalarIT6_EEPKT4_S3_PKS5_S9_S3_SB_S6_S9_S3_SB_S9_S3_PS5_21rocsparse_index_base_SD_SD_SD_bbb ; -- Begin function _ZN9rocsparseL41csrgemm_numeric_fill_block_per_row_kernelILj512ELj32ELj1024ELj137ELj64ElldEEvT5_PKS1_S3_NS_24const_host_device_scalarIT6_EEPKT4_S3_PKS5_S9_S3_SB_S6_S9_S3_SB_S9_S3_PS5_21rocsparse_index_base_SD_SD_SD_bbb
	.p2align	8
	.type	_ZN9rocsparseL41csrgemm_numeric_fill_block_per_row_kernelILj512ELj32ELj1024ELj137ELj64ElldEEvT5_PKS1_S3_NS_24const_host_device_scalarIT6_EEPKT4_S3_PKS5_S9_S3_SB_S6_S9_S3_SB_S9_S3_PS5_21rocsparse_index_base_SD_SD_SD_bbb,@function
_ZN9rocsparseL41csrgemm_numeric_fill_block_per_row_kernelILj512ELj32ELj1024ELj137ELj64ElldEEvT5_PKS1_S3_NS_24const_host_device_scalarIT6_EEPKT4_S3_PKS5_S9_S3_SB_S6_S9_S3_SB_S9_S3_PS5_21rocsparse_index_base_SD_SD_SD_bbb: ; @_ZN9rocsparseL41csrgemm_numeric_fill_block_per_row_kernelILj512ELj32ELj1024ELj137ELj64ElldEEvT5_PKS1_S3_NS_24const_host_device_scalarIT6_EEPKT4_S3_PKS5_S9_S3_SB_S6_S9_S3_SB_S9_S3_PS5_21rocsparse_index_base_SD_SD_SD_bbb
; %bb.0:
	s_clause 0x3
	s_load_b32 s6, s[0:1], 0x98
	s_load_b64 s[2:3], s[0:1], 0x18
	s_load_b128 s[20:23], s[0:1], 0x88
	s_load_b64 s[4:5], s[0:1], 0x50
	s_wait_kmcnt 0x0
	s_bitcmp1_b32 s6, 0
	s_cselect_b32 s36, -1, 0
	s_bitcmp1_b32 s6, 16
	s_cselect_b32 s7, -1, 0
	s_xor_b32 s8, s36, -1
	s_delay_alu instid0(SALU_CYCLE_1)
	s_or_b32 s10, s7, s8
	s_and_b32 s8, s36, exec_lo
	s_cselect_b32 s9, s3, 0
	s_cselect_b32 s8, s2, 0
	s_and_b32 vcc_lo, exec_lo, s10
	v_mov_b64_e32 v[4:5], s[8:9]
	s_cbranch_vccnz .LBB107_2
; %bb.1:
	v_mov_b32_e32 v1, 0
	flat_load_b64 v[4:5], v1, s[2:3]
.LBB107_2:
	s_wait_xcnt 0x0
	s_load_b64 s[2:3], s[0:1], 0x8
	s_bitcmp1_b32 s6, 8
	s_cselect_b32 s33, -1, 0
	s_delay_alu instid0(SALU_CYCLE_1) | instskip(NEXT) | instid1(SALU_CYCLE_1)
	s_xor_b32 s6, s33, -1
	s_or_b32 s8, s7, s6
	s_and_b32 s6, s33, exec_lo
	s_cselect_b32 s7, s5, 0
	s_cselect_b32 s6, s4, 0
	s_and_b32 vcc_lo, exec_lo, s8
	v_mov_b64_e32 v[2:3], s[6:7]
	s_cbranch_vccnz .LBB107_4
; %bb.3:
	v_mov_b32_e32 v1, 0
	flat_load_b64 v[2:3], v1, s[4:5]
.LBB107_4:
	s_clause 0x5
	s_load_b64 s[30:31], s[0:1], 0x0
	s_load_b64 s[34:35], s[0:1], 0x10
	s_load_b64 s[28:29], s[0:1], 0x80
	s_load_b256 s[4:11], s[0:1], 0x58
	s_load_b128 s[24:27], s[0:1], 0x40
	s_load_b256 s[12:19], s[0:1], 0x20
	v_lshl_add_u32 v26, v0, 3, 0
	v_or_b32_e32 v27, 0xfffffe00, v0
	v_mov_b64_e32 v[6:7], 0
	s_wait_xcnt 0x0
	s_mov_b32 s0, 0
	s_delay_alu instid0(VALU_DEP_2)
	v_dual_mov_b32 v1, v26 :: v_dual_mov_b32 v10, v27
	s_wait_kmcnt 0x0
	v_mov_b64_e32 v[8:9], s[30:31]
.LBB107_5:                              ; =>This Inner Loop Header: Depth=1
	s_delay_alu instid0(VALU_DEP_2) | instskip(SKIP_4) | instid1(SALU_CYCLE_1)
	v_add_co_u32 v10, s1, 0x200, v10
	s_xor_b32 s1, s1, -1
	ds_store_2addr_stride64_b64 v1, v[8:9], v[6:7] offset1:16
	v_add_nc_u32_e32 v1, 0x1000, v1
	s_and_b32 s1, exec_lo, s1
	s_or_b32 s0, s1, s0
	s_delay_alu instid0(SALU_CYCLE_1)
	s_and_not1_b32 exec_lo, exec_lo, s0
	s_cbranch_execnz .LBB107_5
; %bb.6:
	s_or_b32 exec_lo, exec_lo, s0
	s_wait_loadcnt_dscnt 0x0
	s_barrier_signal -1
	s_barrier_wait -1
	s_load_b64 s[0:1], s[2:3], 0x0
	s_wait_xcnt 0x0
	s_bfe_u32 s2, ttmp6, 0x4000c
	s_and_b32 s3, ttmp6, 15
	s_add_co_i32 s2, s2, 1
	s_getreg_b32 s37, hwreg(HW_REG_IB_STS2, 6, 4)
	s_mul_i32 s2, ttmp9, s2
	s_delay_alu instid0(SALU_CYCLE_1)
	s_add_co_i32 s3, s3, s2
	s_wait_kmcnt 0x0
	s_lshl_b64 s[0:1], s[0:1], 3
	s_cmp_eq_u32 s37, 0
	s_add_nc_u64 s[0:1], s[34:35], s[0:1]
	s_cselect_b32 s2, ttmp9, s3
	s_and_b32 vcc_lo, exec_lo, s36
	s_load_b64 s[34:35], s[0:1], s2 offset:0x0 scale_offset
	s_wait_xcnt 0x0
	s_mov_b32 s1, 0
	s_cbranch_vccz .LBB107_26
; %bb.7:
	s_wait_kmcnt 0x0
	s_lshl_b64 s[2:3], s[34:35], 3
	v_dual_mov_b32 v9, 0 :: v_dual_lshrrev_b32 v8, 5, v0
	s_add_nc_u64 s[2:3], s[12:13], s[2:3]
	s_mov_b32 s0, s20
	s_load_b128 s[36:39], s[2:3], 0x0
	s_mov_b32 s20, exec_lo
	v_sub_nc_u64_e64 v[6:7], v[8:9], s[0:1]
	s_wait_kmcnt 0x0
	s_delay_alu instid0(VALU_DEP_1)
	v_add_nc_u64_e32 v[6:7], s[36:37], v[6:7]
	s_sub_nc_u64 s[2:3], s[38:39], s[0:1]
	s_delay_alu instid0(VALU_DEP_1) | instid1(SALU_CYCLE_1)
	v_cmpx_gt_i64_e64 s[2:3], v[6:7]
	s_cbranch_execz .LBB107_25
; %bb.8:
	v_and_b32_e32 v8, 31, v0
	s_mov_b32 s13, 0
	s_mov_b32 s12, s21
	;; [unrolled: 1-line block ×3, first 2 shown]
	s_delay_alu instid0(VALU_DEP_1)
	v_sub_nc_u64_e64 v[8:9], v[8:9], s[12:13]
	s_branch .LBB107_10
.LBB107_9:                              ;   in Loop: Header=BB107_10 Depth=1
	s_or_b32 exec_lo, exec_lo, s36
	v_add_nc_u64_e32 v[6:7], 16, v[6:7]
	s_delay_alu instid0(VALU_DEP_1) | instskip(SKIP_1) | instid1(SALU_CYCLE_1)
	v_cmp_le_i64_e32 vcc_lo, s[2:3], v[6:7]
	s_or_b32 s21, vcc_lo, s21
	s_and_not1_b32 exec_lo, exec_lo, s21
	s_cbranch_execz .LBB107_25
.LBB107_10:                             ; =>This Loop Header: Depth=1
                                        ;     Child Loop BB107_14 Depth 2
                                        ;       Child Loop BB107_17 Depth 3
	v_lshl_add_u64 v[10:11], v[6:7], 3, s[14:15]
	s_mov_b32 s36, exec_lo
	global_load_b64 v[10:11], v[10:11], off
	s_wait_loadcnt 0x0
	s_wait_xcnt 0x0
	v_sub_nc_u64_e64 v[10:11], v[10:11], s[0:1]
	s_delay_alu instid0(VALU_DEP_1)
	v_lshl_add_u64 v[10:11], v[10:11], 3, s[18:19]
	global_load_b128 v[12:15], v[10:11], off
	s_wait_loadcnt 0x0
	s_wait_xcnt 0x0
	v_sub_nc_u64_e64 v[10:11], v[14:15], s[12:13]
	v_add_nc_u64_e32 v[12:13], v[12:13], v[8:9]
	s_delay_alu instid0(VALU_DEP_1)
	v_cmpx_lt_i64_e64 v[12:13], v[10:11]
	s_cbranch_execz .LBB107_9
; %bb.11:                               ;   in Loop: Header=BB107_10 Depth=1
	v_lshl_add_u64 v[14:15], v[6:7], 3, s[16:17]
	s_mov_b32 s37, 0
	global_load_b64 v[14:15], v[14:15], off
	s_wait_loadcnt 0x0
	s_wait_xcnt 0x0
	v_mul_f64_e32 v[14:15], v[4:5], v[14:15]
	s_branch .LBB107_14
.LBB107_12:                             ;   in Loop: Header=BB107_14 Depth=2
	s_or_b32 exec_lo, exec_lo, s39
.LBB107_13:                             ;   in Loop: Header=BB107_14 Depth=2
	s_delay_alu instid0(SALU_CYCLE_1) | instskip(SKIP_4) | instid1(VALU_DEP_1)
	s_or_b32 exec_lo, exec_lo, s38
	s_wait_loadcnt 0x0
	v_mul_f64_e32 v[16:17], v[14:15], v[16:17]
	v_lshl_add_u32 v1, v18, 3, 0
	v_add_nc_u64_e32 v[12:13], 32, v[12:13]
	v_cmp_ge_i64_e32 vcc_lo, v[12:13], v[10:11]
	s_or_b32 s37, vcc_lo, s37
	ds_add_f64 v1, v[16:17] offset:8192
	s_and_not1_b32 exec_lo, exec_lo, s37
	s_cbranch_execz .LBB107_9
.LBB107_14:                             ;   Parent Loop BB107_10 Depth=1
                                        ; =>  This Loop Header: Depth=2
                                        ;       Child Loop BB107_17 Depth 3
	v_lshlrev_b64_e32 v[16:17], 3, v[12:13]
	s_mov_b32 s38, exec_lo
	s_delay_alu instid0(VALU_DEP_1)
	v_add_nc_u64_e32 v[18:19], s[24:25], v[16:17]
	v_add_nc_u64_e32 v[16:17], s[26:27], v[16:17]
	global_load_b64 v[18:19], v[18:19], off
	global_load_b64 v[16:17], v[16:17], off
	s_wait_loadcnt 0x1
	v_sub_nc_u64_e64 v[20:21], v[18:19], s[12:13]
	s_delay_alu instid0(VALU_DEP_1) | instskip(SKIP_1) | instid1(VALU_DEP_1)
	v_mul_lo_u32 v1, 0x89, v20
	s_wait_xcnt 0x1
	v_and_b32_e32 v18, 0x3ff, v1
	s_delay_alu instid0(VALU_DEP_1)
	v_lshl_add_u32 v1, v18, 3, 0
	ds_load_b64 v[24:25], v1
	s_wait_dscnt 0x0
	s_wait_xcnt 0x0
	v_cmpx_ne_u64_e64 v[24:25], v[20:21]
	s_cbranch_execz .LBB107_13
; %bb.15:                               ;   in Loop: Header=BB107_14 Depth=2
	s_mov_b32 s39, 0
                                        ; implicit-def: $sgpr40
                                        ; implicit-def: $sgpr41
	s_branch .LBB107_17
.LBB107_16:                             ;   in Loop: Header=BB107_17 Depth=3
	s_or_b32 exec_lo, exec_lo, s44
	s_delay_alu instid0(SALU_CYCLE_1) | instskip(NEXT) | instid1(SALU_CYCLE_1)
	s_and_b32 s42, exec_lo, s43
	s_or_b32 s39, s42, s39
	s_and_not1_b32 s40, s40, exec_lo
	s_and_b32 s42, s41, exec_lo
	s_delay_alu instid0(SALU_CYCLE_1)
	s_or_b32 s40, s40, s42
	s_and_not1_b32 exec_lo, exec_lo, s39
	s_cbranch_execz .LBB107_23
.LBB107_17:                             ;   Parent Loop BB107_10 Depth=1
                                        ;     Parent Loop BB107_14 Depth=2
                                        ; =>    This Inner Loop Header: Depth=3
	v_mov_b64_e32 v[22:23], v[18:19]
	s_mov_b32 s42, 0
	s_mov_b32 s43, exec_lo
                                        ; implicit-def: $vgpr18_vgpr19
	v_cmpx_ne_u64_e64 s[30:31], v[24:25]
	s_xor_b32 s43, exec_lo, s43
; %bb.18:                               ;   in Loop: Header=BB107_17 Depth=3
	s_delay_alu instid0(VALU_DEP_2) | instskip(SKIP_1) | instid1(VALU_DEP_1)
	v_add_nc_u32_e32 v1, 1, v22
	s_mov_b32 s42, exec_lo
	v_and_b32_e32 v18, 0x3ff, v1
                                        ; implicit-def: $vgpr1
; %bb.19:                               ;   in Loop: Header=BB107_17 Depth=3
	s_and_not1_saveexec_b32 s43, s43
	s_cbranch_execz .LBB107_21
; %bb.20:                               ;   in Loop: Header=BB107_17 Depth=3
	v_mov_b64_e32 v[18:19], s[30:31]
	s_and_not1_b32 s42, s42, exec_lo
	ds_cmpstore_rtn_b64 v[18:19], v1, v[20:21], v[18:19]
	s_wait_dscnt 0x0
	v_cmp_ne_u64_e32 vcc_lo, s[30:31], v[18:19]
	v_mov_b64_e32 v[18:19], v[22:23]
	s_and_b32 s44, vcc_lo, exec_lo
	s_delay_alu instid0(SALU_CYCLE_1)
	s_or_b32 s42, s42, s44
.LBB107_21:                             ;   in Loop: Header=BB107_17 Depth=3
	s_or_b32 exec_lo, exec_lo, s43
	s_mov_b32 s43, -1
	s_or_b32 s41, s41, exec_lo
                                        ; implicit-def: $vgpr1
                                        ; implicit-def: $vgpr24_vgpr25
	s_and_saveexec_b32 s44, s42
	s_cbranch_execz .LBB107_16
; %bb.22:                               ;   in Loop: Header=BB107_17 Depth=3
	v_lshl_add_u32 v1, v18, 3, 0
	s_and_not1_b32 s41, s41, exec_lo
	ds_load_b64 v[24:25], v1
	s_wait_dscnt 0x0
	v_cmp_eq_u64_e32 vcc_lo, v[24:25], v[20:21]
	s_or_not1_b32 s43, vcc_lo, exec_lo
	s_branch .LBB107_16
.LBB107_23:                             ;   in Loop: Header=BB107_14 Depth=2
	s_or_b32 exec_lo, exec_lo, s39
	s_and_saveexec_b32 s39, s40
	s_delay_alu instid0(SALU_CYCLE_1)
	s_xor_b32 s39, exec_lo, s39
	s_cbranch_execz .LBB107_12
; %bb.24:                               ;   in Loop: Header=BB107_14 Depth=2
	v_mov_b32_e32 v18, v22
	s_branch .LBB107_12
.LBB107_25:
	s_or_b32 exec_lo, exec_lo, s20
.LBB107_26:
	s_delay_alu instid0(SALU_CYCLE_1)
	s_and_not1_b32 vcc_lo, exec_lo, s33
	s_cbranch_vccnz .LBB107_43
; %bb.27:
	s_wait_kmcnt 0x0
	s_lshl_b64 s[0:1], s[34:35], 3
	v_mov_b32_e32 v1, 0
	s_add_nc_u64 s[0:1], s[4:5], s[0:1]
	s_mov_b32 s4, exec_lo
	s_load_b128 s[12:15], s[0:1], 0x0
	s_wait_xcnt 0x0
	s_mov_b32 s1, 0
	s_mov_b32 s0, s23
	s_delay_alu instid0(SALU_CYCLE_1) | instskip(SKIP_1) | instid1(VALU_DEP_1)
	v_sub_nc_u64_e64 v[4:5], v[0:1], s[0:1]
	s_wait_kmcnt 0x0
	v_add_nc_u64_e32 v[4:5], s[12:13], v[4:5]
	s_sub_nc_u64 s[2:3], s[14:15], s[0:1]
	s_delay_alu instid0(VALU_DEP_1) | instid1(SALU_CYCLE_1)
	v_cmpx_gt_i64_e64 s[2:3], v[4:5]
	s_cbranch_execz .LBB107_42
; %bb.28:
	s_mov_b32 s5, s1
	s_branch .LBB107_31
.LBB107_29:                             ;   in Loop: Header=BB107_31 Depth=1
	s_or_b32 exec_lo, exec_lo, s13
.LBB107_30:                             ;   in Loop: Header=BB107_31 Depth=1
	s_delay_alu instid0(SALU_CYCLE_1) | instskip(SKIP_4) | instid1(VALU_DEP_1)
	s_or_b32 exec_lo, exec_lo, s12
	s_wait_loadcnt 0x0
	v_mul_f64_e32 v[6:7], v[2:3], v[6:7]
	v_lshl_add_u32 v1, v8, 3, 0
	v_add_nc_u64_e32 v[4:5], 0x200, v[4:5]
	v_cmp_le_i64_e32 vcc_lo, s[2:3], v[4:5]
	s_or_b32 s5, vcc_lo, s5
	ds_add_f64 v1, v[6:7] offset:8192
	s_and_not1_b32 exec_lo, exec_lo, s5
	s_cbranch_execz .LBB107_42
.LBB107_31:                             ; =>This Loop Header: Depth=1
                                        ;     Child Loop BB107_34 Depth 2
	v_lshlrev_b64_e32 v[6:7], 3, v[4:5]
	s_mov_b32 s12, exec_lo
	s_delay_alu instid0(VALU_DEP_1)
	v_add_nc_u64_e32 v[8:9], s[6:7], v[6:7]
	v_add_nc_u64_e32 v[6:7], s[8:9], v[6:7]
	global_load_b64 v[8:9], v[8:9], off
	global_load_b64 v[6:7], v[6:7], off
	s_wait_loadcnt 0x1
	v_sub_nc_u64_e64 v[10:11], v[8:9], s[0:1]
	s_delay_alu instid0(VALU_DEP_1) | instskip(NEXT) | instid1(VALU_DEP_1)
	v_mul_lo_u32 v1, 0x89, v10
	v_and_b32_e32 v8, 0x3ff, v1
	s_delay_alu instid0(VALU_DEP_1)
	v_lshl_add_u32 v1, v8, 3, 0
	ds_load_b64 v[14:15], v1
	s_wait_dscnt 0x0
	s_wait_xcnt 0x0
	v_cmpx_ne_u64_e64 v[14:15], v[10:11]
	s_cbranch_execz .LBB107_30
; %bb.32:                               ;   in Loop: Header=BB107_31 Depth=1
	s_mov_b32 s13, 0
                                        ; implicit-def: $sgpr14
                                        ; implicit-def: $sgpr15
	s_branch .LBB107_34
.LBB107_33:                             ;   in Loop: Header=BB107_34 Depth=2
	s_or_b32 exec_lo, exec_lo, s18
	s_delay_alu instid0(SALU_CYCLE_1) | instskip(NEXT) | instid1(SALU_CYCLE_1)
	s_and_b32 s16, exec_lo, s17
	s_or_b32 s13, s16, s13
	s_and_not1_b32 s14, s14, exec_lo
	s_and_b32 s16, s15, exec_lo
	s_delay_alu instid0(SALU_CYCLE_1)
	s_or_b32 s14, s14, s16
	s_and_not1_b32 exec_lo, exec_lo, s13
	s_cbranch_execz .LBB107_40
.LBB107_34:                             ;   Parent Loop BB107_31 Depth=1
                                        ; =>  This Inner Loop Header: Depth=2
	v_mov_b64_e32 v[12:13], v[8:9]
	s_mov_b32 s16, 0
	s_mov_b32 s17, exec_lo
                                        ; implicit-def: $vgpr8_vgpr9
	v_cmpx_ne_u64_e64 s[30:31], v[14:15]
	s_xor_b32 s17, exec_lo, s17
; %bb.35:                               ;   in Loop: Header=BB107_34 Depth=2
	s_delay_alu instid0(VALU_DEP_2) | instskip(SKIP_1) | instid1(VALU_DEP_1)
	v_add_nc_u32_e32 v1, 1, v12
	s_mov_b32 s16, exec_lo
	v_and_b32_e32 v8, 0x3ff, v1
                                        ; implicit-def: $vgpr1
; %bb.36:                               ;   in Loop: Header=BB107_34 Depth=2
	s_and_not1_saveexec_b32 s17, s17
	s_cbranch_execz .LBB107_38
; %bb.37:                               ;   in Loop: Header=BB107_34 Depth=2
	v_mov_b64_e32 v[8:9], s[30:31]
	s_and_not1_b32 s16, s16, exec_lo
	ds_cmpstore_rtn_b64 v[8:9], v1, v[10:11], v[8:9]
	s_wait_dscnt 0x0
	v_cmp_ne_u64_e32 vcc_lo, s[30:31], v[8:9]
	v_mov_b64_e32 v[8:9], v[12:13]
	s_and_b32 s18, vcc_lo, exec_lo
	s_delay_alu instid0(SALU_CYCLE_1)
	s_or_b32 s16, s16, s18
.LBB107_38:                             ;   in Loop: Header=BB107_34 Depth=2
	s_or_b32 exec_lo, exec_lo, s17
	s_mov_b32 s17, -1
	s_or_b32 s15, s15, exec_lo
                                        ; implicit-def: $vgpr1
                                        ; implicit-def: $vgpr14_vgpr15
	s_and_saveexec_b32 s18, s16
	s_cbranch_execz .LBB107_33
; %bb.39:                               ;   in Loop: Header=BB107_34 Depth=2
	v_lshl_add_u32 v1, v8, 3, 0
	s_and_not1_b32 s15, s15, exec_lo
	ds_load_b64 v[14:15], v1
	s_wait_dscnt 0x0
	v_cmp_eq_u64_e32 vcc_lo, v[14:15], v[10:11]
	s_or_not1_b32 s17, vcc_lo, exec_lo
	s_branch .LBB107_33
.LBB107_40:                             ;   in Loop: Header=BB107_31 Depth=1
	s_or_b32 exec_lo, exec_lo, s13
	s_and_saveexec_b32 s13, s14
	s_delay_alu instid0(SALU_CYCLE_1)
	s_xor_b32 s13, exec_lo, s13
	s_cbranch_execz .LBB107_29
; %bb.41:                               ;   in Loop: Header=BB107_31 Depth=1
	v_mov_b32_e32 v8, v12
	s_branch .LBB107_29
.LBB107_42:
	s_or_b32 exec_lo, exec_lo, s4
.LBB107_43:
	v_mbcnt_lo_u32_b32 v1, -1, 0
	v_dual_mov_b32 v7, 0 :: v_dual_lshrrev_b32 v2, 3, v0
	v_mov_b64_e32 v[10:11], 0
	v_cmp_lt_u32_e64 s0, 63, v0
	s_delay_alu instid0(VALU_DEP_4) | instskip(NEXT) | instid1(VALU_DEP_4)
	v_xor_b32_e32 v1, 31, v1
	v_and_b32_e32 v2, 56, v2
	v_cmp_lt_u32_e64 s1, 0x7f, v0
	v_cmp_lt_u32_e64 s2, 0xbf, v0
	;; [unrolled: 1-line block ×3, first 2 shown]
	v_lshrrev_b32_e64 v8, v1, -1
	v_add_nc_u32_e32 v1, 0, v2
	v_cmp_lt_u32_e64 s4, 0x13f, v0
	v_cmp_lt_u32_e64 s5, 0x17f, v0
	;; [unrolled: 1-line block ×3, first 2 shown]
	s_mov_b32 s8, 0
	s_wait_dscnt 0x0
	v_cmp_eq_u32_e32 vcc_lo, 0x1ff, v0
	s_barrier_signal -1
	s_barrier_wait -1
	s_branch .LBB107_45
.LBB107_44:                             ;   in Loop: Header=BB107_45 Depth=1
	s_or_b32 exec_lo, exec_lo, s7
	s_wait_dscnt 0x0
	s_barrier_signal -1
	s_barrier_wait -1
	ds_load_b64 v[2:3], v7 offset:16440
	v_add_co_u32 v27, s7, 0x200, v27
	s_xor_b32 s7, s7, -1
	v_add_nc_u32_e32 v26, 0x1000, v26
	s_and_b32 s7, exec_lo, s7
	s_delay_alu instid0(SALU_CYCLE_1)
	s_or_b32 s8, s7, s8
	s_wait_dscnt 0x0
	v_add_nc_u64_e32 v[10:11], v[2:3], v[10:11]
	s_and_not1_b32 exec_lo, exec_lo, s8
	s_cbranch_execz .LBB107_63
.LBB107_45:                             ; =>This Inner Loop Header: Depth=1
	ds_load_2addr_stride64_b64 v[2:5], v26 offset1:16
	s_wait_dscnt 0x0
	s_barrier_signal -1
	s_barrier_wait -1
	v_cmp_gt_i64_e64 s7, s[30:31], v[2:3]
	s_bcnt1_i32_b32 s9, s7
	s_delay_alu instid0(SALU_CYCLE_1) | instskip(NEXT) | instid1(VALU_DEP_1)
	v_dual_mov_b32 v6, s9 :: v_dual_bitop2_b32 v9, s7, v8 bitop3:0x40
	v_bcnt_u32_b32 v12, v9, 0
	ds_store_b64 v1, v[6:7] offset:16384
	s_wait_dscnt 0x0
	s_barrier_signal -1
	s_barrier_wait -1
	s_and_saveexec_b32 s9, s0
	s_cbranch_execnz .LBB107_54
; %bb.46:                               ;   in Loop: Header=BB107_45 Depth=1
	s_or_b32 exec_lo, exec_lo, s9
	s_and_saveexec_b32 s9, s1
	s_cbranch_execnz .LBB107_55
.LBB107_47:                             ;   in Loop: Header=BB107_45 Depth=1
	s_or_b32 exec_lo, exec_lo, s9
	s_and_saveexec_b32 s9, s2
	s_cbranch_execnz .LBB107_56
.LBB107_48:                             ;   in Loop: Header=BB107_45 Depth=1
	s_or_b32 exec_lo, exec_lo, s9
	s_and_saveexec_b32 s9, s3
	s_cbranch_execnz .LBB107_57
.LBB107_49:                             ;   in Loop: Header=BB107_45 Depth=1
	s_or_b32 exec_lo, exec_lo, s9
	s_and_saveexec_b32 s9, s4
	s_cbranch_execnz .LBB107_58
.LBB107_50:                             ;   in Loop: Header=BB107_45 Depth=1
	s_or_b32 exec_lo, exec_lo, s9
	s_and_saveexec_b32 s9, s5
	s_cbranch_execnz .LBB107_59
.LBB107_51:                             ;   in Loop: Header=BB107_45 Depth=1
	s_or_b32 exec_lo, exec_lo, s9
	s_and_saveexec_b32 s9, s6
	s_cbranch_execnz .LBB107_60
.LBB107_52:                             ;   in Loop: Header=BB107_45 Depth=1
	s_or_b32 exec_lo, exec_lo, s9
	v_ashrrev_i32_e32 v13, 31, v12
	s_and_saveexec_b32 s9, s7
	s_cbranch_execnz .LBB107_61
.LBB107_53:                             ;   in Loop: Header=BB107_45 Depth=1
	s_or_b32 exec_lo, exec_lo, s9
	s_and_saveexec_b32 s7, vcc_lo
	s_cbranch_execz .LBB107_44
	s_branch .LBB107_62
.LBB107_54:                             ;   in Loop: Header=BB107_45 Depth=1
	ds_load_b32 v6, v7 offset:16384
	s_wait_dscnt 0x0
	v_add_nc_u32_e32 v12, v6, v12
	s_or_b32 exec_lo, exec_lo, s9
	s_and_saveexec_b32 s9, s1
	s_cbranch_execz .LBB107_47
.LBB107_55:                             ;   in Loop: Header=BB107_45 Depth=1
	ds_load_b32 v6, v7 offset:16392
	s_wait_dscnt 0x0
	v_add_nc_u32_e32 v12, v12, v6
	s_or_b32 exec_lo, exec_lo, s9
	s_and_saveexec_b32 s9, s2
	s_cbranch_execz .LBB107_48
.LBB107_56:                             ;   in Loop: Header=BB107_45 Depth=1
	ds_load_b32 v6, v7 offset:16400
	s_wait_dscnt 0x0
	v_add_nc_u32_e32 v12, v12, v6
	s_or_b32 exec_lo, exec_lo, s9
	s_and_saveexec_b32 s9, s3
	s_cbranch_execz .LBB107_49
.LBB107_57:                             ;   in Loop: Header=BB107_45 Depth=1
	ds_load_b32 v6, v7 offset:16408
	s_wait_dscnt 0x0
	v_add_nc_u32_e32 v12, v12, v6
	s_or_b32 exec_lo, exec_lo, s9
	s_and_saveexec_b32 s9, s4
	s_cbranch_execz .LBB107_50
.LBB107_58:                             ;   in Loop: Header=BB107_45 Depth=1
	ds_load_b32 v6, v7 offset:16416
	s_wait_dscnt 0x0
	v_add_nc_u32_e32 v12, v12, v6
	s_or_b32 exec_lo, exec_lo, s9
	s_and_saveexec_b32 s9, s5
	s_cbranch_execz .LBB107_51
.LBB107_59:                             ;   in Loop: Header=BB107_45 Depth=1
	ds_load_b32 v6, v7 offset:16424
	s_wait_dscnt 0x0
	v_add_nc_u32_e32 v12, v12, v6
	s_or_b32 exec_lo, exec_lo, s9
	s_and_saveexec_b32 s9, s6
	s_cbranch_execz .LBB107_52
.LBB107_60:                             ;   in Loop: Header=BB107_45 Depth=1
	ds_load_b32 v6, v7 offset:16432
	s_wait_dscnt 0x0
	v_add_nc_u32_e32 v12, v12, v6
	s_or_b32 exec_lo, exec_lo, s9
	s_delay_alu instid0(VALU_DEP_1)
	v_ashrrev_i32_e32 v13, 31, v12
	s_and_saveexec_b32 s9, s7
	s_cbranch_execz .LBB107_53
.LBB107_61:                             ;   in Loop: Header=BB107_45 Depth=1
	v_add3_u32 v6, v10, -1, v12
	v_add_nc_u32_e32 v9, v10, v12
	s_delay_alu instid0(VALU_DEP_2) | instskip(NEXT) | instid1(VALU_DEP_2)
	v_lshl_add_u32 v6, v6, 3, 0
	v_lshl_add_u32 v9, v9, 3, 0
	ds_store_b64 v6, v[2:3]
	ds_store_b64 v9, v[4:5] offset:8184
	s_or_b32 exec_lo, exec_lo, s9
	s_and_saveexec_b32 s7, vcc_lo
	s_cbranch_execz .LBB107_44
.LBB107_62:                             ;   in Loop: Header=BB107_45 Depth=1
	ds_store_b64 v7, v[12:13] offset:16440
	s_branch .LBB107_44
.LBB107_63:
	s_or_b32 exec_lo, exec_lo, s8
	s_wait_kmcnt 0x0
	s_lshl_b64 s[0:1], s[34:35], 3
	v_mov_b32_e32 v1, 0
	s_add_nc_u64 s[4:5], s[10:11], s[0:1]
	s_mov_b32 s6, exec_lo
	s_load_b128 s[0:3], s[4:5], 0x0
	s_wait_kmcnt 0x0
	s_sub_nc_u64 s[4:5], s[2:3], s[0:1]
	s_delay_alu instid0(SALU_CYCLE_1)
	v_cmpx_gt_i64_e64 s[4:5], v[0:1]
	s_cbranch_execz .LBB107_73
; %bb.64:
	s_sub_nc_u64 s[8:9], s[0:1], s[2:3]
	s_and_b64 s[6:7], s[4:5], 7
	v_cmp_lt_u64_e64 s10, s[8:9], -7
	s_and_b64 s[2:3], s[4:5], -8
	s_mov_b32 s23, 0
	s_cmp_lg_u64 s[6:7], 0
	s_sub_nc_u64 s[0:1], s[0:1], s[22:23]
	s_cselect_b32 s11, -1, 0
	s_mov_b32 s12, 0
	s_branch .LBB107_66
.LBB107_65:                             ;   in Loop: Header=BB107_66 Depth=1
	v_add_nc_u64_e32 v[0:1], 0x200, v[0:1]
	s_wait_dscnt 0x0
	s_delay_alu instid0(VALU_DEP_2)
	v_lshl_add_u64 v[2:3], v[6:7], 3, s[28:29]
	global_store_b64 v[2:3], v[4:5], off
	v_cmp_le_i64_e32 vcc_lo, s[4:5], v[0:1]
	s_or_b32 s12, vcc_lo, s12
	s_wait_xcnt 0x0
	s_and_not1_b32 exec_lo, exec_lo, s12
	s_cbranch_execz .LBB107_73
.LBB107_66:                             ; =>This Loop Header: Depth=1
                                        ;     Child Loop BB107_68 Depth 2
                                        ;     Child Loop BB107_72 Depth 2
	v_lshl_add_u32 v2, v0, 3, 0
	v_mov_b64_e32 v[6:7], s[0:1]
	s_and_not1_b32 vcc_lo, exec_lo, s10
	s_mov_b64 s[8:9], 0
	ds_load_2addr_stride64_b64 v[2:5], v2 offset1:16
	s_cbranch_vccnz .LBB107_70
; %bb.67:                               ;   in Loop: Header=BB107_66 Depth=1
	v_mov_b64_e32 v[6:7], s[0:1]
	s_mov_b32 s13, 0
.LBB107_68:                             ;   Parent Loop BB107_66 Depth=1
                                        ; =>  This Inner Loop Header: Depth=2
	s_delay_alu instid0(SALU_CYCLE_1)
	v_dual_mov_b32 v20, s13 :: v_dual_mov_b32 v17, s23
	v_mov_b32_e32 v19, s23
	s_add_nc_u64 s[8:9], s[8:9], 8
	s_add_co_i32 s13, s13, 64
	ds_load_2addr_b64 v[8:11], v20 offset1:1
	ds_load_2addr_b64 v[12:15], v20 offset0:2 offset1:3
	s_cmp_eq_u64 s[2:3], s[8:9]
	s_wait_dscnt 0x1
	v_cmp_gt_i64_e32 vcc_lo, v[2:3], v[8:9]
	v_cndmask_b32_e64 v16, 0, 1, vcc_lo
	v_cmp_gt_i64_e32 vcc_lo, v[2:3], v[10:11]
	s_delay_alu instid0(VALU_DEP_2) | instskip(SKIP_4) | instid1(VALU_DEP_2)
	v_add_nc_u64_e32 v[10:11], v[6:7], v[16:17]
	ds_load_2addr_b64 v[6:9], v20 offset0:4 offset1:5
	v_cndmask_b32_e64 v18, 0, 1, vcc_lo
	s_wait_dscnt 0x1
	v_cmp_gt_i64_e32 vcc_lo, v[2:3], v[12:13]
	v_add_nc_u64_e32 v[10:11], v[10:11], v[18:19]
	v_cndmask_b32_e64 v16, 0, 1, vcc_lo
	v_cmp_gt_i64_e32 vcc_lo, v[2:3], v[14:15]
	s_delay_alu instid0(VALU_DEP_2)
	v_add_nc_u64_e32 v[14:15], v[10:11], v[16:17]
	ds_load_2addr_b64 v[10:13], v20 offset0:6 offset1:7
	v_cndmask_b32_e64 v18, 0, 1, vcc_lo
	s_wait_dscnt 0x1
	v_cmp_gt_i64_e32 vcc_lo, v[2:3], v[6:7]
	v_mov_b32_e32 v7, s23
	s_delay_alu instid0(VALU_DEP_3) | instskip(SKIP_3) | instid1(VALU_DEP_3)
	v_add_nc_u64_e32 v[14:15], v[14:15], v[18:19]
	v_cndmask_b32_e64 v16, 0, 1, vcc_lo
	v_cmp_gt_i64_e32 vcc_lo, v[2:3], v[8:9]
	v_mov_b32_e32 v9, s23
	v_add_nc_u64_e32 v[14:15], v[14:15], v[16:17]
	v_cndmask_b32_e64 v6, 0, 1, vcc_lo
	s_wait_dscnt 0x0
	v_cmp_gt_i64_e32 vcc_lo, v[2:3], v[10:11]
	v_mov_b32_e32 v11, s23
	s_delay_alu instid0(VALU_DEP_3) | instskip(SKIP_2) | instid1(VALU_DEP_2)
	v_add_nc_u64_e32 v[6:7], v[14:15], v[6:7]
	v_cndmask_b32_e64 v8, 0, 1, vcc_lo
	v_cmp_gt_i64_e32 vcc_lo, v[2:3], v[12:13]
	v_add_nc_u64_e32 v[6:7], v[6:7], v[8:9]
	v_cndmask_b32_e64 v10, 0, 1, vcc_lo
	s_delay_alu instid0(VALU_DEP_1)
	v_add_nc_u64_e32 v[6:7], v[6:7], v[10:11]
	s_cbranch_scc0 .LBB107_68
; %bb.69:                               ;   in Loop: Header=BB107_66 Depth=1
	s_mov_b64 s[8:9], s[2:3]
.LBB107_70:                             ;   in Loop: Header=BB107_66 Depth=1
	s_and_not1_b32 vcc_lo, exec_lo, s11
	s_cbranch_vccnz .LBB107_65
; %bb.71:                               ;   in Loop: Header=BB107_66 Depth=1
	s_lshl_b32 s8, s8, 3
	s_delay_alu instid0(SALU_CYCLE_1)
	s_add_co_i32 s13, s8, 0
	s_mov_b64 s[8:9], s[6:7]
.LBB107_72:                             ;   Parent Loop BB107_66 Depth=1
                                        ; =>  This Inner Loop Header: Depth=2
	v_dual_mov_b32 v8, s13 :: v_dual_mov_b32 v11, s23
	s_add_nc_u64 s[8:9], s[8:9], -1
	s_add_co_i32 s13, s13, 8
	s_cmp_lg_u64 s[8:9], 0
	ds_load_b64 v[8:9], v8
	s_wait_dscnt 0x0
	v_cmp_gt_i64_e32 vcc_lo, v[2:3], v[8:9]
	v_cndmask_b32_e64 v10, 0, 1, vcc_lo
	s_delay_alu instid0(VALU_DEP_1)
	v_add_nc_u64_e32 v[6:7], v[6:7], v[10:11]
	s_cbranch_scc1 .LBB107_72
	s_branch .LBB107_65
.LBB107_73:
	s_endpgm
	.section	.rodata,"a",@progbits
	.p2align	6, 0x0
	.amdhsa_kernel _ZN9rocsparseL41csrgemm_numeric_fill_block_per_row_kernelILj512ELj32ELj1024ELj137ELj64ElldEEvT5_PKS1_S3_NS_24const_host_device_scalarIT6_EEPKT4_S3_PKS5_S9_S3_SB_S6_S9_S3_SB_S9_S3_PS5_21rocsparse_index_base_SD_SD_SD_bbb
		.amdhsa_group_segment_fixed_size 0
		.amdhsa_private_segment_fixed_size 0
		.amdhsa_kernarg_size 156
		.amdhsa_user_sgpr_count 2
		.amdhsa_user_sgpr_dispatch_ptr 0
		.amdhsa_user_sgpr_queue_ptr 0
		.amdhsa_user_sgpr_kernarg_segment_ptr 1
		.amdhsa_user_sgpr_dispatch_id 0
		.amdhsa_user_sgpr_kernarg_preload_length 0
		.amdhsa_user_sgpr_kernarg_preload_offset 0
		.amdhsa_user_sgpr_private_segment_size 0
		.amdhsa_wavefront_size32 1
		.amdhsa_uses_dynamic_stack 0
		.amdhsa_enable_private_segment 0
		.amdhsa_system_sgpr_workgroup_id_x 1
		.amdhsa_system_sgpr_workgroup_id_y 0
		.amdhsa_system_sgpr_workgroup_id_z 0
		.amdhsa_system_sgpr_workgroup_info 0
		.amdhsa_system_vgpr_workitem_id 0
		.amdhsa_next_free_vgpr 28
		.amdhsa_next_free_sgpr 45
		.amdhsa_named_barrier_count 0
		.amdhsa_reserve_vcc 1
		.amdhsa_float_round_mode_32 0
		.amdhsa_float_round_mode_16_64 0
		.amdhsa_float_denorm_mode_32 3
		.amdhsa_float_denorm_mode_16_64 3
		.amdhsa_fp16_overflow 0
		.amdhsa_memory_ordered 1
		.amdhsa_forward_progress 1
		.amdhsa_inst_pref_size 23
		.amdhsa_round_robin_scheduling 0
		.amdhsa_exception_fp_ieee_invalid_op 0
		.amdhsa_exception_fp_denorm_src 0
		.amdhsa_exception_fp_ieee_div_zero 0
		.amdhsa_exception_fp_ieee_overflow 0
		.amdhsa_exception_fp_ieee_underflow 0
		.amdhsa_exception_fp_ieee_inexact 0
		.amdhsa_exception_int_div_zero 0
	.end_amdhsa_kernel
	.section	.text._ZN9rocsparseL41csrgemm_numeric_fill_block_per_row_kernelILj512ELj32ELj1024ELj137ELj64ElldEEvT5_PKS1_S3_NS_24const_host_device_scalarIT6_EEPKT4_S3_PKS5_S9_S3_SB_S6_S9_S3_SB_S9_S3_PS5_21rocsparse_index_base_SD_SD_SD_bbb,"axG",@progbits,_ZN9rocsparseL41csrgemm_numeric_fill_block_per_row_kernelILj512ELj32ELj1024ELj137ELj64ElldEEvT5_PKS1_S3_NS_24const_host_device_scalarIT6_EEPKT4_S3_PKS5_S9_S3_SB_S6_S9_S3_SB_S9_S3_PS5_21rocsparse_index_base_SD_SD_SD_bbb,comdat
.Lfunc_end107:
	.size	_ZN9rocsparseL41csrgemm_numeric_fill_block_per_row_kernelILj512ELj32ELj1024ELj137ELj64ElldEEvT5_PKS1_S3_NS_24const_host_device_scalarIT6_EEPKT4_S3_PKS5_S9_S3_SB_S6_S9_S3_SB_S9_S3_PS5_21rocsparse_index_base_SD_SD_SD_bbb, .Lfunc_end107-_ZN9rocsparseL41csrgemm_numeric_fill_block_per_row_kernelILj512ELj32ELj1024ELj137ELj64ElldEEvT5_PKS1_S3_NS_24const_host_device_scalarIT6_EEPKT4_S3_PKS5_S9_S3_SB_S6_S9_S3_SB_S9_S3_PS5_21rocsparse_index_base_SD_SD_SD_bbb
                                        ; -- End function
	.set _ZN9rocsparseL41csrgemm_numeric_fill_block_per_row_kernelILj512ELj32ELj1024ELj137ELj64ElldEEvT5_PKS1_S3_NS_24const_host_device_scalarIT6_EEPKT4_S3_PKS5_S9_S3_SB_S6_S9_S3_SB_S9_S3_PS5_21rocsparse_index_base_SD_SD_SD_bbb.num_vgpr, 28
	.set _ZN9rocsparseL41csrgemm_numeric_fill_block_per_row_kernelILj512ELj32ELj1024ELj137ELj64ElldEEvT5_PKS1_S3_NS_24const_host_device_scalarIT6_EEPKT4_S3_PKS5_S9_S3_SB_S6_S9_S3_SB_S9_S3_PS5_21rocsparse_index_base_SD_SD_SD_bbb.num_agpr, 0
	.set _ZN9rocsparseL41csrgemm_numeric_fill_block_per_row_kernelILj512ELj32ELj1024ELj137ELj64ElldEEvT5_PKS1_S3_NS_24const_host_device_scalarIT6_EEPKT4_S3_PKS5_S9_S3_SB_S6_S9_S3_SB_S9_S3_PS5_21rocsparse_index_base_SD_SD_SD_bbb.numbered_sgpr, 45
	.set _ZN9rocsparseL41csrgemm_numeric_fill_block_per_row_kernelILj512ELj32ELj1024ELj137ELj64ElldEEvT5_PKS1_S3_NS_24const_host_device_scalarIT6_EEPKT4_S3_PKS5_S9_S3_SB_S6_S9_S3_SB_S9_S3_PS5_21rocsparse_index_base_SD_SD_SD_bbb.num_named_barrier, 0
	.set _ZN9rocsparseL41csrgemm_numeric_fill_block_per_row_kernelILj512ELj32ELj1024ELj137ELj64ElldEEvT5_PKS1_S3_NS_24const_host_device_scalarIT6_EEPKT4_S3_PKS5_S9_S3_SB_S6_S9_S3_SB_S9_S3_PS5_21rocsparse_index_base_SD_SD_SD_bbb.private_seg_size, 0
	.set _ZN9rocsparseL41csrgemm_numeric_fill_block_per_row_kernelILj512ELj32ELj1024ELj137ELj64ElldEEvT5_PKS1_S3_NS_24const_host_device_scalarIT6_EEPKT4_S3_PKS5_S9_S3_SB_S6_S9_S3_SB_S9_S3_PS5_21rocsparse_index_base_SD_SD_SD_bbb.uses_vcc, 1
	.set _ZN9rocsparseL41csrgemm_numeric_fill_block_per_row_kernelILj512ELj32ELj1024ELj137ELj64ElldEEvT5_PKS1_S3_NS_24const_host_device_scalarIT6_EEPKT4_S3_PKS5_S9_S3_SB_S6_S9_S3_SB_S9_S3_PS5_21rocsparse_index_base_SD_SD_SD_bbb.uses_flat_scratch, 0
	.set _ZN9rocsparseL41csrgemm_numeric_fill_block_per_row_kernelILj512ELj32ELj1024ELj137ELj64ElldEEvT5_PKS1_S3_NS_24const_host_device_scalarIT6_EEPKT4_S3_PKS5_S9_S3_SB_S6_S9_S3_SB_S9_S3_PS5_21rocsparse_index_base_SD_SD_SD_bbb.has_dyn_sized_stack, 0
	.set _ZN9rocsparseL41csrgemm_numeric_fill_block_per_row_kernelILj512ELj32ELj1024ELj137ELj64ElldEEvT5_PKS1_S3_NS_24const_host_device_scalarIT6_EEPKT4_S3_PKS5_S9_S3_SB_S6_S9_S3_SB_S9_S3_PS5_21rocsparse_index_base_SD_SD_SD_bbb.has_recursion, 0
	.set _ZN9rocsparseL41csrgemm_numeric_fill_block_per_row_kernelILj512ELj32ELj1024ELj137ELj64ElldEEvT5_PKS1_S3_NS_24const_host_device_scalarIT6_EEPKT4_S3_PKS5_S9_S3_SB_S6_S9_S3_SB_S9_S3_PS5_21rocsparse_index_base_SD_SD_SD_bbb.has_indirect_call, 0
	.section	.AMDGPU.csdata,"",@progbits
; Kernel info:
; codeLenInByte = 2852
; TotalNumSgprs: 47
; NumVgprs: 28
; ScratchSize: 0
; MemoryBound: 0
; FloatMode: 240
; IeeeMode: 1
; LDSByteSize: 0 bytes/workgroup (compile time only)
; SGPRBlocks: 0
; VGPRBlocks: 1
; NumSGPRsForWavesPerEU: 47
; NumVGPRsForWavesPerEU: 28
; NamedBarCnt: 0
; Occupancy: 16
; WaveLimiterHint : 1
; COMPUTE_PGM_RSRC2:SCRATCH_EN: 0
; COMPUTE_PGM_RSRC2:USER_SGPR: 2
; COMPUTE_PGM_RSRC2:TRAP_HANDLER: 0
; COMPUTE_PGM_RSRC2:TGID_X_EN: 1
; COMPUTE_PGM_RSRC2:TGID_Y_EN: 0
; COMPUTE_PGM_RSRC2:TGID_Z_EN: 0
; COMPUTE_PGM_RSRC2:TIDIG_COMP_CNT: 0
	.section	.text._ZN9rocsparseL41csrgemm_numeric_fill_block_per_row_kernelILj1024ELj32ELj2048ELj137ELj32ElldEEvT5_PKS1_S3_NS_24const_host_device_scalarIT6_EEPKT4_S3_PKS5_S9_S3_SB_S6_S9_S3_SB_S9_S3_PS5_21rocsparse_index_base_SD_SD_SD_bbb,"axG",@progbits,_ZN9rocsparseL41csrgemm_numeric_fill_block_per_row_kernelILj1024ELj32ELj2048ELj137ELj32ElldEEvT5_PKS1_S3_NS_24const_host_device_scalarIT6_EEPKT4_S3_PKS5_S9_S3_SB_S6_S9_S3_SB_S9_S3_PS5_21rocsparse_index_base_SD_SD_SD_bbb,comdat
	.globl	_ZN9rocsparseL41csrgemm_numeric_fill_block_per_row_kernelILj1024ELj32ELj2048ELj137ELj32ElldEEvT5_PKS1_S3_NS_24const_host_device_scalarIT6_EEPKT4_S3_PKS5_S9_S3_SB_S6_S9_S3_SB_S9_S3_PS5_21rocsparse_index_base_SD_SD_SD_bbb ; -- Begin function _ZN9rocsparseL41csrgemm_numeric_fill_block_per_row_kernelILj1024ELj32ELj2048ELj137ELj32ElldEEvT5_PKS1_S3_NS_24const_host_device_scalarIT6_EEPKT4_S3_PKS5_S9_S3_SB_S6_S9_S3_SB_S9_S3_PS5_21rocsparse_index_base_SD_SD_SD_bbb
	.p2align	8
	.type	_ZN9rocsparseL41csrgemm_numeric_fill_block_per_row_kernelILj1024ELj32ELj2048ELj137ELj32ElldEEvT5_PKS1_S3_NS_24const_host_device_scalarIT6_EEPKT4_S3_PKS5_S9_S3_SB_S6_S9_S3_SB_S9_S3_PS5_21rocsparse_index_base_SD_SD_SD_bbb,@function
_ZN9rocsparseL41csrgemm_numeric_fill_block_per_row_kernelILj1024ELj32ELj2048ELj137ELj32ElldEEvT5_PKS1_S3_NS_24const_host_device_scalarIT6_EEPKT4_S3_PKS5_S9_S3_SB_S6_S9_S3_SB_S9_S3_PS5_21rocsparse_index_base_SD_SD_SD_bbb: ; @_ZN9rocsparseL41csrgemm_numeric_fill_block_per_row_kernelILj1024ELj32ELj2048ELj137ELj32ElldEEvT5_PKS1_S3_NS_24const_host_device_scalarIT6_EEPKT4_S3_PKS5_S9_S3_SB_S6_S9_S3_SB_S9_S3_PS5_21rocsparse_index_base_SD_SD_SD_bbb
; %bb.0:
	s_clause 0x3
	s_load_b32 s6, s[0:1], 0x98
	s_load_b64 s[2:3], s[0:1], 0x18
	s_load_b128 s[44:47], s[0:1], 0x88
	s_load_b64 s[4:5], s[0:1], 0x50
	s_wait_kmcnt 0x0
	s_bitcmp1_b32 s6, 0
	s_cselect_b32 s19, -1, 0
	s_bitcmp1_b32 s6, 16
	s_cselect_b32 s7, -1, 0
	s_xor_b32 s8, s19, -1
	s_delay_alu instid0(SALU_CYCLE_1)
	s_or_b32 s10, s7, s8
	s_and_b32 s8, s19, exec_lo
	s_cselect_b32 s9, s3, 0
	s_cselect_b32 s8, s2, 0
	s_and_b32 vcc_lo, exec_lo, s10
	v_mov_b64_e32 v[6:7], s[8:9]
	s_cbranch_vccnz .LBB108_2
; %bb.1:
	v_mov_b32_e32 v1, 0
	flat_load_b64 v[6:7], v1, s[2:3]
.LBB108_2:
	s_wait_xcnt 0x0
	s_load_b64 s[2:3], s[0:1], 0x8
	s_bitcmp1_b32 s6, 8
	s_cselect_b32 s18, -1, 0
	s_delay_alu instid0(SALU_CYCLE_1) | instskip(NEXT) | instid1(SALU_CYCLE_1)
	s_xor_b32 s6, s18, -1
	s_or_b32 s8, s7, s6
	s_and_b32 s6, s18, exec_lo
	s_cselect_b32 s7, s5, 0
	s_cselect_b32 s6, s4, 0
	s_and_b32 vcc_lo, exec_lo, s8
	v_mov_b64_e32 v[2:3], s[6:7]
	s_cbranch_vccnz .LBB108_4
; %bb.3:
	v_mov_b32_e32 v1, 0
	flat_load_b64 v[2:3], v1, s[4:5]
.LBB108_4:
	s_clause 0x5
	s_load_b64 s[48:49], s[0:1], 0x0
	s_load_b64 s[16:17], s[0:1], 0x10
	;; [unrolled: 1-line block ×3, first 2 shown]
	s_load_b256 s[36:43], s[0:1], 0x58
	s_load_b128 s[12:15], s[0:1], 0x40
	s_load_b256 s[4:11], s[0:1], 0x20
	v_lshl_add_u32 v28, v0, 3, 0
	v_or_b32_e32 v29, 0xfffffc00, v0
	v_mov_b64_e32 v[4:5], 0
	s_wait_xcnt 0x0
	s_mov_b32 s0, 0
	s_delay_alu instid0(VALU_DEP_2)
	v_dual_mov_b32 v1, v28 :: v_dual_mov_b32 v10, v29
	s_wait_kmcnt 0x0
	v_mov_b64_e32 v[8:9], s[48:49]
.LBB108_5:                              ; =>This Inner Loop Header: Depth=1
	s_delay_alu instid0(VALU_DEP_2) | instskip(SKIP_4) | instid1(SALU_CYCLE_1)
	v_add_co_u32 v10, s1, 0x400, v10
	s_xor_b32 s1, s1, -1
	ds_store_2addr_stride64_b64 v1, v[8:9], v[4:5] offset1:32
	v_add_nc_u32_e32 v1, 0x2000, v1
	s_and_b32 s1, exec_lo, s1
	s_or_b32 s0, s1, s0
	s_delay_alu instid0(SALU_CYCLE_1)
	s_and_not1_b32 exec_lo, exec_lo, s0
	s_cbranch_execnz .LBB108_5
; %bb.6:
	s_or_b32 exec_lo, exec_lo, s0
	s_wait_loadcnt_dscnt 0x0
	s_barrier_signal -1
	s_barrier_wait -1
	s_load_b64 s[0:1], s[2:3], 0x0
	s_wait_xcnt 0x0
	s_bfe_u32 s2, ttmp6, 0x4000c
	s_and_b32 s3, ttmp6, 15
	s_add_co_i32 s2, s2, 1
	s_getreg_b32 s20, hwreg(HW_REG_IB_STS2, 6, 4)
	s_mul_i32 s2, ttmp9, s2
	v_lshrrev_b32_e32 v4, 5, v0
	s_add_co_i32 s3, s3, s2
	s_wait_kmcnt 0x0
	s_lshl_b64 s[0:1], s[0:1], 3
	s_cmp_eq_u32 s20, 0
	s_add_nc_u64 s[0:1], s[16:17], s[0:1]
	s_cselect_b32 s2, ttmp9, s3
	s_and_b32 vcc_lo, exec_lo, s19
	s_load_b64 s[50:51], s[0:1], s2 offset:0x0 scale_offset
	s_wait_xcnt 0x0
	s_mov_b32 s1, 0
	s_cbranch_vccz .LBB108_26
; %bb.7:
	s_wait_kmcnt 0x0
	s_lshl_b64 s[2:3], s[50:51], 3
	v_mov_b32_e32 v5, 0
	s_add_nc_u64 s[2:3], s[4:5], s[2:3]
	s_mov_b32 s0, s44
	s_load_b128 s[20:23], s[2:3], 0x0
	s_mov_b32 s16, exec_lo
	v_sub_nc_u64_e64 v[8:9], v[4:5], s[0:1]
	s_wait_kmcnt 0x0
	s_delay_alu instid0(VALU_DEP_1)
	v_add_nc_u64_e32 v[8:9], s[20:21], v[8:9]
	s_sub_nc_u64 s[2:3], s[22:23], s[0:1]
	s_delay_alu instid0(VALU_DEP_1) | instid1(SALU_CYCLE_1)
	v_cmpx_gt_i64_e64 s[2:3], v[8:9]
	s_cbranch_execz .LBB108_25
; %bb.8:
	v_dual_mov_b32 v11, v5 :: v_dual_bitop2_b32 v10, 31, v0 bitop3:0x40
	s_mov_b32 s5, 0
	s_mov_b32 s4, s45
	;; [unrolled: 1-line block ×3, first 2 shown]
	s_delay_alu instid0(VALU_DEP_1)
	v_sub_nc_u64_e64 v[10:11], v[10:11], s[4:5]
	s_branch .LBB108_10
.LBB108_9:                              ;   in Loop: Header=BB108_10 Depth=1
	s_or_b32 exec_lo, exec_lo, s19
	v_add_nc_u64_e32 v[8:9], 32, v[8:9]
	s_delay_alu instid0(VALU_DEP_1) | instskip(SKIP_1) | instid1(SALU_CYCLE_1)
	v_cmp_le_i64_e32 vcc_lo, s[2:3], v[8:9]
	s_or_b32 s17, vcc_lo, s17
	s_and_not1_b32 exec_lo, exec_lo, s17
	s_cbranch_execz .LBB108_25
.LBB108_10:                             ; =>This Loop Header: Depth=1
                                        ;     Child Loop BB108_14 Depth 2
                                        ;       Child Loop BB108_17 Depth 3
	v_lshl_add_u64 v[12:13], v[8:9], 3, s[6:7]
	s_mov_b32 s19, exec_lo
	global_load_b64 v[12:13], v[12:13], off
	s_wait_loadcnt 0x0
	s_wait_xcnt 0x0
	v_sub_nc_u64_e64 v[12:13], v[12:13], s[0:1]
	s_delay_alu instid0(VALU_DEP_1)
	v_lshl_add_u64 v[12:13], v[12:13], 3, s[10:11]
	global_load_b128 v[14:17], v[12:13], off
	s_wait_loadcnt 0x0
	s_wait_xcnt 0x0
	v_sub_nc_u64_e64 v[12:13], v[16:17], s[4:5]
	v_add_nc_u64_e32 v[14:15], v[14:15], v[10:11]
	s_delay_alu instid0(VALU_DEP_1)
	v_cmpx_lt_i64_e64 v[14:15], v[12:13]
	s_cbranch_execz .LBB108_9
; %bb.11:                               ;   in Loop: Header=BB108_10 Depth=1
	v_lshl_add_u64 v[16:17], v[8:9], 3, s[8:9]
	s_mov_b32 s20, 0
	global_load_b64 v[16:17], v[16:17], off
	s_wait_loadcnt 0x0
	s_wait_xcnt 0x0
	v_mul_f64_e32 v[16:17], v[6:7], v[16:17]
	s_branch .LBB108_14
.LBB108_12:                             ;   in Loop: Header=BB108_14 Depth=2
	s_or_b32 exec_lo, exec_lo, s22
.LBB108_13:                             ;   in Loop: Header=BB108_14 Depth=2
	s_delay_alu instid0(SALU_CYCLE_1) | instskip(SKIP_4) | instid1(VALU_DEP_1)
	s_or_b32 exec_lo, exec_lo, s21
	s_wait_loadcnt 0x0
	v_mul_f64_e32 v[18:19], v[16:17], v[18:19]
	v_lshl_add_u32 v1, v20, 3, 0
	v_add_nc_u64_e32 v[14:15], 32, v[14:15]
	v_cmp_ge_i64_e32 vcc_lo, v[14:15], v[12:13]
	s_or_b32 s20, vcc_lo, s20
	ds_add_f64 v1, v[18:19] offset:16384
	s_and_not1_b32 exec_lo, exec_lo, s20
	s_cbranch_execz .LBB108_9
.LBB108_14:                             ;   Parent Loop BB108_10 Depth=1
                                        ; =>  This Loop Header: Depth=2
                                        ;       Child Loop BB108_17 Depth 3
	v_lshlrev_b64_e32 v[18:19], 3, v[14:15]
	s_mov_b32 s21, exec_lo
	s_delay_alu instid0(VALU_DEP_1)
	v_add_nc_u64_e32 v[20:21], s[12:13], v[18:19]
	v_add_nc_u64_e32 v[18:19], s[14:15], v[18:19]
	global_load_b64 v[20:21], v[20:21], off
	global_load_b64 v[18:19], v[18:19], off
	s_wait_loadcnt 0x1
	v_sub_nc_u64_e64 v[22:23], v[20:21], s[4:5]
	s_delay_alu instid0(VALU_DEP_1) | instskip(SKIP_1) | instid1(VALU_DEP_1)
	v_mul_lo_u32 v1, 0x89, v22
	s_wait_xcnt 0x1
	v_and_b32_e32 v20, 0x7ff, v1
	s_delay_alu instid0(VALU_DEP_1)
	v_lshl_add_u32 v1, v20, 3, 0
	ds_load_b64 v[26:27], v1
	s_wait_dscnt 0x0
	s_wait_xcnt 0x0
	v_cmpx_ne_u64_e64 v[26:27], v[22:23]
	s_cbranch_execz .LBB108_13
; %bb.15:                               ;   in Loop: Header=BB108_14 Depth=2
	s_mov_b32 s22, 0
                                        ; implicit-def: $sgpr23
                                        ; implicit-def: $sgpr24
	s_branch .LBB108_17
.LBB108_16:                             ;   in Loop: Header=BB108_17 Depth=3
	s_or_b32 exec_lo, exec_lo, s27
	s_delay_alu instid0(SALU_CYCLE_1) | instskip(NEXT) | instid1(SALU_CYCLE_1)
	s_and_b32 s25, exec_lo, s26
	s_or_b32 s22, s25, s22
	s_and_not1_b32 s23, s23, exec_lo
	s_and_b32 s25, s24, exec_lo
	s_delay_alu instid0(SALU_CYCLE_1)
	s_or_b32 s23, s23, s25
	s_and_not1_b32 exec_lo, exec_lo, s22
	s_cbranch_execz .LBB108_23
.LBB108_17:                             ;   Parent Loop BB108_10 Depth=1
                                        ;     Parent Loop BB108_14 Depth=2
                                        ; =>    This Inner Loop Header: Depth=3
	v_mov_b64_e32 v[24:25], v[20:21]
	s_mov_b32 s25, 0
	s_mov_b32 s26, exec_lo
                                        ; implicit-def: $vgpr20_vgpr21
	v_cmpx_ne_u64_e64 s[48:49], v[26:27]
	s_xor_b32 s26, exec_lo, s26
; %bb.18:                               ;   in Loop: Header=BB108_17 Depth=3
	s_delay_alu instid0(VALU_DEP_2) | instskip(SKIP_1) | instid1(VALU_DEP_1)
	v_add_nc_u32_e32 v1, 1, v24
	s_mov_b32 s25, exec_lo
	v_and_b32_e32 v20, 0x7ff, v1
                                        ; implicit-def: $vgpr1
; %bb.19:                               ;   in Loop: Header=BB108_17 Depth=3
	s_and_not1_saveexec_b32 s26, s26
	s_cbranch_execz .LBB108_21
; %bb.20:                               ;   in Loop: Header=BB108_17 Depth=3
	v_mov_b64_e32 v[20:21], s[48:49]
	s_and_not1_b32 s25, s25, exec_lo
	ds_cmpstore_rtn_b64 v[20:21], v1, v[22:23], v[20:21]
	s_wait_dscnt 0x0
	v_cmp_ne_u64_e32 vcc_lo, s[48:49], v[20:21]
	v_mov_b64_e32 v[20:21], v[24:25]
	s_and_b32 s27, vcc_lo, exec_lo
	s_delay_alu instid0(SALU_CYCLE_1)
	s_or_b32 s25, s25, s27
.LBB108_21:                             ;   in Loop: Header=BB108_17 Depth=3
	s_or_b32 exec_lo, exec_lo, s26
	s_mov_b32 s26, -1
	s_or_b32 s24, s24, exec_lo
                                        ; implicit-def: $vgpr1
                                        ; implicit-def: $vgpr26_vgpr27
	s_and_saveexec_b32 s27, s25
	s_cbranch_execz .LBB108_16
; %bb.22:                               ;   in Loop: Header=BB108_17 Depth=3
	v_lshl_add_u32 v1, v20, 3, 0
	s_and_not1_b32 s24, s24, exec_lo
	ds_load_b64 v[26:27], v1
	s_wait_dscnt 0x0
	v_cmp_eq_u64_e32 vcc_lo, v[26:27], v[22:23]
	s_or_not1_b32 s26, vcc_lo, exec_lo
	s_branch .LBB108_16
.LBB108_23:                             ;   in Loop: Header=BB108_14 Depth=2
	s_or_b32 exec_lo, exec_lo, s22
	s_and_saveexec_b32 s22, s23
	s_delay_alu instid0(SALU_CYCLE_1)
	s_xor_b32 s22, exec_lo, s22
	s_cbranch_execz .LBB108_12
; %bb.24:                               ;   in Loop: Header=BB108_14 Depth=2
	v_mov_b32_e32 v20, v24
	s_branch .LBB108_12
.LBB108_25:
	s_or_b32 exec_lo, exec_lo, s16
.LBB108_26:
	s_delay_alu instid0(SALU_CYCLE_1)
	s_and_not1_b32 vcc_lo, exec_lo, s18
	s_cbranch_vccnz .LBB108_43
; %bb.27:
	s_wait_kmcnt 0x0
	s_lshl_b64 s[0:1], s[50:51], 3
	v_mov_b32_e32 v1, 0
	s_add_nc_u64 s[0:1], s[36:37], s[0:1]
	s_load_b128 s[4:7], s[0:1], 0x0
	s_wait_xcnt 0x0
	s_mov_b32 s1, 0
	s_mov_b32 s0, s47
	s_delay_alu instid0(SALU_CYCLE_1) | instskip(SKIP_1) | instid1(VALU_DEP_1)
	v_sub_nc_u64_e64 v[6:7], v[0:1], s[0:1]
	s_wait_kmcnt 0x0
	v_add_nc_u64_e32 v[6:7], s[4:5], v[6:7]
	s_sub_nc_u64 s[2:3], s[6:7], s[0:1]
	s_mov_b32 s4, exec_lo
	s_delay_alu instid0(VALU_DEP_1)
	v_cmpx_gt_i64_e64 s[2:3], v[6:7]
	s_cbranch_execz .LBB108_42
; %bb.28:
	s_mov_b32 s5, s1
	s_branch .LBB108_31
.LBB108_29:                             ;   in Loop: Header=BB108_31 Depth=1
	s_or_b32 exec_lo, exec_lo, s7
.LBB108_30:                             ;   in Loop: Header=BB108_31 Depth=1
	s_delay_alu instid0(SALU_CYCLE_1) | instskip(SKIP_4) | instid1(VALU_DEP_1)
	s_or_b32 exec_lo, exec_lo, s6
	s_wait_loadcnt 0x0
	v_mul_f64_e32 v[8:9], v[2:3], v[8:9]
	v_lshl_add_u32 v1, v10, 3, 0
	v_add_nc_u64_e32 v[6:7], 0x400, v[6:7]
	v_cmp_le_i64_e32 vcc_lo, s[2:3], v[6:7]
	s_or_b32 s5, vcc_lo, s5
	ds_add_f64 v1, v[8:9] offset:16384
	s_and_not1_b32 exec_lo, exec_lo, s5
	s_cbranch_execz .LBB108_42
.LBB108_31:                             ; =>This Loop Header: Depth=1
                                        ;     Child Loop BB108_34 Depth 2
	v_lshlrev_b64_e32 v[8:9], 3, v[6:7]
	s_mov_b32 s6, exec_lo
	s_delay_alu instid0(VALU_DEP_1)
	v_add_nc_u64_e32 v[10:11], s[38:39], v[8:9]
	v_add_nc_u64_e32 v[8:9], s[40:41], v[8:9]
	global_load_b64 v[10:11], v[10:11], off
	global_load_b64 v[8:9], v[8:9], off
	s_wait_loadcnt 0x1
	v_sub_nc_u64_e64 v[12:13], v[10:11], s[0:1]
	s_delay_alu instid0(VALU_DEP_1) | instskip(NEXT) | instid1(VALU_DEP_1)
	v_mul_lo_u32 v1, 0x89, v12
	v_and_b32_e32 v10, 0x7ff, v1
	s_delay_alu instid0(VALU_DEP_1)
	v_lshl_add_u32 v1, v10, 3, 0
	ds_load_b64 v[16:17], v1
	s_wait_dscnt 0x0
	s_wait_xcnt 0x0
	v_cmpx_ne_u64_e64 v[16:17], v[12:13]
	s_cbranch_execz .LBB108_30
; %bb.32:                               ;   in Loop: Header=BB108_31 Depth=1
	s_mov_b32 s7, 0
                                        ; implicit-def: $sgpr8
                                        ; implicit-def: $sgpr9
	s_branch .LBB108_34
.LBB108_33:                             ;   in Loop: Header=BB108_34 Depth=2
	s_or_b32 exec_lo, exec_lo, s12
	s_delay_alu instid0(SALU_CYCLE_1) | instskip(NEXT) | instid1(SALU_CYCLE_1)
	s_and_b32 s10, exec_lo, s11
	s_or_b32 s7, s10, s7
	s_and_not1_b32 s8, s8, exec_lo
	s_and_b32 s10, s9, exec_lo
	s_delay_alu instid0(SALU_CYCLE_1)
	s_or_b32 s8, s8, s10
	s_and_not1_b32 exec_lo, exec_lo, s7
	s_cbranch_execz .LBB108_40
.LBB108_34:                             ;   Parent Loop BB108_31 Depth=1
                                        ; =>  This Inner Loop Header: Depth=2
	v_mov_b64_e32 v[14:15], v[10:11]
	s_mov_b32 s10, 0
	s_mov_b32 s11, exec_lo
                                        ; implicit-def: $vgpr10_vgpr11
	v_cmpx_ne_u64_e64 s[48:49], v[16:17]
	s_xor_b32 s11, exec_lo, s11
; %bb.35:                               ;   in Loop: Header=BB108_34 Depth=2
	s_delay_alu instid0(VALU_DEP_2) | instskip(SKIP_1) | instid1(VALU_DEP_1)
	v_add_nc_u32_e32 v1, 1, v14
	s_mov_b32 s10, exec_lo
	v_and_b32_e32 v10, 0x7ff, v1
                                        ; implicit-def: $vgpr1
; %bb.36:                               ;   in Loop: Header=BB108_34 Depth=2
	s_and_not1_saveexec_b32 s11, s11
	s_cbranch_execz .LBB108_38
; %bb.37:                               ;   in Loop: Header=BB108_34 Depth=2
	v_mov_b64_e32 v[10:11], s[48:49]
	s_and_not1_b32 s10, s10, exec_lo
	ds_cmpstore_rtn_b64 v[10:11], v1, v[12:13], v[10:11]
	s_wait_dscnt 0x0
	v_cmp_ne_u64_e32 vcc_lo, s[48:49], v[10:11]
	v_mov_b64_e32 v[10:11], v[14:15]
	s_and_b32 s12, vcc_lo, exec_lo
	s_delay_alu instid0(SALU_CYCLE_1)
	s_or_b32 s10, s10, s12
.LBB108_38:                             ;   in Loop: Header=BB108_34 Depth=2
	s_or_b32 exec_lo, exec_lo, s11
	s_mov_b32 s11, -1
	s_or_b32 s9, s9, exec_lo
                                        ; implicit-def: $vgpr1
                                        ; implicit-def: $vgpr16_vgpr17
	s_and_saveexec_b32 s12, s10
	s_cbranch_execz .LBB108_33
; %bb.39:                               ;   in Loop: Header=BB108_34 Depth=2
	v_lshl_add_u32 v1, v10, 3, 0
	s_and_not1_b32 s9, s9, exec_lo
	ds_load_b64 v[16:17], v1
	s_wait_dscnt 0x0
	v_cmp_eq_u64_e32 vcc_lo, v[16:17], v[12:13]
	s_or_not1_b32 s11, vcc_lo, exec_lo
	s_branch .LBB108_33
.LBB108_40:                             ;   in Loop: Header=BB108_31 Depth=1
	s_or_b32 exec_lo, exec_lo, s7
	s_and_saveexec_b32 s7, s8
	s_delay_alu instid0(SALU_CYCLE_1)
	s_xor_b32 s7, exec_lo, s7
	s_cbranch_execz .LBB108_29
; %bb.41:                               ;   in Loop: Header=BB108_31 Depth=1
	v_mov_b32_e32 v10, v14
	s_branch .LBB108_29
.LBB108_42:
	s_or_b32 exec_lo, exec_lo, s4
.LBB108_43:
	v_mbcnt_lo_u32_b32 v2, -1, 0
	v_mov_b32_e32 v7, 0
	v_mov_b64_e32 v[10:11], 0
	v_lshl_add_u32 v1, v4, 3, 0
	v_cmp_lt_u32_e64 s0, 31, v0
	v_xor_b32_e32 v2, 31, v2
	v_cmp_lt_u32_e64 s1, 63, v0
	v_cmp_lt_u32_e64 s2, 0x5f, v0
	;; [unrolled: 1-line block ×4, first 2 shown]
	v_lshrrev_b32_e64 v8, v2, -1
	v_cmp_lt_u32_e64 s5, 0xbf, v0
	v_cmp_lt_u32_e64 s6, 0xdf, v0
	;; [unrolled: 1-line block ×26, first 2 shown]
	s_mov_b32 s33, 0
	s_wait_dscnt 0x0
	v_cmp_eq_u32_e32 vcc_lo, 0x3ff, v0
	s_barrier_signal -1
	s_barrier_wait -1
	s_branch .LBB108_45
.LBB108_44:                             ;   in Loop: Header=BB108_45 Depth=1
	s_or_b32 exec_lo, exec_lo, s31
	s_wait_dscnt 0x0
	s_barrier_signal -1
	s_barrier_wait -1
	ds_load_b64 v[2:3], v7 offset:33016
	v_add_co_u32 v29, s31, 0x400, v29
	s_xor_b32 s31, s31, -1
	v_add_nc_u32_e32 v28, 0x2000, v28
	s_and_b32 s31, exec_lo, s31
	s_delay_alu instid0(SALU_CYCLE_1)
	s_or_b32 s33, s31, s33
	s_wait_dscnt 0x0
	v_add_nc_u64_e32 v[10:11], v[2:3], v[10:11]
	s_and_not1_b32 exec_lo, exec_lo, s33
	s_cbranch_execz .LBB108_111
.LBB108_45:                             ; =>This Inner Loop Header: Depth=1
	ds_load_2addr_stride64_b64 v[2:5], v28 offset1:32
	s_wait_dscnt 0x0
	s_barrier_signal -1
	s_barrier_wait -1
	v_cmp_gt_i64_e64 s31, s[48:49], v[2:3]
	s_bcnt1_i32_b32 s36, s31
	s_delay_alu instid0(SALU_CYCLE_1) | instskip(NEXT) | instid1(VALU_DEP_1)
	v_dual_mov_b32 v6, s36 :: v_dual_bitop2_b32 v9, s31, v8 bitop3:0x40
	v_bcnt_u32_b32 v12, v9, 0
	ds_store_b64 v1, v[6:7] offset:32768
	s_wait_dscnt 0x0
	s_barrier_signal -1
	s_barrier_wait -1
	s_and_saveexec_b32 s36, s0
	s_cbranch_execnz .LBB108_78
; %bb.46:                               ;   in Loop: Header=BB108_45 Depth=1
	s_or_b32 exec_lo, exec_lo, s36
	s_and_saveexec_b32 s36, s1
	s_cbranch_execnz .LBB108_79
.LBB108_47:                             ;   in Loop: Header=BB108_45 Depth=1
	s_or_b32 exec_lo, exec_lo, s36
	s_and_saveexec_b32 s36, s2
	s_cbranch_execnz .LBB108_80
.LBB108_48:                             ;   in Loop: Header=BB108_45 Depth=1
	s_or_b32 exec_lo, exec_lo, s36
	s_and_saveexec_b32 s36, s3
	s_cbranch_execnz .LBB108_81
.LBB108_49:                             ;   in Loop: Header=BB108_45 Depth=1
	s_or_b32 exec_lo, exec_lo, s36
	s_and_saveexec_b32 s36, s4
	s_cbranch_execnz .LBB108_82
.LBB108_50:                             ;   in Loop: Header=BB108_45 Depth=1
	s_or_b32 exec_lo, exec_lo, s36
	s_and_saveexec_b32 s36, s5
	s_cbranch_execnz .LBB108_83
.LBB108_51:                             ;   in Loop: Header=BB108_45 Depth=1
	s_or_b32 exec_lo, exec_lo, s36
	s_and_saveexec_b32 s36, s6
	s_cbranch_execnz .LBB108_84
.LBB108_52:                             ;   in Loop: Header=BB108_45 Depth=1
	s_or_b32 exec_lo, exec_lo, s36
	s_and_saveexec_b32 s36, s7
	s_cbranch_execnz .LBB108_85
.LBB108_53:                             ;   in Loop: Header=BB108_45 Depth=1
	s_or_b32 exec_lo, exec_lo, s36
	s_and_saveexec_b32 s36, s8
	s_cbranch_execnz .LBB108_86
.LBB108_54:                             ;   in Loop: Header=BB108_45 Depth=1
	s_or_b32 exec_lo, exec_lo, s36
	s_and_saveexec_b32 s36, s9
	s_cbranch_execnz .LBB108_87
.LBB108_55:                             ;   in Loop: Header=BB108_45 Depth=1
	s_or_b32 exec_lo, exec_lo, s36
	s_and_saveexec_b32 s36, s10
	s_cbranch_execnz .LBB108_88
.LBB108_56:                             ;   in Loop: Header=BB108_45 Depth=1
	s_or_b32 exec_lo, exec_lo, s36
	s_and_saveexec_b32 s36, s11
	s_cbranch_execnz .LBB108_89
.LBB108_57:                             ;   in Loop: Header=BB108_45 Depth=1
	s_or_b32 exec_lo, exec_lo, s36
	s_and_saveexec_b32 s36, s12
	s_cbranch_execnz .LBB108_90
.LBB108_58:                             ;   in Loop: Header=BB108_45 Depth=1
	s_or_b32 exec_lo, exec_lo, s36
	s_and_saveexec_b32 s36, s13
	s_cbranch_execnz .LBB108_91
.LBB108_59:                             ;   in Loop: Header=BB108_45 Depth=1
	s_or_b32 exec_lo, exec_lo, s36
	s_and_saveexec_b32 s36, s14
	s_cbranch_execnz .LBB108_92
.LBB108_60:                             ;   in Loop: Header=BB108_45 Depth=1
	s_or_b32 exec_lo, exec_lo, s36
	s_and_saveexec_b32 s36, s15
	s_cbranch_execnz .LBB108_93
.LBB108_61:                             ;   in Loop: Header=BB108_45 Depth=1
	s_or_b32 exec_lo, exec_lo, s36
	s_and_saveexec_b32 s36, s16
	s_cbranch_execnz .LBB108_94
.LBB108_62:                             ;   in Loop: Header=BB108_45 Depth=1
	s_or_b32 exec_lo, exec_lo, s36
	s_and_saveexec_b32 s36, s17
	s_cbranch_execnz .LBB108_95
.LBB108_63:                             ;   in Loop: Header=BB108_45 Depth=1
	s_or_b32 exec_lo, exec_lo, s36
	s_and_saveexec_b32 s36, s18
	s_cbranch_execnz .LBB108_96
.LBB108_64:                             ;   in Loop: Header=BB108_45 Depth=1
	s_or_b32 exec_lo, exec_lo, s36
	s_and_saveexec_b32 s36, s19
	s_cbranch_execnz .LBB108_97
.LBB108_65:                             ;   in Loop: Header=BB108_45 Depth=1
	s_or_b32 exec_lo, exec_lo, s36
	s_and_saveexec_b32 s36, s20
	s_cbranch_execnz .LBB108_98
.LBB108_66:                             ;   in Loop: Header=BB108_45 Depth=1
	s_or_b32 exec_lo, exec_lo, s36
	s_and_saveexec_b32 s36, s21
	s_cbranch_execnz .LBB108_99
.LBB108_67:                             ;   in Loop: Header=BB108_45 Depth=1
	s_or_b32 exec_lo, exec_lo, s36
	s_and_saveexec_b32 s36, s22
	s_cbranch_execnz .LBB108_100
.LBB108_68:                             ;   in Loop: Header=BB108_45 Depth=1
	s_or_b32 exec_lo, exec_lo, s36
	s_and_saveexec_b32 s36, s23
	s_cbranch_execnz .LBB108_101
.LBB108_69:                             ;   in Loop: Header=BB108_45 Depth=1
	s_or_b32 exec_lo, exec_lo, s36
	s_and_saveexec_b32 s36, s24
	s_cbranch_execnz .LBB108_102
.LBB108_70:                             ;   in Loop: Header=BB108_45 Depth=1
	s_or_b32 exec_lo, exec_lo, s36
	s_and_saveexec_b32 s36, s25
	s_cbranch_execnz .LBB108_103
.LBB108_71:                             ;   in Loop: Header=BB108_45 Depth=1
	s_or_b32 exec_lo, exec_lo, s36
	s_and_saveexec_b32 s36, s26
	s_cbranch_execnz .LBB108_104
.LBB108_72:                             ;   in Loop: Header=BB108_45 Depth=1
	s_or_b32 exec_lo, exec_lo, s36
	s_and_saveexec_b32 s36, s27
	s_cbranch_execnz .LBB108_105
.LBB108_73:                             ;   in Loop: Header=BB108_45 Depth=1
	s_or_b32 exec_lo, exec_lo, s36
	s_and_saveexec_b32 s36, s28
	s_cbranch_execnz .LBB108_106
.LBB108_74:                             ;   in Loop: Header=BB108_45 Depth=1
	s_or_b32 exec_lo, exec_lo, s36
	s_and_saveexec_b32 s36, s29
	s_cbranch_execnz .LBB108_107
.LBB108_75:                             ;   in Loop: Header=BB108_45 Depth=1
	s_or_b32 exec_lo, exec_lo, s36
	s_and_saveexec_b32 s36, s30
	s_cbranch_execnz .LBB108_108
.LBB108_76:                             ;   in Loop: Header=BB108_45 Depth=1
	s_or_b32 exec_lo, exec_lo, s36
	v_ashrrev_i32_e32 v13, 31, v12
	s_and_saveexec_b32 s36, s31
	s_cbranch_execnz .LBB108_109
.LBB108_77:                             ;   in Loop: Header=BB108_45 Depth=1
	s_or_b32 exec_lo, exec_lo, s36
	s_and_saveexec_b32 s31, vcc_lo
	s_cbranch_execz .LBB108_44
	s_branch .LBB108_110
.LBB108_78:                             ;   in Loop: Header=BB108_45 Depth=1
	ds_load_b32 v6, v7 offset:32768
	s_wait_dscnt 0x0
	v_add_nc_u32_e32 v12, v6, v12
	s_or_b32 exec_lo, exec_lo, s36
	s_and_saveexec_b32 s36, s1
	s_cbranch_execz .LBB108_47
.LBB108_79:                             ;   in Loop: Header=BB108_45 Depth=1
	ds_load_b32 v6, v7 offset:32776
	s_wait_dscnt 0x0
	v_add_nc_u32_e32 v12, v12, v6
	s_or_b32 exec_lo, exec_lo, s36
	s_and_saveexec_b32 s36, s2
	s_cbranch_execz .LBB108_48
.LBB108_80:                             ;   in Loop: Header=BB108_45 Depth=1
	ds_load_b32 v6, v7 offset:32784
	s_wait_dscnt 0x0
	v_add_nc_u32_e32 v12, v12, v6
	s_or_b32 exec_lo, exec_lo, s36
	s_and_saveexec_b32 s36, s3
	s_cbranch_execz .LBB108_49
.LBB108_81:                             ;   in Loop: Header=BB108_45 Depth=1
	ds_load_b32 v6, v7 offset:32792
	s_wait_dscnt 0x0
	v_add_nc_u32_e32 v12, v12, v6
	s_or_b32 exec_lo, exec_lo, s36
	s_and_saveexec_b32 s36, s4
	s_cbranch_execz .LBB108_50
.LBB108_82:                             ;   in Loop: Header=BB108_45 Depth=1
	ds_load_b32 v6, v7 offset:32800
	s_wait_dscnt 0x0
	v_add_nc_u32_e32 v12, v12, v6
	s_or_b32 exec_lo, exec_lo, s36
	s_and_saveexec_b32 s36, s5
	s_cbranch_execz .LBB108_51
.LBB108_83:                             ;   in Loop: Header=BB108_45 Depth=1
	ds_load_b32 v6, v7 offset:32808
	s_wait_dscnt 0x0
	v_add_nc_u32_e32 v12, v12, v6
	s_or_b32 exec_lo, exec_lo, s36
	s_and_saveexec_b32 s36, s6
	s_cbranch_execz .LBB108_52
.LBB108_84:                             ;   in Loop: Header=BB108_45 Depth=1
	ds_load_b32 v6, v7 offset:32816
	s_wait_dscnt 0x0
	v_add_nc_u32_e32 v12, v12, v6
	s_or_b32 exec_lo, exec_lo, s36
	s_and_saveexec_b32 s36, s7
	s_cbranch_execz .LBB108_53
.LBB108_85:                             ;   in Loop: Header=BB108_45 Depth=1
	ds_load_b32 v6, v7 offset:32824
	s_wait_dscnt 0x0
	v_add_nc_u32_e32 v12, v12, v6
	s_or_b32 exec_lo, exec_lo, s36
	s_and_saveexec_b32 s36, s8
	s_cbranch_execz .LBB108_54
.LBB108_86:                             ;   in Loop: Header=BB108_45 Depth=1
	ds_load_b32 v6, v7 offset:32832
	s_wait_dscnt 0x0
	v_add_nc_u32_e32 v12, v12, v6
	s_or_b32 exec_lo, exec_lo, s36
	s_and_saveexec_b32 s36, s9
	s_cbranch_execz .LBB108_55
.LBB108_87:                             ;   in Loop: Header=BB108_45 Depth=1
	ds_load_b32 v6, v7 offset:32840
	s_wait_dscnt 0x0
	v_add_nc_u32_e32 v12, v12, v6
	s_or_b32 exec_lo, exec_lo, s36
	s_and_saveexec_b32 s36, s10
	s_cbranch_execz .LBB108_56
.LBB108_88:                             ;   in Loop: Header=BB108_45 Depth=1
	ds_load_b32 v6, v7 offset:32848
	s_wait_dscnt 0x0
	v_add_nc_u32_e32 v12, v12, v6
	s_or_b32 exec_lo, exec_lo, s36
	s_and_saveexec_b32 s36, s11
	s_cbranch_execz .LBB108_57
.LBB108_89:                             ;   in Loop: Header=BB108_45 Depth=1
	ds_load_b32 v6, v7 offset:32856
	s_wait_dscnt 0x0
	v_add_nc_u32_e32 v12, v12, v6
	s_or_b32 exec_lo, exec_lo, s36
	s_and_saveexec_b32 s36, s12
	s_cbranch_execz .LBB108_58
.LBB108_90:                             ;   in Loop: Header=BB108_45 Depth=1
	ds_load_b32 v6, v7 offset:32864
	s_wait_dscnt 0x0
	v_add_nc_u32_e32 v12, v12, v6
	s_or_b32 exec_lo, exec_lo, s36
	s_and_saveexec_b32 s36, s13
	s_cbranch_execz .LBB108_59
.LBB108_91:                             ;   in Loop: Header=BB108_45 Depth=1
	ds_load_b32 v6, v7 offset:32872
	s_wait_dscnt 0x0
	v_add_nc_u32_e32 v12, v12, v6
	s_or_b32 exec_lo, exec_lo, s36
	s_and_saveexec_b32 s36, s14
	s_cbranch_execz .LBB108_60
.LBB108_92:                             ;   in Loop: Header=BB108_45 Depth=1
	ds_load_b32 v6, v7 offset:32880
	s_wait_dscnt 0x0
	v_add_nc_u32_e32 v12, v12, v6
	s_or_b32 exec_lo, exec_lo, s36
	s_and_saveexec_b32 s36, s15
	s_cbranch_execz .LBB108_61
.LBB108_93:                             ;   in Loop: Header=BB108_45 Depth=1
	ds_load_b32 v6, v7 offset:32888
	s_wait_dscnt 0x0
	v_add_nc_u32_e32 v12, v12, v6
	s_or_b32 exec_lo, exec_lo, s36
	s_and_saveexec_b32 s36, s16
	s_cbranch_execz .LBB108_62
.LBB108_94:                             ;   in Loop: Header=BB108_45 Depth=1
	ds_load_b32 v6, v7 offset:32896
	s_wait_dscnt 0x0
	v_add_nc_u32_e32 v12, v12, v6
	s_or_b32 exec_lo, exec_lo, s36
	s_and_saveexec_b32 s36, s17
	s_cbranch_execz .LBB108_63
.LBB108_95:                             ;   in Loop: Header=BB108_45 Depth=1
	ds_load_b32 v6, v7 offset:32904
	s_wait_dscnt 0x0
	v_add_nc_u32_e32 v12, v12, v6
	s_or_b32 exec_lo, exec_lo, s36
	s_and_saveexec_b32 s36, s18
	s_cbranch_execz .LBB108_64
.LBB108_96:                             ;   in Loop: Header=BB108_45 Depth=1
	ds_load_b32 v6, v7 offset:32912
	s_wait_dscnt 0x0
	v_add_nc_u32_e32 v12, v12, v6
	s_or_b32 exec_lo, exec_lo, s36
	s_and_saveexec_b32 s36, s19
	s_cbranch_execz .LBB108_65
.LBB108_97:                             ;   in Loop: Header=BB108_45 Depth=1
	ds_load_b32 v6, v7 offset:32920
	s_wait_dscnt 0x0
	v_add_nc_u32_e32 v12, v12, v6
	s_or_b32 exec_lo, exec_lo, s36
	s_and_saveexec_b32 s36, s20
	s_cbranch_execz .LBB108_66
.LBB108_98:                             ;   in Loop: Header=BB108_45 Depth=1
	ds_load_b32 v6, v7 offset:32928
	s_wait_dscnt 0x0
	v_add_nc_u32_e32 v12, v12, v6
	s_or_b32 exec_lo, exec_lo, s36
	s_and_saveexec_b32 s36, s21
	s_cbranch_execz .LBB108_67
.LBB108_99:                             ;   in Loop: Header=BB108_45 Depth=1
	ds_load_b32 v6, v7 offset:32936
	s_wait_dscnt 0x0
	v_add_nc_u32_e32 v12, v12, v6
	s_or_b32 exec_lo, exec_lo, s36
	s_and_saveexec_b32 s36, s22
	s_cbranch_execz .LBB108_68
.LBB108_100:                            ;   in Loop: Header=BB108_45 Depth=1
	ds_load_b32 v6, v7 offset:32944
	s_wait_dscnt 0x0
	v_add_nc_u32_e32 v12, v12, v6
	s_or_b32 exec_lo, exec_lo, s36
	s_and_saveexec_b32 s36, s23
	s_cbranch_execz .LBB108_69
.LBB108_101:                            ;   in Loop: Header=BB108_45 Depth=1
	ds_load_b32 v6, v7 offset:32952
	s_wait_dscnt 0x0
	v_add_nc_u32_e32 v12, v12, v6
	s_or_b32 exec_lo, exec_lo, s36
	s_and_saveexec_b32 s36, s24
	s_cbranch_execz .LBB108_70
.LBB108_102:                            ;   in Loop: Header=BB108_45 Depth=1
	ds_load_b32 v6, v7 offset:32960
	s_wait_dscnt 0x0
	v_add_nc_u32_e32 v12, v12, v6
	s_or_b32 exec_lo, exec_lo, s36
	s_and_saveexec_b32 s36, s25
	s_cbranch_execz .LBB108_71
.LBB108_103:                            ;   in Loop: Header=BB108_45 Depth=1
	ds_load_b32 v6, v7 offset:32968
	s_wait_dscnt 0x0
	v_add_nc_u32_e32 v12, v12, v6
	s_or_b32 exec_lo, exec_lo, s36
	s_and_saveexec_b32 s36, s26
	s_cbranch_execz .LBB108_72
.LBB108_104:                            ;   in Loop: Header=BB108_45 Depth=1
	ds_load_b32 v6, v7 offset:32976
	s_wait_dscnt 0x0
	v_add_nc_u32_e32 v12, v12, v6
	s_or_b32 exec_lo, exec_lo, s36
	s_and_saveexec_b32 s36, s27
	s_cbranch_execz .LBB108_73
.LBB108_105:                            ;   in Loop: Header=BB108_45 Depth=1
	ds_load_b32 v6, v7 offset:32984
	s_wait_dscnt 0x0
	v_add_nc_u32_e32 v12, v12, v6
	s_or_b32 exec_lo, exec_lo, s36
	s_and_saveexec_b32 s36, s28
	s_cbranch_execz .LBB108_74
.LBB108_106:                            ;   in Loop: Header=BB108_45 Depth=1
	ds_load_b32 v6, v7 offset:32992
	s_wait_dscnt 0x0
	v_add_nc_u32_e32 v12, v12, v6
	s_or_b32 exec_lo, exec_lo, s36
	s_and_saveexec_b32 s36, s29
	s_cbranch_execz .LBB108_75
.LBB108_107:                            ;   in Loop: Header=BB108_45 Depth=1
	ds_load_b32 v6, v7 offset:33000
	s_wait_dscnt 0x0
	v_add_nc_u32_e32 v12, v12, v6
	s_or_b32 exec_lo, exec_lo, s36
	s_and_saveexec_b32 s36, s30
	s_cbranch_execz .LBB108_76
.LBB108_108:                            ;   in Loop: Header=BB108_45 Depth=1
	ds_load_b32 v6, v7 offset:33008
	s_wait_dscnt 0x0
	v_add_nc_u32_e32 v12, v12, v6
	s_or_b32 exec_lo, exec_lo, s36
	s_delay_alu instid0(VALU_DEP_1)
	v_ashrrev_i32_e32 v13, 31, v12
	s_and_saveexec_b32 s36, s31
	s_cbranch_execz .LBB108_77
.LBB108_109:                            ;   in Loop: Header=BB108_45 Depth=1
	v_add3_u32 v6, v10, -1, v12
	v_add_nc_u32_e32 v9, v10, v12
	s_delay_alu instid0(VALU_DEP_2) | instskip(NEXT) | instid1(VALU_DEP_2)
	v_lshl_add_u32 v6, v6, 3, 0
	v_lshl_add_u32 v9, v9, 3, 0
	ds_store_b64 v6, v[2:3]
	ds_store_b64 v9, v[4:5] offset:16376
	s_or_b32 exec_lo, exec_lo, s36
	s_and_saveexec_b32 s31, vcc_lo
	s_cbranch_execz .LBB108_44
.LBB108_110:                            ;   in Loop: Header=BB108_45 Depth=1
	ds_store_b64 v7, v[12:13] offset:33016
	s_branch .LBB108_44
.LBB108_111:
	s_or_b32 exec_lo, exec_lo, s33
	s_wait_kmcnt 0x0
	s_lshl_b64 s[0:1], s[50:51], 3
	v_mov_b32_e32 v1, 0
	s_add_nc_u64 s[4:5], s[42:43], s[0:1]
	s_mov_b32 s6, exec_lo
	s_load_b128 s[0:3], s[4:5], 0x0
	s_wait_kmcnt 0x0
	s_sub_nc_u64 s[4:5], s[2:3], s[0:1]
	s_delay_alu instid0(SALU_CYCLE_1)
	v_cmpx_gt_i64_e64 s[4:5], v[0:1]
	s_cbranch_execz .LBB108_121
; %bb.112:
	s_sub_nc_u64 s[8:9], s[0:1], s[2:3]
	s_and_b64 s[6:7], s[4:5], 7
	v_cmp_lt_u64_e64 s10, s[8:9], -7
	s_and_b64 s[2:3], s[4:5], -8
	s_mov_b32 s47, 0
	s_cmp_lg_u64 s[6:7], 0
	s_sub_nc_u64 s[0:1], s[0:1], s[46:47]
	s_cselect_b32 s11, -1, 0
	s_mov_b32 s12, 0
	s_branch .LBB108_114
.LBB108_113:                            ;   in Loop: Header=BB108_114 Depth=1
	v_add_nc_u64_e32 v[0:1], 0x400, v[0:1]
	s_wait_dscnt 0x0
	s_delay_alu instid0(VALU_DEP_2)
	v_lshl_add_u64 v[2:3], v[6:7], 3, s[34:35]
	global_store_b64 v[2:3], v[4:5], off
	v_cmp_le_i64_e32 vcc_lo, s[4:5], v[0:1]
	s_or_b32 s12, vcc_lo, s12
	s_wait_xcnt 0x0
	s_and_not1_b32 exec_lo, exec_lo, s12
	s_cbranch_execz .LBB108_121
.LBB108_114:                            ; =>This Loop Header: Depth=1
                                        ;     Child Loop BB108_116 Depth 2
                                        ;     Child Loop BB108_120 Depth 2
	v_lshl_add_u32 v2, v0, 3, 0
	v_mov_b64_e32 v[6:7], s[0:1]
	s_and_not1_b32 vcc_lo, exec_lo, s10
	s_mov_b64 s[8:9], 0
	ds_load_2addr_stride64_b64 v[2:5], v2 offset1:32
	s_cbranch_vccnz .LBB108_118
; %bb.115:                              ;   in Loop: Header=BB108_114 Depth=1
	v_mov_b64_e32 v[6:7], s[0:1]
	s_mov_b32 s13, 0
.LBB108_116:                            ;   Parent Loop BB108_114 Depth=1
                                        ; =>  This Inner Loop Header: Depth=2
	s_delay_alu instid0(SALU_CYCLE_1)
	v_dual_mov_b32 v20, s13 :: v_dual_mov_b32 v17, s47
	v_mov_b32_e32 v19, s47
	s_add_nc_u64 s[8:9], s[8:9], 8
	s_add_co_i32 s13, s13, 64
	ds_load_2addr_b64 v[8:11], v20 offset1:1
	ds_load_2addr_b64 v[12:15], v20 offset0:2 offset1:3
	s_cmp_eq_u64 s[2:3], s[8:9]
	s_wait_dscnt 0x1
	v_cmp_gt_i64_e32 vcc_lo, v[2:3], v[8:9]
	v_cndmask_b32_e64 v16, 0, 1, vcc_lo
	v_cmp_gt_i64_e32 vcc_lo, v[2:3], v[10:11]
	s_delay_alu instid0(VALU_DEP_2) | instskip(SKIP_4) | instid1(VALU_DEP_2)
	v_add_nc_u64_e32 v[10:11], v[6:7], v[16:17]
	ds_load_2addr_b64 v[6:9], v20 offset0:4 offset1:5
	v_cndmask_b32_e64 v18, 0, 1, vcc_lo
	s_wait_dscnt 0x1
	v_cmp_gt_i64_e32 vcc_lo, v[2:3], v[12:13]
	v_add_nc_u64_e32 v[10:11], v[10:11], v[18:19]
	v_cndmask_b32_e64 v16, 0, 1, vcc_lo
	v_cmp_gt_i64_e32 vcc_lo, v[2:3], v[14:15]
	s_delay_alu instid0(VALU_DEP_2)
	v_add_nc_u64_e32 v[14:15], v[10:11], v[16:17]
	ds_load_2addr_b64 v[10:13], v20 offset0:6 offset1:7
	v_cndmask_b32_e64 v18, 0, 1, vcc_lo
	s_wait_dscnt 0x1
	v_cmp_gt_i64_e32 vcc_lo, v[2:3], v[6:7]
	v_mov_b32_e32 v7, s47
	s_delay_alu instid0(VALU_DEP_3) | instskip(SKIP_3) | instid1(VALU_DEP_3)
	v_add_nc_u64_e32 v[14:15], v[14:15], v[18:19]
	v_cndmask_b32_e64 v16, 0, 1, vcc_lo
	v_cmp_gt_i64_e32 vcc_lo, v[2:3], v[8:9]
	v_mov_b32_e32 v9, s47
	v_add_nc_u64_e32 v[14:15], v[14:15], v[16:17]
	v_cndmask_b32_e64 v6, 0, 1, vcc_lo
	s_wait_dscnt 0x0
	v_cmp_gt_i64_e32 vcc_lo, v[2:3], v[10:11]
	v_mov_b32_e32 v11, s47
	s_delay_alu instid0(VALU_DEP_3) | instskip(SKIP_2) | instid1(VALU_DEP_2)
	v_add_nc_u64_e32 v[6:7], v[14:15], v[6:7]
	v_cndmask_b32_e64 v8, 0, 1, vcc_lo
	v_cmp_gt_i64_e32 vcc_lo, v[2:3], v[12:13]
	v_add_nc_u64_e32 v[6:7], v[6:7], v[8:9]
	v_cndmask_b32_e64 v10, 0, 1, vcc_lo
	s_delay_alu instid0(VALU_DEP_1)
	v_add_nc_u64_e32 v[6:7], v[6:7], v[10:11]
	s_cbranch_scc0 .LBB108_116
; %bb.117:                              ;   in Loop: Header=BB108_114 Depth=1
	s_mov_b64 s[8:9], s[2:3]
.LBB108_118:                            ;   in Loop: Header=BB108_114 Depth=1
	s_and_not1_b32 vcc_lo, exec_lo, s11
	s_cbranch_vccnz .LBB108_113
; %bb.119:                              ;   in Loop: Header=BB108_114 Depth=1
	s_lshl_b32 s8, s8, 3
	s_delay_alu instid0(SALU_CYCLE_1)
	s_add_co_i32 s13, s8, 0
	s_mov_b64 s[8:9], s[6:7]
.LBB108_120:                            ;   Parent Loop BB108_114 Depth=1
                                        ; =>  This Inner Loop Header: Depth=2
	v_dual_mov_b32 v8, s13 :: v_dual_mov_b32 v11, s47
	s_add_nc_u64 s[8:9], s[8:9], -1
	s_add_co_i32 s13, s13, 8
	s_cmp_lg_u64 s[8:9], 0
	ds_load_b64 v[8:9], v8
	s_wait_dscnt 0x0
	v_cmp_gt_i64_e32 vcc_lo, v[2:3], v[8:9]
	v_cndmask_b32_e64 v10, 0, 1, vcc_lo
	s_delay_alu instid0(VALU_DEP_1)
	v_add_nc_u64_e32 v[6:7], v[6:7], v[10:11]
	s_cbranch_scc1 .LBB108_120
	s_branch .LBB108_113
.LBB108_121:
	s_endpgm
	.section	.rodata,"a",@progbits
	.p2align	6, 0x0
	.amdhsa_kernel _ZN9rocsparseL41csrgemm_numeric_fill_block_per_row_kernelILj1024ELj32ELj2048ELj137ELj32ElldEEvT5_PKS1_S3_NS_24const_host_device_scalarIT6_EEPKT4_S3_PKS5_S9_S3_SB_S6_S9_S3_SB_S9_S3_PS5_21rocsparse_index_base_SD_SD_SD_bbb
		.amdhsa_group_segment_fixed_size 0
		.amdhsa_private_segment_fixed_size 0
		.amdhsa_kernarg_size 156
		.amdhsa_user_sgpr_count 2
		.amdhsa_user_sgpr_dispatch_ptr 0
		.amdhsa_user_sgpr_queue_ptr 0
		.amdhsa_user_sgpr_kernarg_segment_ptr 1
		.amdhsa_user_sgpr_dispatch_id 0
		.amdhsa_user_sgpr_kernarg_preload_length 0
		.amdhsa_user_sgpr_kernarg_preload_offset 0
		.amdhsa_user_sgpr_private_segment_size 0
		.amdhsa_wavefront_size32 1
		.amdhsa_uses_dynamic_stack 0
		.amdhsa_enable_private_segment 0
		.amdhsa_system_sgpr_workgroup_id_x 1
		.amdhsa_system_sgpr_workgroup_id_y 0
		.amdhsa_system_sgpr_workgroup_id_z 0
		.amdhsa_system_sgpr_workgroup_info 0
		.amdhsa_system_vgpr_workitem_id 0
		.amdhsa_next_free_vgpr 30
		.amdhsa_next_free_sgpr 52
		.amdhsa_named_barrier_count 0
		.amdhsa_reserve_vcc 1
		.amdhsa_float_round_mode_32 0
		.amdhsa_float_round_mode_16_64 0
		.amdhsa_float_denorm_mode_32 3
		.amdhsa_float_denorm_mode_16_64 3
		.amdhsa_fp16_overflow 0
		.amdhsa_memory_ordered 1
		.amdhsa_forward_progress 1
		.amdhsa_inst_pref_size 32
		.amdhsa_round_robin_scheduling 0
		.amdhsa_exception_fp_ieee_invalid_op 0
		.amdhsa_exception_fp_denorm_src 0
		.amdhsa_exception_fp_ieee_div_zero 0
		.amdhsa_exception_fp_ieee_overflow 0
		.amdhsa_exception_fp_ieee_underflow 0
		.amdhsa_exception_fp_ieee_inexact 0
		.amdhsa_exception_int_div_zero 0
	.end_amdhsa_kernel
	.section	.text._ZN9rocsparseL41csrgemm_numeric_fill_block_per_row_kernelILj1024ELj32ELj2048ELj137ELj32ElldEEvT5_PKS1_S3_NS_24const_host_device_scalarIT6_EEPKT4_S3_PKS5_S9_S3_SB_S6_S9_S3_SB_S9_S3_PS5_21rocsparse_index_base_SD_SD_SD_bbb,"axG",@progbits,_ZN9rocsparseL41csrgemm_numeric_fill_block_per_row_kernelILj1024ELj32ELj2048ELj137ELj32ElldEEvT5_PKS1_S3_NS_24const_host_device_scalarIT6_EEPKT4_S3_PKS5_S9_S3_SB_S6_S9_S3_SB_S9_S3_PS5_21rocsparse_index_base_SD_SD_SD_bbb,comdat
.Lfunc_end108:
	.size	_ZN9rocsparseL41csrgemm_numeric_fill_block_per_row_kernelILj1024ELj32ELj2048ELj137ELj32ElldEEvT5_PKS1_S3_NS_24const_host_device_scalarIT6_EEPKT4_S3_PKS5_S9_S3_SB_S6_S9_S3_SB_S9_S3_PS5_21rocsparse_index_base_SD_SD_SD_bbb, .Lfunc_end108-_ZN9rocsparseL41csrgemm_numeric_fill_block_per_row_kernelILj1024ELj32ELj2048ELj137ELj32ElldEEvT5_PKS1_S3_NS_24const_host_device_scalarIT6_EEPKT4_S3_PKS5_S9_S3_SB_S6_S9_S3_SB_S9_S3_PS5_21rocsparse_index_base_SD_SD_SD_bbb
                                        ; -- End function
	.set _ZN9rocsparseL41csrgemm_numeric_fill_block_per_row_kernelILj1024ELj32ELj2048ELj137ELj32ElldEEvT5_PKS1_S3_NS_24const_host_device_scalarIT6_EEPKT4_S3_PKS5_S9_S3_SB_S6_S9_S3_SB_S9_S3_PS5_21rocsparse_index_base_SD_SD_SD_bbb.num_vgpr, 30
	.set _ZN9rocsparseL41csrgemm_numeric_fill_block_per_row_kernelILj1024ELj32ELj2048ELj137ELj32ElldEEvT5_PKS1_S3_NS_24const_host_device_scalarIT6_EEPKT4_S3_PKS5_S9_S3_SB_S6_S9_S3_SB_S9_S3_PS5_21rocsparse_index_base_SD_SD_SD_bbb.num_agpr, 0
	.set _ZN9rocsparseL41csrgemm_numeric_fill_block_per_row_kernelILj1024ELj32ELj2048ELj137ELj32ElldEEvT5_PKS1_S3_NS_24const_host_device_scalarIT6_EEPKT4_S3_PKS5_S9_S3_SB_S6_S9_S3_SB_S9_S3_PS5_21rocsparse_index_base_SD_SD_SD_bbb.numbered_sgpr, 52
	.set _ZN9rocsparseL41csrgemm_numeric_fill_block_per_row_kernelILj1024ELj32ELj2048ELj137ELj32ElldEEvT5_PKS1_S3_NS_24const_host_device_scalarIT6_EEPKT4_S3_PKS5_S9_S3_SB_S6_S9_S3_SB_S9_S3_PS5_21rocsparse_index_base_SD_SD_SD_bbb.num_named_barrier, 0
	.set _ZN9rocsparseL41csrgemm_numeric_fill_block_per_row_kernelILj1024ELj32ELj2048ELj137ELj32ElldEEvT5_PKS1_S3_NS_24const_host_device_scalarIT6_EEPKT4_S3_PKS5_S9_S3_SB_S6_S9_S3_SB_S9_S3_PS5_21rocsparse_index_base_SD_SD_SD_bbb.private_seg_size, 0
	.set _ZN9rocsparseL41csrgemm_numeric_fill_block_per_row_kernelILj1024ELj32ELj2048ELj137ELj32ElldEEvT5_PKS1_S3_NS_24const_host_device_scalarIT6_EEPKT4_S3_PKS5_S9_S3_SB_S6_S9_S3_SB_S9_S3_PS5_21rocsparse_index_base_SD_SD_SD_bbb.uses_vcc, 1
	.set _ZN9rocsparseL41csrgemm_numeric_fill_block_per_row_kernelILj1024ELj32ELj2048ELj137ELj32ElldEEvT5_PKS1_S3_NS_24const_host_device_scalarIT6_EEPKT4_S3_PKS5_S9_S3_SB_S6_S9_S3_SB_S9_S3_PS5_21rocsparse_index_base_SD_SD_SD_bbb.uses_flat_scratch, 0
	.set _ZN9rocsparseL41csrgemm_numeric_fill_block_per_row_kernelILj1024ELj32ELj2048ELj137ELj32ElldEEvT5_PKS1_S3_NS_24const_host_device_scalarIT6_EEPKT4_S3_PKS5_S9_S3_SB_S6_S9_S3_SB_S9_S3_PS5_21rocsparse_index_base_SD_SD_SD_bbb.has_dyn_sized_stack, 0
	.set _ZN9rocsparseL41csrgemm_numeric_fill_block_per_row_kernelILj1024ELj32ELj2048ELj137ELj32ElldEEvT5_PKS1_S3_NS_24const_host_device_scalarIT6_EEPKT4_S3_PKS5_S9_S3_SB_S6_S9_S3_SB_S9_S3_PS5_21rocsparse_index_base_SD_SD_SD_bbb.has_recursion, 0
	.set _ZN9rocsparseL41csrgemm_numeric_fill_block_per_row_kernelILj1024ELj32ELj2048ELj137ELj32ElldEEvT5_PKS1_S3_NS_24const_host_device_scalarIT6_EEPKT4_S3_PKS5_S9_S3_SB_S6_S9_S3_SB_S9_S3_PS5_21rocsparse_index_base_SD_SD_SD_bbb.has_indirect_call, 0
	.section	.AMDGPU.csdata,"",@progbits
; Kernel info:
; codeLenInByte = 4092
; TotalNumSgprs: 54
; NumVgprs: 30
; ScratchSize: 0
; MemoryBound: 0
; FloatMode: 240
; IeeeMode: 1
; LDSByteSize: 0 bytes/workgroup (compile time only)
; SGPRBlocks: 0
; VGPRBlocks: 1
; NumSGPRsForWavesPerEU: 54
; NumVGPRsForWavesPerEU: 30
; NamedBarCnt: 0
; Occupancy: 16
; WaveLimiterHint : 1
; COMPUTE_PGM_RSRC2:SCRATCH_EN: 0
; COMPUTE_PGM_RSRC2:USER_SGPR: 2
; COMPUTE_PGM_RSRC2:TRAP_HANDLER: 0
; COMPUTE_PGM_RSRC2:TGID_X_EN: 1
; COMPUTE_PGM_RSRC2:TGID_Y_EN: 0
; COMPUTE_PGM_RSRC2:TGID_Z_EN: 0
; COMPUTE_PGM_RSRC2:TIDIG_COMP_CNT: 0
	.section	.text._ZN9rocsparseL41csrgemm_numeric_fill_block_per_row_kernelILj1024ELj32ELj2048ELj137ELj64ElldEEvT5_PKS1_S3_NS_24const_host_device_scalarIT6_EEPKT4_S3_PKS5_S9_S3_SB_S6_S9_S3_SB_S9_S3_PS5_21rocsparse_index_base_SD_SD_SD_bbb,"axG",@progbits,_ZN9rocsparseL41csrgemm_numeric_fill_block_per_row_kernelILj1024ELj32ELj2048ELj137ELj64ElldEEvT5_PKS1_S3_NS_24const_host_device_scalarIT6_EEPKT4_S3_PKS5_S9_S3_SB_S6_S9_S3_SB_S9_S3_PS5_21rocsparse_index_base_SD_SD_SD_bbb,comdat
	.globl	_ZN9rocsparseL41csrgemm_numeric_fill_block_per_row_kernelILj1024ELj32ELj2048ELj137ELj64ElldEEvT5_PKS1_S3_NS_24const_host_device_scalarIT6_EEPKT4_S3_PKS5_S9_S3_SB_S6_S9_S3_SB_S9_S3_PS5_21rocsparse_index_base_SD_SD_SD_bbb ; -- Begin function _ZN9rocsparseL41csrgemm_numeric_fill_block_per_row_kernelILj1024ELj32ELj2048ELj137ELj64ElldEEvT5_PKS1_S3_NS_24const_host_device_scalarIT6_EEPKT4_S3_PKS5_S9_S3_SB_S6_S9_S3_SB_S9_S3_PS5_21rocsparse_index_base_SD_SD_SD_bbb
	.p2align	8
	.type	_ZN9rocsparseL41csrgemm_numeric_fill_block_per_row_kernelILj1024ELj32ELj2048ELj137ELj64ElldEEvT5_PKS1_S3_NS_24const_host_device_scalarIT6_EEPKT4_S3_PKS5_S9_S3_SB_S6_S9_S3_SB_S9_S3_PS5_21rocsparse_index_base_SD_SD_SD_bbb,@function
_ZN9rocsparseL41csrgemm_numeric_fill_block_per_row_kernelILj1024ELj32ELj2048ELj137ELj64ElldEEvT5_PKS1_S3_NS_24const_host_device_scalarIT6_EEPKT4_S3_PKS5_S9_S3_SB_S6_S9_S3_SB_S9_S3_PS5_21rocsparse_index_base_SD_SD_SD_bbb: ; @_ZN9rocsparseL41csrgemm_numeric_fill_block_per_row_kernelILj1024ELj32ELj2048ELj137ELj64ElldEEvT5_PKS1_S3_NS_24const_host_device_scalarIT6_EEPKT4_S3_PKS5_S9_S3_SB_S6_S9_S3_SB_S9_S3_PS5_21rocsparse_index_base_SD_SD_SD_bbb
; %bb.0:
	s_clause 0x3
	s_load_b32 s6, s[0:1], 0x98
	s_load_b64 s[2:3], s[0:1], 0x18
	s_load_b128 s[20:23], s[0:1], 0x88
	s_load_b64 s[4:5], s[0:1], 0x50
	s_wait_kmcnt 0x0
	s_bitcmp1_b32 s6, 0
	s_cselect_b32 s36, -1, 0
	s_bitcmp1_b32 s6, 16
	s_cselect_b32 s7, -1, 0
	s_xor_b32 s8, s36, -1
	s_delay_alu instid0(SALU_CYCLE_1)
	s_or_b32 s10, s7, s8
	s_and_b32 s8, s36, exec_lo
	s_cselect_b32 s9, s3, 0
	s_cselect_b32 s8, s2, 0
	s_and_b32 vcc_lo, exec_lo, s10
	v_mov_b64_e32 v[4:5], s[8:9]
	s_cbranch_vccnz .LBB109_2
; %bb.1:
	v_mov_b32_e32 v1, 0
	flat_load_b64 v[4:5], v1, s[2:3]
.LBB109_2:
	s_wait_xcnt 0x0
	s_load_b64 s[2:3], s[0:1], 0x8
	s_bitcmp1_b32 s6, 8
	s_cselect_b32 s33, -1, 0
	s_delay_alu instid0(SALU_CYCLE_1) | instskip(NEXT) | instid1(SALU_CYCLE_1)
	s_xor_b32 s6, s33, -1
	s_or_b32 s8, s7, s6
	s_and_b32 s6, s33, exec_lo
	s_cselect_b32 s7, s5, 0
	s_cselect_b32 s6, s4, 0
	s_and_b32 vcc_lo, exec_lo, s8
	v_mov_b64_e32 v[2:3], s[6:7]
	s_cbranch_vccnz .LBB109_4
; %bb.3:
	v_mov_b32_e32 v1, 0
	flat_load_b64 v[2:3], v1, s[4:5]
.LBB109_4:
	s_clause 0x5
	s_load_b64 s[30:31], s[0:1], 0x0
	s_load_b64 s[34:35], s[0:1], 0x10
	;; [unrolled: 1-line block ×3, first 2 shown]
	s_load_b256 s[12:19], s[0:1], 0x58
	s_load_b128 s[24:27], s[0:1], 0x40
	s_load_b256 s[4:11], s[0:1], 0x20
	v_lshl_add_u32 v26, v0, 3, 0
	v_or_b32_e32 v27, 0xfffffc00, v0
	v_mov_b64_e32 v[6:7], 0
	s_wait_xcnt 0x0
	s_mov_b32 s0, 0
	s_delay_alu instid0(VALU_DEP_2)
	v_dual_mov_b32 v1, v26 :: v_dual_mov_b32 v10, v27
	s_wait_kmcnt 0x0
	v_mov_b64_e32 v[8:9], s[30:31]
.LBB109_5:                              ; =>This Inner Loop Header: Depth=1
	s_delay_alu instid0(VALU_DEP_2) | instskip(SKIP_4) | instid1(SALU_CYCLE_1)
	v_add_co_u32 v10, s1, 0x400, v10
	s_xor_b32 s1, s1, -1
	ds_store_2addr_stride64_b64 v1, v[8:9], v[6:7] offset1:32
	v_add_nc_u32_e32 v1, 0x2000, v1
	s_and_b32 s1, exec_lo, s1
	s_or_b32 s0, s1, s0
	s_delay_alu instid0(SALU_CYCLE_1)
	s_and_not1_b32 exec_lo, exec_lo, s0
	s_cbranch_execnz .LBB109_5
; %bb.6:
	s_or_b32 exec_lo, exec_lo, s0
	s_wait_loadcnt_dscnt 0x0
	s_barrier_signal -1
	s_barrier_wait -1
	s_load_b64 s[0:1], s[2:3], 0x0
	s_wait_xcnt 0x0
	s_bfe_u32 s2, ttmp6, 0x4000c
	s_and_b32 s3, ttmp6, 15
	s_add_co_i32 s2, s2, 1
	s_getreg_b32 s37, hwreg(HW_REG_IB_STS2, 6, 4)
	s_mul_i32 s2, ttmp9, s2
	s_delay_alu instid0(SALU_CYCLE_1)
	s_add_co_i32 s3, s3, s2
	s_wait_kmcnt 0x0
	s_lshl_b64 s[0:1], s[0:1], 3
	s_cmp_eq_u32 s37, 0
	s_add_nc_u64 s[0:1], s[34:35], s[0:1]
	s_cselect_b32 s2, ttmp9, s3
	s_and_b32 vcc_lo, exec_lo, s36
	s_load_b64 s[34:35], s[0:1], s2 offset:0x0 scale_offset
	s_wait_xcnt 0x0
	s_mov_b32 s1, 0
	s_cbranch_vccz .LBB109_26
; %bb.7:
	s_wait_kmcnt 0x0
	s_lshl_b64 s[2:3], s[34:35], 3
	v_dual_mov_b32 v9, 0 :: v_dual_lshrrev_b32 v8, 5, v0
	s_add_nc_u64 s[2:3], s[4:5], s[2:3]
	s_mov_b32 s0, s20
	s_load_b128 s[36:39], s[2:3], 0x0
	s_mov_b32 s20, exec_lo
	v_sub_nc_u64_e64 v[6:7], v[8:9], s[0:1]
	s_wait_kmcnt 0x0
	s_delay_alu instid0(VALU_DEP_1)
	v_add_nc_u64_e32 v[6:7], s[36:37], v[6:7]
	s_sub_nc_u64 s[2:3], s[38:39], s[0:1]
	s_delay_alu instid0(VALU_DEP_1) | instid1(SALU_CYCLE_1)
	v_cmpx_gt_i64_e64 s[2:3], v[6:7]
	s_cbranch_execz .LBB109_25
; %bb.8:
	v_and_b32_e32 v8, 31, v0
	s_mov_b32 s5, 0
	s_mov_b32 s4, s21
	;; [unrolled: 1-line block ×3, first 2 shown]
	s_delay_alu instid0(VALU_DEP_1)
	v_sub_nc_u64_e64 v[8:9], v[8:9], s[4:5]
	s_branch .LBB109_10
.LBB109_9:                              ;   in Loop: Header=BB109_10 Depth=1
	s_or_b32 exec_lo, exec_lo, s36
	v_add_nc_u64_e32 v[6:7], 32, v[6:7]
	s_delay_alu instid0(VALU_DEP_1) | instskip(SKIP_1) | instid1(SALU_CYCLE_1)
	v_cmp_le_i64_e32 vcc_lo, s[2:3], v[6:7]
	s_or_b32 s21, vcc_lo, s21
	s_and_not1_b32 exec_lo, exec_lo, s21
	s_cbranch_execz .LBB109_25
.LBB109_10:                             ; =>This Loop Header: Depth=1
                                        ;     Child Loop BB109_14 Depth 2
                                        ;       Child Loop BB109_17 Depth 3
	v_lshl_add_u64 v[10:11], v[6:7], 3, s[6:7]
	s_mov_b32 s36, exec_lo
	global_load_b64 v[10:11], v[10:11], off
	s_wait_loadcnt 0x0
	s_wait_xcnt 0x0
	v_sub_nc_u64_e64 v[10:11], v[10:11], s[0:1]
	s_delay_alu instid0(VALU_DEP_1)
	v_lshl_add_u64 v[10:11], v[10:11], 3, s[10:11]
	global_load_b128 v[12:15], v[10:11], off
	s_wait_loadcnt 0x0
	s_wait_xcnt 0x0
	v_sub_nc_u64_e64 v[10:11], v[14:15], s[4:5]
	v_add_nc_u64_e32 v[12:13], v[12:13], v[8:9]
	s_delay_alu instid0(VALU_DEP_1)
	v_cmpx_lt_i64_e64 v[12:13], v[10:11]
	s_cbranch_execz .LBB109_9
; %bb.11:                               ;   in Loop: Header=BB109_10 Depth=1
	v_lshl_add_u64 v[14:15], v[6:7], 3, s[8:9]
	s_mov_b32 s37, 0
	global_load_b64 v[14:15], v[14:15], off
	s_wait_loadcnt 0x0
	s_wait_xcnt 0x0
	v_mul_f64_e32 v[14:15], v[4:5], v[14:15]
	s_branch .LBB109_14
.LBB109_12:                             ;   in Loop: Header=BB109_14 Depth=2
	s_or_b32 exec_lo, exec_lo, s39
.LBB109_13:                             ;   in Loop: Header=BB109_14 Depth=2
	s_delay_alu instid0(SALU_CYCLE_1) | instskip(SKIP_4) | instid1(VALU_DEP_1)
	s_or_b32 exec_lo, exec_lo, s38
	s_wait_loadcnt 0x0
	v_mul_f64_e32 v[16:17], v[14:15], v[16:17]
	v_lshl_add_u32 v1, v18, 3, 0
	v_add_nc_u64_e32 v[12:13], 32, v[12:13]
	v_cmp_ge_i64_e32 vcc_lo, v[12:13], v[10:11]
	s_or_b32 s37, vcc_lo, s37
	ds_add_f64 v1, v[16:17] offset:16384
	s_and_not1_b32 exec_lo, exec_lo, s37
	s_cbranch_execz .LBB109_9
.LBB109_14:                             ;   Parent Loop BB109_10 Depth=1
                                        ; =>  This Loop Header: Depth=2
                                        ;       Child Loop BB109_17 Depth 3
	v_lshlrev_b64_e32 v[16:17], 3, v[12:13]
	s_mov_b32 s38, exec_lo
	s_delay_alu instid0(VALU_DEP_1)
	v_add_nc_u64_e32 v[18:19], s[24:25], v[16:17]
	v_add_nc_u64_e32 v[16:17], s[26:27], v[16:17]
	global_load_b64 v[18:19], v[18:19], off
	global_load_b64 v[16:17], v[16:17], off
	s_wait_loadcnt 0x1
	v_sub_nc_u64_e64 v[20:21], v[18:19], s[4:5]
	s_delay_alu instid0(VALU_DEP_1) | instskip(SKIP_1) | instid1(VALU_DEP_1)
	v_mul_lo_u32 v1, 0x89, v20
	s_wait_xcnt 0x1
	v_and_b32_e32 v18, 0x7ff, v1
	s_delay_alu instid0(VALU_DEP_1)
	v_lshl_add_u32 v1, v18, 3, 0
	ds_load_b64 v[24:25], v1
	s_wait_dscnt 0x0
	s_wait_xcnt 0x0
	v_cmpx_ne_u64_e64 v[24:25], v[20:21]
	s_cbranch_execz .LBB109_13
; %bb.15:                               ;   in Loop: Header=BB109_14 Depth=2
	s_mov_b32 s39, 0
                                        ; implicit-def: $sgpr40
                                        ; implicit-def: $sgpr41
	s_branch .LBB109_17
.LBB109_16:                             ;   in Loop: Header=BB109_17 Depth=3
	s_or_b32 exec_lo, exec_lo, s44
	s_delay_alu instid0(SALU_CYCLE_1) | instskip(NEXT) | instid1(SALU_CYCLE_1)
	s_and_b32 s42, exec_lo, s43
	s_or_b32 s39, s42, s39
	s_and_not1_b32 s40, s40, exec_lo
	s_and_b32 s42, s41, exec_lo
	s_delay_alu instid0(SALU_CYCLE_1)
	s_or_b32 s40, s40, s42
	s_and_not1_b32 exec_lo, exec_lo, s39
	s_cbranch_execz .LBB109_23
.LBB109_17:                             ;   Parent Loop BB109_10 Depth=1
                                        ;     Parent Loop BB109_14 Depth=2
                                        ; =>    This Inner Loop Header: Depth=3
	v_mov_b64_e32 v[22:23], v[18:19]
	s_mov_b32 s42, 0
	s_mov_b32 s43, exec_lo
                                        ; implicit-def: $vgpr18_vgpr19
	v_cmpx_ne_u64_e64 s[30:31], v[24:25]
	s_xor_b32 s43, exec_lo, s43
; %bb.18:                               ;   in Loop: Header=BB109_17 Depth=3
	s_delay_alu instid0(VALU_DEP_2) | instskip(SKIP_1) | instid1(VALU_DEP_1)
	v_add_nc_u32_e32 v1, 1, v22
	s_mov_b32 s42, exec_lo
	v_and_b32_e32 v18, 0x7ff, v1
                                        ; implicit-def: $vgpr1
; %bb.19:                               ;   in Loop: Header=BB109_17 Depth=3
	s_and_not1_saveexec_b32 s43, s43
	s_cbranch_execz .LBB109_21
; %bb.20:                               ;   in Loop: Header=BB109_17 Depth=3
	v_mov_b64_e32 v[18:19], s[30:31]
	s_and_not1_b32 s42, s42, exec_lo
	ds_cmpstore_rtn_b64 v[18:19], v1, v[20:21], v[18:19]
	s_wait_dscnt 0x0
	v_cmp_ne_u64_e32 vcc_lo, s[30:31], v[18:19]
	v_mov_b64_e32 v[18:19], v[22:23]
	s_and_b32 s44, vcc_lo, exec_lo
	s_delay_alu instid0(SALU_CYCLE_1)
	s_or_b32 s42, s42, s44
.LBB109_21:                             ;   in Loop: Header=BB109_17 Depth=3
	s_or_b32 exec_lo, exec_lo, s43
	s_mov_b32 s43, -1
	s_or_b32 s41, s41, exec_lo
                                        ; implicit-def: $vgpr1
                                        ; implicit-def: $vgpr24_vgpr25
	s_and_saveexec_b32 s44, s42
	s_cbranch_execz .LBB109_16
; %bb.22:                               ;   in Loop: Header=BB109_17 Depth=3
	v_lshl_add_u32 v1, v18, 3, 0
	s_and_not1_b32 s41, s41, exec_lo
	ds_load_b64 v[24:25], v1
	s_wait_dscnt 0x0
	v_cmp_eq_u64_e32 vcc_lo, v[24:25], v[20:21]
	s_or_not1_b32 s43, vcc_lo, exec_lo
	s_branch .LBB109_16
.LBB109_23:                             ;   in Loop: Header=BB109_14 Depth=2
	s_or_b32 exec_lo, exec_lo, s39
	s_and_saveexec_b32 s39, s40
	s_delay_alu instid0(SALU_CYCLE_1)
	s_xor_b32 s39, exec_lo, s39
	s_cbranch_execz .LBB109_12
; %bb.24:                               ;   in Loop: Header=BB109_14 Depth=2
	v_mov_b32_e32 v18, v22
	s_branch .LBB109_12
.LBB109_25:
	s_or_b32 exec_lo, exec_lo, s20
.LBB109_26:
	s_delay_alu instid0(SALU_CYCLE_1)
	s_and_not1_b32 vcc_lo, exec_lo, s33
	s_cbranch_vccnz .LBB109_43
; %bb.27:
	s_wait_kmcnt 0x0
	s_lshl_b64 s[0:1], s[34:35], 3
	v_mov_b32_e32 v1, 0
	s_add_nc_u64 s[0:1], s[12:13], s[0:1]
	s_load_b128 s[4:7], s[0:1], 0x0
	s_wait_xcnt 0x0
	s_mov_b32 s1, 0
	s_mov_b32 s0, s23
	s_delay_alu instid0(SALU_CYCLE_1) | instskip(SKIP_1) | instid1(VALU_DEP_1)
	v_sub_nc_u64_e64 v[4:5], v[0:1], s[0:1]
	s_wait_kmcnt 0x0
	v_add_nc_u64_e32 v[4:5], s[4:5], v[4:5]
	s_sub_nc_u64 s[2:3], s[6:7], s[0:1]
	s_mov_b32 s4, exec_lo
	s_delay_alu instid0(VALU_DEP_1)
	v_cmpx_gt_i64_e64 s[2:3], v[4:5]
	s_cbranch_execz .LBB109_42
; %bb.28:
	s_mov_b32 s5, s1
	s_branch .LBB109_31
.LBB109_29:                             ;   in Loop: Header=BB109_31 Depth=1
	s_or_b32 exec_lo, exec_lo, s7
.LBB109_30:                             ;   in Loop: Header=BB109_31 Depth=1
	s_delay_alu instid0(SALU_CYCLE_1) | instskip(SKIP_4) | instid1(VALU_DEP_1)
	s_or_b32 exec_lo, exec_lo, s6
	s_wait_loadcnt 0x0
	v_mul_f64_e32 v[6:7], v[2:3], v[6:7]
	v_lshl_add_u32 v1, v8, 3, 0
	v_add_nc_u64_e32 v[4:5], 0x400, v[4:5]
	v_cmp_le_i64_e32 vcc_lo, s[2:3], v[4:5]
	s_or_b32 s5, vcc_lo, s5
	ds_add_f64 v1, v[6:7] offset:16384
	s_and_not1_b32 exec_lo, exec_lo, s5
	s_cbranch_execz .LBB109_42
.LBB109_31:                             ; =>This Loop Header: Depth=1
                                        ;     Child Loop BB109_34 Depth 2
	v_lshlrev_b64_e32 v[6:7], 3, v[4:5]
	s_mov_b32 s6, exec_lo
	s_delay_alu instid0(VALU_DEP_1)
	v_add_nc_u64_e32 v[8:9], s[14:15], v[6:7]
	v_add_nc_u64_e32 v[6:7], s[16:17], v[6:7]
	global_load_b64 v[8:9], v[8:9], off
	global_load_b64 v[6:7], v[6:7], off
	s_wait_loadcnt 0x1
	v_sub_nc_u64_e64 v[10:11], v[8:9], s[0:1]
	s_delay_alu instid0(VALU_DEP_1) | instskip(NEXT) | instid1(VALU_DEP_1)
	v_mul_lo_u32 v1, 0x89, v10
	v_and_b32_e32 v8, 0x7ff, v1
	s_delay_alu instid0(VALU_DEP_1)
	v_lshl_add_u32 v1, v8, 3, 0
	ds_load_b64 v[14:15], v1
	s_wait_dscnt 0x0
	s_wait_xcnt 0x0
	v_cmpx_ne_u64_e64 v[14:15], v[10:11]
	s_cbranch_execz .LBB109_30
; %bb.32:                               ;   in Loop: Header=BB109_31 Depth=1
	s_mov_b32 s7, 0
                                        ; implicit-def: $sgpr8
                                        ; implicit-def: $sgpr9
	s_branch .LBB109_34
.LBB109_33:                             ;   in Loop: Header=BB109_34 Depth=2
	s_or_b32 exec_lo, exec_lo, s12
	s_delay_alu instid0(SALU_CYCLE_1) | instskip(NEXT) | instid1(SALU_CYCLE_1)
	s_and_b32 s10, exec_lo, s11
	s_or_b32 s7, s10, s7
	s_and_not1_b32 s8, s8, exec_lo
	s_and_b32 s10, s9, exec_lo
	s_delay_alu instid0(SALU_CYCLE_1)
	s_or_b32 s8, s8, s10
	s_and_not1_b32 exec_lo, exec_lo, s7
	s_cbranch_execz .LBB109_40
.LBB109_34:                             ;   Parent Loop BB109_31 Depth=1
                                        ; =>  This Inner Loop Header: Depth=2
	v_mov_b64_e32 v[12:13], v[8:9]
	s_mov_b32 s10, 0
	s_mov_b32 s11, exec_lo
                                        ; implicit-def: $vgpr8_vgpr9
	v_cmpx_ne_u64_e64 s[30:31], v[14:15]
	s_xor_b32 s11, exec_lo, s11
; %bb.35:                               ;   in Loop: Header=BB109_34 Depth=2
	s_delay_alu instid0(VALU_DEP_2) | instskip(SKIP_1) | instid1(VALU_DEP_1)
	v_add_nc_u32_e32 v1, 1, v12
	s_mov_b32 s10, exec_lo
	v_and_b32_e32 v8, 0x7ff, v1
                                        ; implicit-def: $vgpr1
; %bb.36:                               ;   in Loop: Header=BB109_34 Depth=2
	s_and_not1_saveexec_b32 s11, s11
	s_cbranch_execz .LBB109_38
; %bb.37:                               ;   in Loop: Header=BB109_34 Depth=2
	v_mov_b64_e32 v[8:9], s[30:31]
	s_and_not1_b32 s10, s10, exec_lo
	ds_cmpstore_rtn_b64 v[8:9], v1, v[10:11], v[8:9]
	s_wait_dscnt 0x0
	v_cmp_ne_u64_e32 vcc_lo, s[30:31], v[8:9]
	v_mov_b64_e32 v[8:9], v[12:13]
	s_and_b32 s12, vcc_lo, exec_lo
	s_delay_alu instid0(SALU_CYCLE_1)
	s_or_b32 s10, s10, s12
.LBB109_38:                             ;   in Loop: Header=BB109_34 Depth=2
	s_or_b32 exec_lo, exec_lo, s11
	s_mov_b32 s11, -1
	s_or_b32 s9, s9, exec_lo
                                        ; implicit-def: $vgpr1
                                        ; implicit-def: $vgpr14_vgpr15
	s_and_saveexec_b32 s12, s10
	s_cbranch_execz .LBB109_33
; %bb.39:                               ;   in Loop: Header=BB109_34 Depth=2
	v_lshl_add_u32 v1, v8, 3, 0
	s_and_not1_b32 s9, s9, exec_lo
	ds_load_b64 v[14:15], v1
	s_wait_dscnt 0x0
	v_cmp_eq_u64_e32 vcc_lo, v[14:15], v[10:11]
	s_or_not1_b32 s11, vcc_lo, exec_lo
	s_branch .LBB109_33
.LBB109_40:                             ;   in Loop: Header=BB109_31 Depth=1
	s_or_b32 exec_lo, exec_lo, s7
	s_and_saveexec_b32 s7, s8
	s_delay_alu instid0(SALU_CYCLE_1)
	s_xor_b32 s7, exec_lo, s7
	s_cbranch_execz .LBB109_29
; %bb.41:                               ;   in Loop: Header=BB109_31 Depth=1
	v_mov_b32_e32 v8, v12
	s_branch .LBB109_29
.LBB109_42:
	s_or_b32 exec_lo, exec_lo, s4
.LBB109_43:
	v_mbcnt_lo_u32_b32 v1, -1, 0
	v_dual_mov_b32 v7, 0 :: v_dual_lshrrev_b32 v2, 3, v0
	v_mov_b64_e32 v[10:11], 0
	v_cmp_lt_u32_e64 s0, 63, v0
	s_delay_alu instid0(VALU_DEP_4) | instskip(NEXT) | instid1(VALU_DEP_4)
	v_xor_b32_e32 v1, 31, v1
	v_and_b32_e32 v2, 0x78, v2
	v_cmp_lt_u32_e64 s1, 0x7f, v0
	v_cmp_lt_u32_e64 s2, 0xbf, v0
	;; [unrolled: 1-line block ×3, first 2 shown]
	v_lshrrev_b32_e64 v8, v1, -1
	v_add_nc_u32_e32 v1, 0, v2
	v_cmp_lt_u32_e64 s4, 0x13f, v0
	v_cmp_lt_u32_e64 s5, 0x17f, v0
	;; [unrolled: 1-line block ×11, first 2 shown]
	s_mov_b32 s16, 0
	s_wait_dscnt 0x0
	v_cmp_eq_u32_e32 vcc_lo, 0x3ff, v0
	s_barrier_signal -1
	s_barrier_wait -1
	s_branch .LBB109_45
.LBB109_44:                             ;   in Loop: Header=BB109_45 Depth=1
	s_or_b32 exec_lo, exec_lo, s15
	s_wait_dscnt 0x0
	s_barrier_signal -1
	s_barrier_wait -1
	ds_load_b64 v[2:3], v7 offset:32888
	v_add_co_u32 v27, s15, 0x400, v27
	s_xor_b32 s15, s15, -1
	v_add_nc_u32_e32 v26, 0x2000, v26
	s_and_b32 s15, exec_lo, s15
	s_delay_alu instid0(SALU_CYCLE_1)
	s_or_b32 s16, s15, s16
	s_wait_dscnt 0x0
	v_add_nc_u64_e32 v[10:11], v[2:3], v[10:11]
	s_and_not1_b32 exec_lo, exec_lo, s16
	s_cbranch_execz .LBB109_79
.LBB109_45:                             ; =>This Inner Loop Header: Depth=1
	ds_load_2addr_stride64_b64 v[2:5], v26 offset1:32
	s_wait_dscnt 0x0
	s_barrier_signal -1
	s_barrier_wait -1
	v_cmp_gt_i64_e64 s15, s[30:31], v[2:3]
	s_bcnt1_i32_b32 s17, s15
	s_delay_alu instid0(SALU_CYCLE_1) | instskip(NEXT) | instid1(VALU_DEP_1)
	v_dual_mov_b32 v6, s17 :: v_dual_bitop2_b32 v9, s15, v8 bitop3:0x40
	v_bcnt_u32_b32 v12, v9, 0
	ds_store_b64 v1, v[6:7] offset:32768
	s_wait_dscnt 0x0
	s_barrier_signal -1
	s_barrier_wait -1
	s_and_saveexec_b32 s17, s0
	s_cbranch_execnz .LBB109_62
; %bb.46:                               ;   in Loop: Header=BB109_45 Depth=1
	s_or_b32 exec_lo, exec_lo, s17
	s_and_saveexec_b32 s17, s1
	s_cbranch_execnz .LBB109_63
.LBB109_47:                             ;   in Loop: Header=BB109_45 Depth=1
	s_or_b32 exec_lo, exec_lo, s17
	s_and_saveexec_b32 s17, s2
	s_cbranch_execnz .LBB109_64
.LBB109_48:                             ;   in Loop: Header=BB109_45 Depth=1
	s_or_b32 exec_lo, exec_lo, s17
	s_and_saveexec_b32 s17, s3
	s_cbranch_execnz .LBB109_65
.LBB109_49:                             ;   in Loop: Header=BB109_45 Depth=1
	s_or_b32 exec_lo, exec_lo, s17
	s_and_saveexec_b32 s17, s4
	s_cbranch_execnz .LBB109_66
.LBB109_50:                             ;   in Loop: Header=BB109_45 Depth=1
	s_or_b32 exec_lo, exec_lo, s17
	s_and_saveexec_b32 s17, s5
	s_cbranch_execnz .LBB109_67
.LBB109_51:                             ;   in Loop: Header=BB109_45 Depth=1
	s_or_b32 exec_lo, exec_lo, s17
	s_and_saveexec_b32 s17, s6
	s_cbranch_execnz .LBB109_68
.LBB109_52:                             ;   in Loop: Header=BB109_45 Depth=1
	s_or_b32 exec_lo, exec_lo, s17
	s_and_saveexec_b32 s17, s7
	s_cbranch_execnz .LBB109_69
.LBB109_53:                             ;   in Loop: Header=BB109_45 Depth=1
	s_or_b32 exec_lo, exec_lo, s17
	s_and_saveexec_b32 s17, s8
	s_cbranch_execnz .LBB109_70
.LBB109_54:                             ;   in Loop: Header=BB109_45 Depth=1
	s_or_b32 exec_lo, exec_lo, s17
	s_and_saveexec_b32 s17, s9
	s_cbranch_execnz .LBB109_71
.LBB109_55:                             ;   in Loop: Header=BB109_45 Depth=1
	s_or_b32 exec_lo, exec_lo, s17
	s_and_saveexec_b32 s17, s10
	s_cbranch_execnz .LBB109_72
.LBB109_56:                             ;   in Loop: Header=BB109_45 Depth=1
	s_or_b32 exec_lo, exec_lo, s17
	s_and_saveexec_b32 s17, s11
	s_cbranch_execnz .LBB109_73
.LBB109_57:                             ;   in Loop: Header=BB109_45 Depth=1
	s_or_b32 exec_lo, exec_lo, s17
	s_and_saveexec_b32 s17, s12
	s_cbranch_execnz .LBB109_74
.LBB109_58:                             ;   in Loop: Header=BB109_45 Depth=1
	s_or_b32 exec_lo, exec_lo, s17
	s_and_saveexec_b32 s17, s13
	s_cbranch_execnz .LBB109_75
.LBB109_59:                             ;   in Loop: Header=BB109_45 Depth=1
	s_or_b32 exec_lo, exec_lo, s17
	s_and_saveexec_b32 s17, s14
	s_cbranch_execnz .LBB109_76
.LBB109_60:                             ;   in Loop: Header=BB109_45 Depth=1
	s_or_b32 exec_lo, exec_lo, s17
	v_ashrrev_i32_e32 v13, 31, v12
	s_and_saveexec_b32 s17, s15
	s_cbranch_execnz .LBB109_77
.LBB109_61:                             ;   in Loop: Header=BB109_45 Depth=1
	s_or_b32 exec_lo, exec_lo, s17
	s_and_saveexec_b32 s15, vcc_lo
	s_cbranch_execz .LBB109_44
	s_branch .LBB109_78
.LBB109_62:                             ;   in Loop: Header=BB109_45 Depth=1
	ds_load_b32 v6, v7 offset:32768
	s_wait_dscnt 0x0
	v_add_nc_u32_e32 v12, v6, v12
	s_or_b32 exec_lo, exec_lo, s17
	s_and_saveexec_b32 s17, s1
	s_cbranch_execz .LBB109_47
.LBB109_63:                             ;   in Loop: Header=BB109_45 Depth=1
	ds_load_b32 v6, v7 offset:32776
	s_wait_dscnt 0x0
	v_add_nc_u32_e32 v12, v12, v6
	s_or_b32 exec_lo, exec_lo, s17
	s_and_saveexec_b32 s17, s2
	s_cbranch_execz .LBB109_48
.LBB109_64:                             ;   in Loop: Header=BB109_45 Depth=1
	ds_load_b32 v6, v7 offset:32784
	s_wait_dscnt 0x0
	v_add_nc_u32_e32 v12, v12, v6
	s_or_b32 exec_lo, exec_lo, s17
	s_and_saveexec_b32 s17, s3
	s_cbranch_execz .LBB109_49
.LBB109_65:                             ;   in Loop: Header=BB109_45 Depth=1
	ds_load_b32 v6, v7 offset:32792
	s_wait_dscnt 0x0
	v_add_nc_u32_e32 v12, v12, v6
	s_or_b32 exec_lo, exec_lo, s17
	s_and_saveexec_b32 s17, s4
	s_cbranch_execz .LBB109_50
.LBB109_66:                             ;   in Loop: Header=BB109_45 Depth=1
	ds_load_b32 v6, v7 offset:32800
	s_wait_dscnt 0x0
	v_add_nc_u32_e32 v12, v12, v6
	s_or_b32 exec_lo, exec_lo, s17
	s_and_saveexec_b32 s17, s5
	s_cbranch_execz .LBB109_51
.LBB109_67:                             ;   in Loop: Header=BB109_45 Depth=1
	ds_load_b32 v6, v7 offset:32808
	s_wait_dscnt 0x0
	v_add_nc_u32_e32 v12, v12, v6
	s_or_b32 exec_lo, exec_lo, s17
	s_and_saveexec_b32 s17, s6
	s_cbranch_execz .LBB109_52
.LBB109_68:                             ;   in Loop: Header=BB109_45 Depth=1
	ds_load_b32 v6, v7 offset:32816
	s_wait_dscnt 0x0
	v_add_nc_u32_e32 v12, v12, v6
	s_or_b32 exec_lo, exec_lo, s17
	s_and_saveexec_b32 s17, s7
	s_cbranch_execz .LBB109_53
.LBB109_69:                             ;   in Loop: Header=BB109_45 Depth=1
	ds_load_b32 v6, v7 offset:32824
	s_wait_dscnt 0x0
	v_add_nc_u32_e32 v12, v12, v6
	s_or_b32 exec_lo, exec_lo, s17
	s_and_saveexec_b32 s17, s8
	s_cbranch_execz .LBB109_54
.LBB109_70:                             ;   in Loop: Header=BB109_45 Depth=1
	ds_load_b32 v6, v7 offset:32832
	s_wait_dscnt 0x0
	v_add_nc_u32_e32 v12, v12, v6
	s_or_b32 exec_lo, exec_lo, s17
	s_and_saveexec_b32 s17, s9
	s_cbranch_execz .LBB109_55
.LBB109_71:                             ;   in Loop: Header=BB109_45 Depth=1
	ds_load_b32 v6, v7 offset:32840
	s_wait_dscnt 0x0
	v_add_nc_u32_e32 v12, v12, v6
	s_or_b32 exec_lo, exec_lo, s17
	s_and_saveexec_b32 s17, s10
	s_cbranch_execz .LBB109_56
.LBB109_72:                             ;   in Loop: Header=BB109_45 Depth=1
	ds_load_b32 v6, v7 offset:32848
	s_wait_dscnt 0x0
	v_add_nc_u32_e32 v12, v12, v6
	s_or_b32 exec_lo, exec_lo, s17
	s_and_saveexec_b32 s17, s11
	s_cbranch_execz .LBB109_57
.LBB109_73:                             ;   in Loop: Header=BB109_45 Depth=1
	ds_load_b32 v6, v7 offset:32856
	s_wait_dscnt 0x0
	v_add_nc_u32_e32 v12, v12, v6
	s_or_b32 exec_lo, exec_lo, s17
	s_and_saveexec_b32 s17, s12
	s_cbranch_execz .LBB109_58
.LBB109_74:                             ;   in Loop: Header=BB109_45 Depth=1
	ds_load_b32 v6, v7 offset:32864
	s_wait_dscnt 0x0
	v_add_nc_u32_e32 v12, v12, v6
	s_or_b32 exec_lo, exec_lo, s17
	s_and_saveexec_b32 s17, s13
	s_cbranch_execz .LBB109_59
.LBB109_75:                             ;   in Loop: Header=BB109_45 Depth=1
	ds_load_b32 v6, v7 offset:32872
	s_wait_dscnt 0x0
	v_add_nc_u32_e32 v12, v12, v6
	s_or_b32 exec_lo, exec_lo, s17
	s_and_saveexec_b32 s17, s14
	s_cbranch_execz .LBB109_60
.LBB109_76:                             ;   in Loop: Header=BB109_45 Depth=1
	ds_load_b32 v6, v7 offset:32880
	s_wait_dscnt 0x0
	v_add_nc_u32_e32 v12, v12, v6
	s_or_b32 exec_lo, exec_lo, s17
	s_delay_alu instid0(VALU_DEP_1)
	v_ashrrev_i32_e32 v13, 31, v12
	s_and_saveexec_b32 s17, s15
	s_cbranch_execz .LBB109_61
.LBB109_77:                             ;   in Loop: Header=BB109_45 Depth=1
	v_add3_u32 v6, v10, -1, v12
	v_add_nc_u32_e32 v9, v10, v12
	s_delay_alu instid0(VALU_DEP_2) | instskip(NEXT) | instid1(VALU_DEP_2)
	v_lshl_add_u32 v6, v6, 3, 0
	v_lshl_add_u32 v9, v9, 3, 0
	ds_store_b64 v6, v[2:3]
	ds_store_b64 v9, v[4:5] offset:16376
	s_or_b32 exec_lo, exec_lo, s17
	s_and_saveexec_b32 s15, vcc_lo
	s_cbranch_execz .LBB109_44
.LBB109_78:                             ;   in Loop: Header=BB109_45 Depth=1
	ds_store_b64 v7, v[12:13] offset:32888
	s_branch .LBB109_44
.LBB109_79:
	s_or_b32 exec_lo, exec_lo, s16
	s_wait_kmcnt 0x0
	s_lshl_b64 s[0:1], s[34:35], 3
	v_mov_b32_e32 v1, 0
	s_add_nc_u64 s[4:5], s[18:19], s[0:1]
	s_mov_b32 s6, exec_lo
	s_load_b128 s[0:3], s[4:5], 0x0
	s_wait_kmcnt 0x0
	s_sub_nc_u64 s[4:5], s[2:3], s[0:1]
	s_delay_alu instid0(SALU_CYCLE_1)
	v_cmpx_gt_i64_e64 s[4:5], v[0:1]
	s_cbranch_execz .LBB109_89
; %bb.80:
	s_sub_nc_u64 s[8:9], s[0:1], s[2:3]
	s_and_b64 s[6:7], s[4:5], 7
	v_cmp_lt_u64_e64 s10, s[8:9], -7
	s_and_b64 s[2:3], s[4:5], -8
	s_mov_b32 s23, 0
	s_cmp_lg_u64 s[6:7], 0
	s_sub_nc_u64 s[0:1], s[0:1], s[22:23]
	s_cselect_b32 s11, -1, 0
	s_mov_b32 s12, 0
	s_branch .LBB109_82
.LBB109_81:                             ;   in Loop: Header=BB109_82 Depth=1
	v_add_nc_u64_e32 v[0:1], 0x400, v[0:1]
	s_wait_dscnt 0x0
	s_delay_alu instid0(VALU_DEP_2)
	v_lshl_add_u64 v[2:3], v[6:7], 3, s[28:29]
	global_store_b64 v[2:3], v[4:5], off
	v_cmp_le_i64_e32 vcc_lo, s[4:5], v[0:1]
	s_or_b32 s12, vcc_lo, s12
	s_wait_xcnt 0x0
	s_and_not1_b32 exec_lo, exec_lo, s12
	s_cbranch_execz .LBB109_89
.LBB109_82:                             ; =>This Loop Header: Depth=1
                                        ;     Child Loop BB109_84 Depth 2
                                        ;     Child Loop BB109_88 Depth 2
	v_lshl_add_u32 v2, v0, 3, 0
	v_mov_b64_e32 v[6:7], s[0:1]
	s_and_not1_b32 vcc_lo, exec_lo, s10
	s_mov_b64 s[8:9], 0
	ds_load_2addr_stride64_b64 v[2:5], v2 offset1:32
	s_cbranch_vccnz .LBB109_86
; %bb.83:                               ;   in Loop: Header=BB109_82 Depth=1
	v_mov_b64_e32 v[6:7], s[0:1]
	s_mov_b32 s13, 0
.LBB109_84:                             ;   Parent Loop BB109_82 Depth=1
                                        ; =>  This Inner Loop Header: Depth=2
	s_delay_alu instid0(SALU_CYCLE_1)
	v_dual_mov_b32 v20, s13 :: v_dual_mov_b32 v17, s23
	v_mov_b32_e32 v19, s23
	s_add_nc_u64 s[8:9], s[8:9], 8
	s_add_co_i32 s13, s13, 64
	ds_load_2addr_b64 v[8:11], v20 offset1:1
	ds_load_2addr_b64 v[12:15], v20 offset0:2 offset1:3
	s_cmp_eq_u64 s[2:3], s[8:9]
	s_wait_dscnt 0x1
	v_cmp_gt_i64_e32 vcc_lo, v[2:3], v[8:9]
	v_cndmask_b32_e64 v16, 0, 1, vcc_lo
	v_cmp_gt_i64_e32 vcc_lo, v[2:3], v[10:11]
	s_delay_alu instid0(VALU_DEP_2) | instskip(SKIP_4) | instid1(VALU_DEP_2)
	v_add_nc_u64_e32 v[10:11], v[6:7], v[16:17]
	ds_load_2addr_b64 v[6:9], v20 offset0:4 offset1:5
	v_cndmask_b32_e64 v18, 0, 1, vcc_lo
	s_wait_dscnt 0x1
	v_cmp_gt_i64_e32 vcc_lo, v[2:3], v[12:13]
	v_add_nc_u64_e32 v[10:11], v[10:11], v[18:19]
	v_cndmask_b32_e64 v16, 0, 1, vcc_lo
	v_cmp_gt_i64_e32 vcc_lo, v[2:3], v[14:15]
	s_delay_alu instid0(VALU_DEP_2)
	v_add_nc_u64_e32 v[14:15], v[10:11], v[16:17]
	ds_load_2addr_b64 v[10:13], v20 offset0:6 offset1:7
	v_cndmask_b32_e64 v18, 0, 1, vcc_lo
	s_wait_dscnt 0x1
	v_cmp_gt_i64_e32 vcc_lo, v[2:3], v[6:7]
	v_mov_b32_e32 v7, s23
	s_delay_alu instid0(VALU_DEP_3) | instskip(SKIP_3) | instid1(VALU_DEP_3)
	v_add_nc_u64_e32 v[14:15], v[14:15], v[18:19]
	v_cndmask_b32_e64 v16, 0, 1, vcc_lo
	v_cmp_gt_i64_e32 vcc_lo, v[2:3], v[8:9]
	v_mov_b32_e32 v9, s23
	v_add_nc_u64_e32 v[14:15], v[14:15], v[16:17]
	v_cndmask_b32_e64 v6, 0, 1, vcc_lo
	s_wait_dscnt 0x0
	v_cmp_gt_i64_e32 vcc_lo, v[2:3], v[10:11]
	v_mov_b32_e32 v11, s23
	s_delay_alu instid0(VALU_DEP_3) | instskip(SKIP_2) | instid1(VALU_DEP_2)
	v_add_nc_u64_e32 v[6:7], v[14:15], v[6:7]
	v_cndmask_b32_e64 v8, 0, 1, vcc_lo
	v_cmp_gt_i64_e32 vcc_lo, v[2:3], v[12:13]
	v_add_nc_u64_e32 v[6:7], v[6:7], v[8:9]
	v_cndmask_b32_e64 v10, 0, 1, vcc_lo
	s_delay_alu instid0(VALU_DEP_1)
	v_add_nc_u64_e32 v[6:7], v[6:7], v[10:11]
	s_cbranch_scc0 .LBB109_84
; %bb.85:                               ;   in Loop: Header=BB109_82 Depth=1
	s_mov_b64 s[8:9], s[2:3]
.LBB109_86:                             ;   in Loop: Header=BB109_82 Depth=1
	s_and_not1_b32 vcc_lo, exec_lo, s11
	s_cbranch_vccnz .LBB109_81
; %bb.87:                               ;   in Loop: Header=BB109_82 Depth=1
	s_lshl_b32 s8, s8, 3
	s_delay_alu instid0(SALU_CYCLE_1)
	s_add_co_i32 s13, s8, 0
	s_mov_b64 s[8:9], s[6:7]
.LBB109_88:                             ;   Parent Loop BB109_82 Depth=1
                                        ; =>  This Inner Loop Header: Depth=2
	v_dual_mov_b32 v8, s13 :: v_dual_mov_b32 v11, s23
	s_add_nc_u64 s[8:9], s[8:9], -1
	s_add_co_i32 s13, s13, 8
	s_cmp_lg_u64 s[8:9], 0
	ds_load_b64 v[8:9], v8
	s_wait_dscnt 0x0
	v_cmp_gt_i64_e32 vcc_lo, v[2:3], v[8:9]
	v_cndmask_b32_e64 v10, 0, 1, vcc_lo
	s_delay_alu instid0(VALU_DEP_1)
	v_add_nc_u64_e32 v[6:7], v[6:7], v[10:11]
	s_cbranch_scc1 .LBB109_88
	s_branch .LBB109_81
.LBB109_89:
	s_endpgm
	.section	.rodata,"a",@progbits
	.p2align	6, 0x0
	.amdhsa_kernel _ZN9rocsparseL41csrgemm_numeric_fill_block_per_row_kernelILj1024ELj32ELj2048ELj137ELj64ElldEEvT5_PKS1_S3_NS_24const_host_device_scalarIT6_EEPKT4_S3_PKS5_S9_S3_SB_S6_S9_S3_SB_S9_S3_PS5_21rocsparse_index_base_SD_SD_SD_bbb
		.amdhsa_group_segment_fixed_size 0
		.amdhsa_private_segment_fixed_size 0
		.amdhsa_kernarg_size 156
		.amdhsa_user_sgpr_count 2
		.amdhsa_user_sgpr_dispatch_ptr 0
		.amdhsa_user_sgpr_queue_ptr 0
		.amdhsa_user_sgpr_kernarg_segment_ptr 1
		.amdhsa_user_sgpr_dispatch_id 0
		.amdhsa_user_sgpr_kernarg_preload_length 0
		.amdhsa_user_sgpr_kernarg_preload_offset 0
		.amdhsa_user_sgpr_private_segment_size 0
		.amdhsa_wavefront_size32 1
		.amdhsa_uses_dynamic_stack 0
		.amdhsa_enable_private_segment 0
		.amdhsa_system_sgpr_workgroup_id_x 1
		.amdhsa_system_sgpr_workgroup_id_y 0
		.amdhsa_system_sgpr_workgroup_id_z 0
		.amdhsa_system_sgpr_workgroup_info 0
		.amdhsa_system_vgpr_workitem_id 0
		.amdhsa_next_free_vgpr 28
		.amdhsa_next_free_sgpr 45
		.amdhsa_named_barrier_count 0
		.amdhsa_reserve_vcc 1
		.amdhsa_float_round_mode_32 0
		.amdhsa_float_round_mode_16_64 0
		.amdhsa_float_denorm_mode_32 3
		.amdhsa_float_denorm_mode_16_64 3
		.amdhsa_fp16_overflow 0
		.amdhsa_memory_ordered 1
		.amdhsa_forward_progress 1
		.amdhsa_inst_pref_size 26
		.amdhsa_round_robin_scheduling 0
		.amdhsa_exception_fp_ieee_invalid_op 0
		.amdhsa_exception_fp_denorm_src 0
		.amdhsa_exception_fp_ieee_div_zero 0
		.amdhsa_exception_fp_ieee_overflow 0
		.amdhsa_exception_fp_ieee_underflow 0
		.amdhsa_exception_fp_ieee_inexact 0
		.amdhsa_exception_int_div_zero 0
	.end_amdhsa_kernel
	.section	.text._ZN9rocsparseL41csrgemm_numeric_fill_block_per_row_kernelILj1024ELj32ELj2048ELj137ELj64ElldEEvT5_PKS1_S3_NS_24const_host_device_scalarIT6_EEPKT4_S3_PKS5_S9_S3_SB_S6_S9_S3_SB_S9_S3_PS5_21rocsparse_index_base_SD_SD_SD_bbb,"axG",@progbits,_ZN9rocsparseL41csrgemm_numeric_fill_block_per_row_kernelILj1024ELj32ELj2048ELj137ELj64ElldEEvT5_PKS1_S3_NS_24const_host_device_scalarIT6_EEPKT4_S3_PKS5_S9_S3_SB_S6_S9_S3_SB_S9_S3_PS5_21rocsparse_index_base_SD_SD_SD_bbb,comdat
.Lfunc_end109:
	.size	_ZN9rocsparseL41csrgemm_numeric_fill_block_per_row_kernelILj1024ELj32ELj2048ELj137ELj64ElldEEvT5_PKS1_S3_NS_24const_host_device_scalarIT6_EEPKT4_S3_PKS5_S9_S3_SB_S6_S9_S3_SB_S9_S3_PS5_21rocsparse_index_base_SD_SD_SD_bbb, .Lfunc_end109-_ZN9rocsparseL41csrgemm_numeric_fill_block_per_row_kernelILj1024ELj32ELj2048ELj137ELj64ElldEEvT5_PKS1_S3_NS_24const_host_device_scalarIT6_EEPKT4_S3_PKS5_S9_S3_SB_S6_S9_S3_SB_S9_S3_PS5_21rocsparse_index_base_SD_SD_SD_bbb
                                        ; -- End function
	.set _ZN9rocsparseL41csrgemm_numeric_fill_block_per_row_kernelILj1024ELj32ELj2048ELj137ELj64ElldEEvT5_PKS1_S3_NS_24const_host_device_scalarIT6_EEPKT4_S3_PKS5_S9_S3_SB_S6_S9_S3_SB_S9_S3_PS5_21rocsparse_index_base_SD_SD_SD_bbb.num_vgpr, 28
	.set _ZN9rocsparseL41csrgemm_numeric_fill_block_per_row_kernelILj1024ELj32ELj2048ELj137ELj64ElldEEvT5_PKS1_S3_NS_24const_host_device_scalarIT6_EEPKT4_S3_PKS5_S9_S3_SB_S6_S9_S3_SB_S9_S3_PS5_21rocsparse_index_base_SD_SD_SD_bbb.num_agpr, 0
	.set _ZN9rocsparseL41csrgemm_numeric_fill_block_per_row_kernelILj1024ELj32ELj2048ELj137ELj64ElldEEvT5_PKS1_S3_NS_24const_host_device_scalarIT6_EEPKT4_S3_PKS5_S9_S3_SB_S6_S9_S3_SB_S9_S3_PS5_21rocsparse_index_base_SD_SD_SD_bbb.numbered_sgpr, 45
	.set _ZN9rocsparseL41csrgemm_numeric_fill_block_per_row_kernelILj1024ELj32ELj2048ELj137ELj64ElldEEvT5_PKS1_S3_NS_24const_host_device_scalarIT6_EEPKT4_S3_PKS5_S9_S3_SB_S6_S9_S3_SB_S9_S3_PS5_21rocsparse_index_base_SD_SD_SD_bbb.num_named_barrier, 0
	.set _ZN9rocsparseL41csrgemm_numeric_fill_block_per_row_kernelILj1024ELj32ELj2048ELj137ELj64ElldEEvT5_PKS1_S3_NS_24const_host_device_scalarIT6_EEPKT4_S3_PKS5_S9_S3_SB_S6_S9_S3_SB_S9_S3_PS5_21rocsparse_index_base_SD_SD_SD_bbb.private_seg_size, 0
	.set _ZN9rocsparseL41csrgemm_numeric_fill_block_per_row_kernelILj1024ELj32ELj2048ELj137ELj64ElldEEvT5_PKS1_S3_NS_24const_host_device_scalarIT6_EEPKT4_S3_PKS5_S9_S3_SB_S6_S9_S3_SB_S9_S3_PS5_21rocsparse_index_base_SD_SD_SD_bbb.uses_vcc, 1
	.set _ZN9rocsparseL41csrgemm_numeric_fill_block_per_row_kernelILj1024ELj32ELj2048ELj137ELj64ElldEEvT5_PKS1_S3_NS_24const_host_device_scalarIT6_EEPKT4_S3_PKS5_S9_S3_SB_S6_S9_S3_SB_S9_S3_PS5_21rocsparse_index_base_SD_SD_SD_bbb.uses_flat_scratch, 0
	.set _ZN9rocsparseL41csrgemm_numeric_fill_block_per_row_kernelILj1024ELj32ELj2048ELj137ELj64ElldEEvT5_PKS1_S3_NS_24const_host_device_scalarIT6_EEPKT4_S3_PKS5_S9_S3_SB_S6_S9_S3_SB_S9_S3_PS5_21rocsparse_index_base_SD_SD_SD_bbb.has_dyn_sized_stack, 0
	.set _ZN9rocsparseL41csrgemm_numeric_fill_block_per_row_kernelILj1024ELj32ELj2048ELj137ELj64ElldEEvT5_PKS1_S3_NS_24const_host_device_scalarIT6_EEPKT4_S3_PKS5_S9_S3_SB_S6_S9_S3_SB_S9_S3_PS5_21rocsparse_index_base_SD_SD_SD_bbb.has_recursion, 0
	.set _ZN9rocsparseL41csrgemm_numeric_fill_block_per_row_kernelILj1024ELj32ELj2048ELj137ELj64ElldEEvT5_PKS1_S3_NS_24const_host_device_scalarIT6_EEPKT4_S3_PKS5_S9_S3_SB_S6_S9_S3_SB_S9_S3_PS5_21rocsparse_index_base_SD_SD_SD_bbb.has_indirect_call, 0
	.section	.AMDGPU.csdata,"",@progbits
; Kernel info:
; codeLenInByte = 3272
; TotalNumSgprs: 47
; NumVgprs: 28
; ScratchSize: 0
; MemoryBound: 0
; FloatMode: 240
; IeeeMode: 1
; LDSByteSize: 0 bytes/workgroup (compile time only)
; SGPRBlocks: 0
; VGPRBlocks: 1
; NumSGPRsForWavesPerEU: 47
; NumVGPRsForWavesPerEU: 28
; NamedBarCnt: 0
; Occupancy: 16
; WaveLimiterHint : 1
; COMPUTE_PGM_RSRC2:SCRATCH_EN: 0
; COMPUTE_PGM_RSRC2:USER_SGPR: 2
; COMPUTE_PGM_RSRC2:TRAP_HANDLER: 0
; COMPUTE_PGM_RSRC2:TGID_X_EN: 1
; COMPUTE_PGM_RSRC2:TGID_Y_EN: 0
; COMPUTE_PGM_RSRC2:TGID_Z_EN: 0
; COMPUTE_PGM_RSRC2:TIDIG_COMP_CNT: 0
	.section	.text._ZN9rocsparseL41csrgemm_numeric_fill_block_per_row_kernelILj1024ELj64ELj4096ELj137ELj32ElldEEvT5_PKS1_S3_NS_24const_host_device_scalarIT6_EEPKT4_S3_PKS5_S9_S3_SB_S6_S9_S3_SB_S9_S3_PS5_21rocsparse_index_base_SD_SD_SD_bbb,"axG",@progbits,_ZN9rocsparseL41csrgemm_numeric_fill_block_per_row_kernelILj1024ELj64ELj4096ELj137ELj32ElldEEvT5_PKS1_S3_NS_24const_host_device_scalarIT6_EEPKT4_S3_PKS5_S9_S3_SB_S6_S9_S3_SB_S9_S3_PS5_21rocsparse_index_base_SD_SD_SD_bbb,comdat
	.globl	_ZN9rocsparseL41csrgemm_numeric_fill_block_per_row_kernelILj1024ELj64ELj4096ELj137ELj32ElldEEvT5_PKS1_S3_NS_24const_host_device_scalarIT6_EEPKT4_S3_PKS5_S9_S3_SB_S6_S9_S3_SB_S9_S3_PS5_21rocsparse_index_base_SD_SD_SD_bbb ; -- Begin function _ZN9rocsparseL41csrgemm_numeric_fill_block_per_row_kernelILj1024ELj64ELj4096ELj137ELj32ElldEEvT5_PKS1_S3_NS_24const_host_device_scalarIT6_EEPKT4_S3_PKS5_S9_S3_SB_S6_S9_S3_SB_S9_S3_PS5_21rocsparse_index_base_SD_SD_SD_bbb
	.p2align	8
	.type	_ZN9rocsparseL41csrgemm_numeric_fill_block_per_row_kernelILj1024ELj64ELj4096ELj137ELj32ElldEEvT5_PKS1_S3_NS_24const_host_device_scalarIT6_EEPKT4_S3_PKS5_S9_S3_SB_S6_S9_S3_SB_S9_S3_PS5_21rocsparse_index_base_SD_SD_SD_bbb,@function
_ZN9rocsparseL41csrgemm_numeric_fill_block_per_row_kernelILj1024ELj64ELj4096ELj137ELj32ElldEEvT5_PKS1_S3_NS_24const_host_device_scalarIT6_EEPKT4_S3_PKS5_S9_S3_SB_S6_S9_S3_SB_S9_S3_PS5_21rocsparse_index_base_SD_SD_SD_bbb: ; @_ZN9rocsparseL41csrgemm_numeric_fill_block_per_row_kernelILj1024ELj64ELj4096ELj137ELj32ElldEEvT5_PKS1_S3_NS_24const_host_device_scalarIT6_EEPKT4_S3_PKS5_S9_S3_SB_S6_S9_S3_SB_S9_S3_PS5_21rocsparse_index_base_SD_SD_SD_bbb
; %bb.0:
	s_clause 0x3
	s_load_b32 s6, s[0:1], 0x98
	s_load_b64 s[2:3], s[0:1], 0x18
	s_load_b128 s[44:47], s[0:1], 0x88
	s_load_b64 s[4:5], s[0:1], 0x50
	s_wait_kmcnt 0x0
	s_bitcmp1_b32 s6, 0
	s_cselect_b32 s19, -1, 0
	s_bitcmp1_b32 s6, 16
	s_cselect_b32 s7, -1, 0
	s_xor_b32 s8, s19, -1
	s_delay_alu instid0(SALU_CYCLE_1)
	s_or_b32 s10, s7, s8
	s_and_b32 s8, s19, exec_lo
	s_cselect_b32 s9, s3, 0
	s_cselect_b32 s8, s2, 0
	s_and_b32 vcc_lo, exec_lo, s10
	v_mov_b64_e32 v[4:5], s[8:9]
	s_cbranch_vccnz .LBB110_2
; %bb.1:
	v_mov_b32_e32 v1, 0
	flat_load_b64 v[4:5], v1, s[2:3]
.LBB110_2:
	s_wait_xcnt 0x0
	s_load_b64 s[2:3], s[0:1], 0x8
	s_bitcmp1_b32 s6, 8
	s_cselect_b32 s18, -1, 0
	s_delay_alu instid0(SALU_CYCLE_1) | instskip(NEXT) | instid1(SALU_CYCLE_1)
	s_xor_b32 s6, s18, -1
	s_or_b32 s8, s7, s6
	s_and_b32 s6, s18, exec_lo
	s_cselect_b32 s7, s5, 0
	s_cselect_b32 s6, s4, 0
	s_and_b32 vcc_lo, exec_lo, s8
	v_mov_b64_e32 v[2:3], s[6:7]
	s_cbranch_vccnz .LBB110_4
; %bb.3:
	v_mov_b32_e32 v1, 0
	flat_load_b64 v[2:3], v1, s[4:5]
.LBB110_4:
	s_clause 0x5
	s_load_b64 s[48:49], s[0:1], 0x0
	s_load_b64 s[16:17], s[0:1], 0x10
	;; [unrolled: 1-line block ×3, first 2 shown]
	s_load_b256 s[36:43], s[0:1], 0x58
	s_load_b128 s[12:15], s[0:1], 0x40
	s_load_b256 s[4:11], s[0:1], 0x20
	v_lshl_add_u32 v26, v0, 3, 0
	v_or_b32_e32 v27, 0xfffffc00, v0
	v_mov_b64_e32 v[6:7], 0
	s_wait_xcnt 0x0
	s_mov_b32 s0, 0
	s_delay_alu instid0(VALU_DEP_2)
	v_dual_mov_b32 v1, v26 :: v_dual_mov_b32 v10, v27
	s_wait_kmcnt 0x0
	v_mov_b64_e32 v[8:9], s[48:49]
.LBB110_5:                              ; =>This Inner Loop Header: Depth=1
	s_delay_alu instid0(VALU_DEP_2) | instskip(SKIP_4) | instid1(SALU_CYCLE_1)
	v_add_nc_u32_e32 v10, 0x400, v10
	ds_store_2addr_stride64_b64 v1, v[8:9], v[6:7] offset1:64
	v_add_nc_u32_e32 v1, 0x2000, v1
	v_cmp_lt_u32_e32 vcc_lo, 0xbff, v10
	s_or_b32 s0, vcc_lo, s0
	s_and_not1_b32 exec_lo, exec_lo, s0
	s_cbranch_execnz .LBB110_5
; %bb.6:
	s_or_b32 exec_lo, exec_lo, s0
	s_wait_loadcnt_dscnt 0x0
	s_barrier_signal -1
	s_barrier_wait -1
	s_load_b64 s[0:1], s[2:3], 0x0
	s_wait_xcnt 0x0
	s_bfe_u32 s2, ttmp6, 0x4000c
	s_and_b32 s3, ttmp6, 15
	s_add_co_i32 s2, s2, 1
	s_getreg_b32 s20, hwreg(HW_REG_IB_STS2, 6, 4)
	s_mul_i32 s2, ttmp9, s2
	s_delay_alu instid0(SALU_CYCLE_1)
	s_add_co_i32 s3, s3, s2
	s_wait_kmcnt 0x0
	s_lshl_b64 s[0:1], s[0:1], 3
	s_cmp_eq_u32 s20, 0
	s_add_nc_u64 s[0:1], s[16:17], s[0:1]
	s_cselect_b32 s2, ttmp9, s3
	s_and_b32 vcc_lo, exec_lo, s19
	s_load_b64 s[50:51], s[0:1], s2 offset:0x0 scale_offset
	s_wait_xcnt 0x0
	s_mov_b32 s1, 0
	s_cbranch_vccz .LBB110_26
; %bb.7:
	s_wait_kmcnt 0x0
	s_lshl_b64 s[2:3], s[50:51], 3
	v_dual_mov_b32 v9, 0 :: v_dual_lshrrev_b32 v8, 6, v0
	s_add_nc_u64 s[2:3], s[4:5], s[2:3]
	s_mov_b32 s0, s44
	s_load_b128 s[20:23], s[2:3], 0x0
	s_mov_b32 s16, exec_lo
	v_sub_nc_u64_e64 v[6:7], v[8:9], s[0:1]
	s_wait_kmcnt 0x0
	s_delay_alu instid0(VALU_DEP_1)
	v_add_nc_u64_e32 v[6:7], s[20:21], v[6:7]
	s_sub_nc_u64 s[2:3], s[22:23], s[0:1]
	s_delay_alu instid0(VALU_DEP_1) | instid1(SALU_CYCLE_1)
	v_cmpx_gt_i64_e64 s[2:3], v[6:7]
	s_cbranch_execz .LBB110_25
; %bb.8:
	v_and_b32_e32 v8, 63, v0
	s_mov_b32 s5, 0
	s_mov_b32 s4, s45
	;; [unrolled: 1-line block ×3, first 2 shown]
	s_delay_alu instid0(VALU_DEP_1)
	v_sub_nc_u64_e64 v[8:9], v[8:9], s[4:5]
	s_branch .LBB110_10
.LBB110_9:                              ;   in Loop: Header=BB110_10 Depth=1
	s_or_b32 exec_lo, exec_lo, s19
	v_add_nc_u64_e32 v[6:7], 16, v[6:7]
	s_delay_alu instid0(VALU_DEP_1) | instskip(SKIP_1) | instid1(SALU_CYCLE_1)
	v_cmp_le_i64_e32 vcc_lo, s[2:3], v[6:7]
	s_or_b32 s17, vcc_lo, s17
	s_and_not1_b32 exec_lo, exec_lo, s17
	s_cbranch_execz .LBB110_25
.LBB110_10:                             ; =>This Loop Header: Depth=1
                                        ;     Child Loop BB110_14 Depth 2
                                        ;       Child Loop BB110_17 Depth 3
	v_lshl_add_u64 v[10:11], v[6:7], 3, s[6:7]
	s_mov_b32 s19, exec_lo
	global_load_b64 v[10:11], v[10:11], off
	s_wait_loadcnt 0x0
	s_wait_xcnt 0x0
	v_sub_nc_u64_e64 v[10:11], v[10:11], s[0:1]
	s_delay_alu instid0(VALU_DEP_1)
	v_lshl_add_u64 v[10:11], v[10:11], 3, s[10:11]
	global_load_b128 v[12:15], v[10:11], off
	s_wait_loadcnt 0x0
	s_wait_xcnt 0x0
	v_sub_nc_u64_e64 v[10:11], v[14:15], s[4:5]
	v_add_nc_u64_e32 v[12:13], v[12:13], v[8:9]
	s_delay_alu instid0(VALU_DEP_1)
	v_cmpx_lt_i64_e64 v[12:13], v[10:11]
	s_cbranch_execz .LBB110_9
; %bb.11:                               ;   in Loop: Header=BB110_10 Depth=1
	v_lshl_add_u64 v[14:15], v[6:7], 3, s[8:9]
	s_mov_b32 s20, 0
	global_load_b64 v[14:15], v[14:15], off
	s_wait_loadcnt 0x0
	s_wait_xcnt 0x0
	v_mul_f64_e32 v[14:15], v[4:5], v[14:15]
	s_branch .LBB110_14
.LBB110_12:                             ;   in Loop: Header=BB110_14 Depth=2
	s_or_b32 exec_lo, exec_lo, s22
.LBB110_13:                             ;   in Loop: Header=BB110_14 Depth=2
	s_delay_alu instid0(SALU_CYCLE_1) | instskip(SKIP_4) | instid1(VALU_DEP_1)
	s_or_b32 exec_lo, exec_lo, s21
	s_wait_loadcnt 0x0
	v_mul_f64_e32 v[16:17], v[14:15], v[16:17]
	v_lshl_add_u32 v1, v18, 3, 0
	v_add_nc_u64_e32 v[12:13], 64, v[12:13]
	v_cmp_ge_i64_e32 vcc_lo, v[12:13], v[10:11]
	s_or_b32 s20, vcc_lo, s20
	ds_add_f64 v1, v[16:17] offset:32768
	s_and_not1_b32 exec_lo, exec_lo, s20
	s_cbranch_execz .LBB110_9
.LBB110_14:                             ;   Parent Loop BB110_10 Depth=1
                                        ; =>  This Loop Header: Depth=2
                                        ;       Child Loop BB110_17 Depth 3
	v_lshlrev_b64_e32 v[16:17], 3, v[12:13]
	s_mov_b32 s21, exec_lo
	s_delay_alu instid0(VALU_DEP_1)
	v_add_nc_u64_e32 v[18:19], s[12:13], v[16:17]
	v_add_nc_u64_e32 v[16:17], s[14:15], v[16:17]
	global_load_b64 v[18:19], v[18:19], off
	global_load_b64 v[16:17], v[16:17], off
	s_wait_loadcnt 0x1
	v_sub_nc_u64_e64 v[20:21], v[18:19], s[4:5]
	s_delay_alu instid0(VALU_DEP_1) | instskip(SKIP_1) | instid1(VALU_DEP_1)
	v_mul_lo_u32 v1, 0x89, v20
	s_wait_xcnt 0x1
	v_and_b32_e32 v18, 0xfff, v1
	s_delay_alu instid0(VALU_DEP_1)
	v_lshl_add_u32 v1, v18, 3, 0
	ds_load_b64 v[24:25], v1
	s_wait_dscnt 0x0
	s_wait_xcnt 0x0
	v_cmpx_ne_u64_e64 v[24:25], v[20:21]
	s_cbranch_execz .LBB110_13
; %bb.15:                               ;   in Loop: Header=BB110_14 Depth=2
	s_mov_b32 s22, 0
                                        ; implicit-def: $sgpr23
                                        ; implicit-def: $sgpr24
	s_branch .LBB110_17
.LBB110_16:                             ;   in Loop: Header=BB110_17 Depth=3
	s_or_b32 exec_lo, exec_lo, s27
	s_delay_alu instid0(SALU_CYCLE_1) | instskip(NEXT) | instid1(SALU_CYCLE_1)
	s_and_b32 s25, exec_lo, s26
	s_or_b32 s22, s25, s22
	s_and_not1_b32 s23, s23, exec_lo
	s_and_b32 s25, s24, exec_lo
	s_delay_alu instid0(SALU_CYCLE_1)
	s_or_b32 s23, s23, s25
	s_and_not1_b32 exec_lo, exec_lo, s22
	s_cbranch_execz .LBB110_23
.LBB110_17:                             ;   Parent Loop BB110_10 Depth=1
                                        ;     Parent Loop BB110_14 Depth=2
                                        ; =>    This Inner Loop Header: Depth=3
	v_mov_b64_e32 v[22:23], v[18:19]
	s_mov_b32 s25, 0
	s_mov_b32 s26, exec_lo
                                        ; implicit-def: $vgpr18_vgpr19
	v_cmpx_ne_u64_e64 s[48:49], v[24:25]
	s_xor_b32 s26, exec_lo, s26
; %bb.18:                               ;   in Loop: Header=BB110_17 Depth=3
	s_delay_alu instid0(VALU_DEP_2) | instskip(SKIP_1) | instid1(VALU_DEP_1)
	v_add_nc_u32_e32 v1, 1, v22
	s_mov_b32 s25, exec_lo
	v_and_b32_e32 v18, 0xfff, v1
                                        ; implicit-def: $vgpr1
; %bb.19:                               ;   in Loop: Header=BB110_17 Depth=3
	s_and_not1_saveexec_b32 s26, s26
	s_cbranch_execz .LBB110_21
; %bb.20:                               ;   in Loop: Header=BB110_17 Depth=3
	v_mov_b64_e32 v[18:19], s[48:49]
	s_and_not1_b32 s25, s25, exec_lo
	ds_cmpstore_rtn_b64 v[18:19], v1, v[20:21], v[18:19]
	s_wait_dscnt 0x0
	v_cmp_ne_u64_e32 vcc_lo, s[48:49], v[18:19]
	v_mov_b64_e32 v[18:19], v[22:23]
	s_and_b32 s27, vcc_lo, exec_lo
	s_delay_alu instid0(SALU_CYCLE_1)
	s_or_b32 s25, s25, s27
.LBB110_21:                             ;   in Loop: Header=BB110_17 Depth=3
	s_or_b32 exec_lo, exec_lo, s26
	s_mov_b32 s26, -1
	s_or_b32 s24, s24, exec_lo
                                        ; implicit-def: $vgpr1
                                        ; implicit-def: $vgpr24_vgpr25
	s_and_saveexec_b32 s27, s25
	s_cbranch_execz .LBB110_16
; %bb.22:                               ;   in Loop: Header=BB110_17 Depth=3
	v_lshl_add_u32 v1, v18, 3, 0
	s_and_not1_b32 s24, s24, exec_lo
	ds_load_b64 v[24:25], v1
	s_wait_dscnt 0x0
	v_cmp_eq_u64_e32 vcc_lo, v[24:25], v[20:21]
	s_or_not1_b32 s26, vcc_lo, exec_lo
	s_branch .LBB110_16
.LBB110_23:                             ;   in Loop: Header=BB110_14 Depth=2
	s_or_b32 exec_lo, exec_lo, s22
	s_and_saveexec_b32 s22, s23
	s_delay_alu instid0(SALU_CYCLE_1)
	s_xor_b32 s22, exec_lo, s22
	s_cbranch_execz .LBB110_12
; %bb.24:                               ;   in Loop: Header=BB110_14 Depth=2
	v_mov_b32_e32 v18, v22
	s_branch .LBB110_12
.LBB110_25:
	s_or_b32 exec_lo, exec_lo, s16
.LBB110_26:
	s_delay_alu instid0(SALU_CYCLE_1)
	s_and_not1_b32 vcc_lo, exec_lo, s18
	s_cbranch_vccnz .LBB110_43
; %bb.27:
	s_wait_kmcnt 0x0
	s_lshl_b64 s[0:1], s[50:51], 3
	v_mov_b32_e32 v1, 0
	s_add_nc_u64 s[0:1], s[36:37], s[0:1]
	s_load_b128 s[4:7], s[0:1], 0x0
	s_wait_xcnt 0x0
	s_mov_b32 s1, 0
	s_mov_b32 s0, s47
	s_delay_alu instid0(SALU_CYCLE_1) | instskip(SKIP_1) | instid1(VALU_DEP_1)
	v_sub_nc_u64_e64 v[4:5], v[0:1], s[0:1]
	s_wait_kmcnt 0x0
	v_add_nc_u64_e32 v[4:5], s[4:5], v[4:5]
	s_sub_nc_u64 s[2:3], s[6:7], s[0:1]
	s_mov_b32 s4, exec_lo
	s_delay_alu instid0(VALU_DEP_1)
	v_cmpx_gt_i64_e64 s[2:3], v[4:5]
	s_cbranch_execz .LBB110_42
; %bb.28:
	s_mov_b32 s5, s1
	s_branch .LBB110_31
.LBB110_29:                             ;   in Loop: Header=BB110_31 Depth=1
	s_or_b32 exec_lo, exec_lo, s7
.LBB110_30:                             ;   in Loop: Header=BB110_31 Depth=1
	s_delay_alu instid0(SALU_CYCLE_1) | instskip(SKIP_4) | instid1(VALU_DEP_1)
	s_or_b32 exec_lo, exec_lo, s6
	s_wait_loadcnt 0x0
	v_mul_f64_e32 v[6:7], v[2:3], v[6:7]
	v_lshl_add_u32 v1, v8, 3, 0
	v_add_nc_u64_e32 v[4:5], 0x400, v[4:5]
	v_cmp_le_i64_e32 vcc_lo, s[2:3], v[4:5]
	s_or_b32 s5, vcc_lo, s5
	ds_add_f64 v1, v[6:7] offset:32768
	s_and_not1_b32 exec_lo, exec_lo, s5
	s_cbranch_execz .LBB110_42
.LBB110_31:                             ; =>This Loop Header: Depth=1
                                        ;     Child Loop BB110_34 Depth 2
	v_lshlrev_b64_e32 v[6:7], 3, v[4:5]
	s_mov_b32 s6, exec_lo
	s_delay_alu instid0(VALU_DEP_1)
	v_add_nc_u64_e32 v[8:9], s[38:39], v[6:7]
	v_add_nc_u64_e32 v[6:7], s[40:41], v[6:7]
	global_load_b64 v[8:9], v[8:9], off
	global_load_b64 v[6:7], v[6:7], off
	s_wait_loadcnt 0x1
	v_sub_nc_u64_e64 v[10:11], v[8:9], s[0:1]
	s_delay_alu instid0(VALU_DEP_1) | instskip(NEXT) | instid1(VALU_DEP_1)
	v_mul_lo_u32 v1, 0x89, v10
	v_and_b32_e32 v8, 0xfff, v1
	s_delay_alu instid0(VALU_DEP_1)
	v_lshl_add_u32 v1, v8, 3, 0
	ds_load_b64 v[14:15], v1
	s_wait_dscnt 0x0
	s_wait_xcnt 0x0
	v_cmpx_ne_u64_e64 v[14:15], v[10:11]
	s_cbranch_execz .LBB110_30
; %bb.32:                               ;   in Loop: Header=BB110_31 Depth=1
	s_mov_b32 s7, 0
                                        ; implicit-def: $sgpr8
                                        ; implicit-def: $sgpr9
	s_branch .LBB110_34
.LBB110_33:                             ;   in Loop: Header=BB110_34 Depth=2
	s_or_b32 exec_lo, exec_lo, s12
	s_delay_alu instid0(SALU_CYCLE_1) | instskip(NEXT) | instid1(SALU_CYCLE_1)
	s_and_b32 s10, exec_lo, s11
	s_or_b32 s7, s10, s7
	s_and_not1_b32 s8, s8, exec_lo
	s_and_b32 s10, s9, exec_lo
	s_delay_alu instid0(SALU_CYCLE_1)
	s_or_b32 s8, s8, s10
	s_and_not1_b32 exec_lo, exec_lo, s7
	s_cbranch_execz .LBB110_40
.LBB110_34:                             ;   Parent Loop BB110_31 Depth=1
                                        ; =>  This Inner Loop Header: Depth=2
	v_mov_b64_e32 v[12:13], v[8:9]
	s_mov_b32 s10, 0
	s_mov_b32 s11, exec_lo
                                        ; implicit-def: $vgpr8_vgpr9
	v_cmpx_ne_u64_e64 s[48:49], v[14:15]
	s_xor_b32 s11, exec_lo, s11
; %bb.35:                               ;   in Loop: Header=BB110_34 Depth=2
	s_delay_alu instid0(VALU_DEP_2) | instskip(SKIP_1) | instid1(VALU_DEP_1)
	v_add_nc_u32_e32 v1, 1, v12
	s_mov_b32 s10, exec_lo
	v_and_b32_e32 v8, 0xfff, v1
                                        ; implicit-def: $vgpr1
; %bb.36:                               ;   in Loop: Header=BB110_34 Depth=2
	s_and_not1_saveexec_b32 s11, s11
	s_cbranch_execz .LBB110_38
; %bb.37:                               ;   in Loop: Header=BB110_34 Depth=2
	v_mov_b64_e32 v[8:9], s[48:49]
	s_and_not1_b32 s10, s10, exec_lo
	ds_cmpstore_rtn_b64 v[8:9], v1, v[10:11], v[8:9]
	s_wait_dscnt 0x0
	v_cmp_ne_u64_e32 vcc_lo, s[48:49], v[8:9]
	v_mov_b64_e32 v[8:9], v[12:13]
	s_and_b32 s12, vcc_lo, exec_lo
	s_delay_alu instid0(SALU_CYCLE_1)
	s_or_b32 s10, s10, s12
.LBB110_38:                             ;   in Loop: Header=BB110_34 Depth=2
	s_or_b32 exec_lo, exec_lo, s11
	s_mov_b32 s11, -1
	s_or_b32 s9, s9, exec_lo
                                        ; implicit-def: $vgpr1
                                        ; implicit-def: $vgpr14_vgpr15
	s_and_saveexec_b32 s12, s10
	s_cbranch_execz .LBB110_33
; %bb.39:                               ;   in Loop: Header=BB110_34 Depth=2
	v_lshl_add_u32 v1, v8, 3, 0
	s_and_not1_b32 s9, s9, exec_lo
	ds_load_b64 v[14:15], v1
	s_wait_dscnt 0x0
	v_cmp_eq_u64_e32 vcc_lo, v[14:15], v[10:11]
	s_or_not1_b32 s11, vcc_lo, exec_lo
	s_branch .LBB110_33
.LBB110_40:                             ;   in Loop: Header=BB110_31 Depth=1
	s_or_b32 exec_lo, exec_lo, s7
	s_and_saveexec_b32 s7, s8
	s_delay_alu instid0(SALU_CYCLE_1)
	s_xor_b32 s7, exec_lo, s7
	s_cbranch_execz .LBB110_29
; %bb.41:                               ;   in Loop: Header=BB110_31 Depth=1
	v_mov_b32_e32 v8, v12
	s_branch .LBB110_29
.LBB110_42:
	s_or_b32 exec_lo, exec_lo, s4
.LBB110_43:
	v_mbcnt_lo_u32_b32 v1, -1, 0
	v_lshrrev_b32_e32 v2, 2, v0
	v_mov_b64_e32 v[10:11], 0
	v_mov_b32_e32 v7, 0
	v_cmp_lt_u32_e64 s0, 31, v0
	v_xor_b32_e32 v1, 31, v1
	v_and_b32_e32 v2, 0xf8, v2
	v_cmp_lt_u32_e64 s1, 63, v0
	v_cmp_lt_u32_e64 s2, 0x5f, v0
	;; [unrolled: 1-line block ×3, first 2 shown]
	v_lshrrev_b32_e64 v8, v1, -1
	v_add3_u32 v1, 0x10000, 0, v2
	v_cmp_lt_u32_e64 s4, 0x9f, v0
	v_cmp_lt_u32_e64 s5, 0xbf, v0
	;; [unrolled: 1-line block ×27, first 2 shown]
	s_mov_b32 s33, 0
	s_add_co_i32 s36, 0, 0x10000
	s_add_co_i32 s37, 0, 0x10008
	;; [unrolled: 1-line block ×32, first 2 shown]
	s_wait_dscnt 0x0
	s_barrier_signal -1
	s_barrier_wait -1
	v_cmp_eq_u32_e32 vcc_lo, 0x3ff, v0
	s_branch .LBB110_45
.LBB110_44:                             ;   in Loop: Header=BB110_45 Depth=1
	s_or_b32 exec_lo, exec_lo, s31
	v_dual_mov_b32 v2, s74 :: v_dual_add_nc_u32 v27, 0x400, v27
	s_wait_dscnt 0x0
	s_barrier_signal -1
	s_barrier_wait -1
	ds_load_b64 v[2:3], v2
	v_cmp_lt_u32_e64 s31, 0xbff, v27
	v_add_nc_u32_e32 v26, 0x2000, v26
	s_or_b32 s33, s31, s33
	s_wait_dscnt 0x0
	v_add_nc_u64_e32 v[10:11], v[2:3], v[10:11]
	s_and_not1_b32 exec_lo, exec_lo, s33
	s_cbranch_execz .LBB110_111
.LBB110_45:                             ; =>This Inner Loop Header: Depth=1
	ds_load_2addr_stride64_b64 v[2:5], v26 offset1:64
	s_wait_dscnt 0x0
	s_barrier_signal -1
	s_barrier_wait -1
	v_cmp_gt_i64_e64 s31, s[48:49], v[2:3]
	s_bcnt1_i32_b32 s75, s31
	s_delay_alu instid0(SALU_CYCLE_1) | instskip(NEXT) | instid1(VALU_DEP_1)
	v_dual_mov_b32 v6, s75 :: v_dual_bitop2_b32 v9, s31, v8 bitop3:0x40
	v_bcnt_u32_b32 v12, v9, 0
	ds_store_b64 v1, v[6:7]
	s_wait_dscnt 0x0
	s_barrier_signal -1
	s_barrier_wait -1
	s_and_saveexec_b32 s75, s0
	s_cbranch_execnz .LBB110_78
; %bb.46:                               ;   in Loop: Header=BB110_45 Depth=1
	s_or_b32 exec_lo, exec_lo, s75
	s_and_saveexec_b32 s75, s1
	s_cbranch_execnz .LBB110_79
.LBB110_47:                             ;   in Loop: Header=BB110_45 Depth=1
	s_or_b32 exec_lo, exec_lo, s75
	s_and_saveexec_b32 s75, s2
	s_cbranch_execnz .LBB110_80
.LBB110_48:                             ;   in Loop: Header=BB110_45 Depth=1
	s_or_b32 exec_lo, exec_lo, s75
	s_and_saveexec_b32 s75, s3
	s_cbranch_execnz .LBB110_81
.LBB110_49:                             ;   in Loop: Header=BB110_45 Depth=1
	s_or_b32 exec_lo, exec_lo, s75
	s_and_saveexec_b32 s75, s4
	s_cbranch_execnz .LBB110_82
.LBB110_50:                             ;   in Loop: Header=BB110_45 Depth=1
	s_or_b32 exec_lo, exec_lo, s75
	s_and_saveexec_b32 s75, s5
	s_cbranch_execnz .LBB110_83
.LBB110_51:                             ;   in Loop: Header=BB110_45 Depth=1
	s_or_b32 exec_lo, exec_lo, s75
	s_and_saveexec_b32 s75, s6
	s_cbranch_execnz .LBB110_84
.LBB110_52:                             ;   in Loop: Header=BB110_45 Depth=1
	s_or_b32 exec_lo, exec_lo, s75
	s_and_saveexec_b32 s75, s7
	s_cbranch_execnz .LBB110_85
.LBB110_53:                             ;   in Loop: Header=BB110_45 Depth=1
	s_or_b32 exec_lo, exec_lo, s75
	s_and_saveexec_b32 s75, s8
	s_cbranch_execnz .LBB110_86
.LBB110_54:                             ;   in Loop: Header=BB110_45 Depth=1
	s_or_b32 exec_lo, exec_lo, s75
	s_and_saveexec_b32 s75, s9
	s_cbranch_execnz .LBB110_87
.LBB110_55:                             ;   in Loop: Header=BB110_45 Depth=1
	s_or_b32 exec_lo, exec_lo, s75
	s_and_saveexec_b32 s75, s10
	s_cbranch_execnz .LBB110_88
.LBB110_56:                             ;   in Loop: Header=BB110_45 Depth=1
	s_or_b32 exec_lo, exec_lo, s75
	s_and_saveexec_b32 s75, s11
	s_cbranch_execnz .LBB110_89
.LBB110_57:                             ;   in Loop: Header=BB110_45 Depth=1
	s_or_b32 exec_lo, exec_lo, s75
	s_and_saveexec_b32 s75, s12
	s_cbranch_execnz .LBB110_90
.LBB110_58:                             ;   in Loop: Header=BB110_45 Depth=1
	s_or_b32 exec_lo, exec_lo, s75
	s_and_saveexec_b32 s75, s13
	s_cbranch_execnz .LBB110_91
.LBB110_59:                             ;   in Loop: Header=BB110_45 Depth=1
	s_or_b32 exec_lo, exec_lo, s75
	s_and_saveexec_b32 s75, s14
	s_cbranch_execnz .LBB110_92
.LBB110_60:                             ;   in Loop: Header=BB110_45 Depth=1
	s_or_b32 exec_lo, exec_lo, s75
	s_and_saveexec_b32 s75, s15
	s_cbranch_execnz .LBB110_93
.LBB110_61:                             ;   in Loop: Header=BB110_45 Depth=1
	s_or_b32 exec_lo, exec_lo, s75
	s_and_saveexec_b32 s75, s16
	s_cbranch_execnz .LBB110_94
.LBB110_62:                             ;   in Loop: Header=BB110_45 Depth=1
	s_or_b32 exec_lo, exec_lo, s75
	s_and_saveexec_b32 s75, s17
	s_cbranch_execnz .LBB110_95
.LBB110_63:                             ;   in Loop: Header=BB110_45 Depth=1
	s_or_b32 exec_lo, exec_lo, s75
	s_and_saveexec_b32 s75, s18
	s_cbranch_execnz .LBB110_96
.LBB110_64:                             ;   in Loop: Header=BB110_45 Depth=1
	s_or_b32 exec_lo, exec_lo, s75
	s_and_saveexec_b32 s75, s19
	s_cbranch_execnz .LBB110_97
.LBB110_65:                             ;   in Loop: Header=BB110_45 Depth=1
	s_or_b32 exec_lo, exec_lo, s75
	s_and_saveexec_b32 s75, s20
	s_cbranch_execnz .LBB110_98
.LBB110_66:                             ;   in Loop: Header=BB110_45 Depth=1
	s_or_b32 exec_lo, exec_lo, s75
	s_and_saveexec_b32 s75, s21
	s_cbranch_execnz .LBB110_99
.LBB110_67:                             ;   in Loop: Header=BB110_45 Depth=1
	s_or_b32 exec_lo, exec_lo, s75
	s_and_saveexec_b32 s75, s22
	s_cbranch_execnz .LBB110_100
.LBB110_68:                             ;   in Loop: Header=BB110_45 Depth=1
	s_or_b32 exec_lo, exec_lo, s75
	s_and_saveexec_b32 s75, s23
	s_cbranch_execnz .LBB110_101
.LBB110_69:                             ;   in Loop: Header=BB110_45 Depth=1
	s_or_b32 exec_lo, exec_lo, s75
	s_and_saveexec_b32 s75, s24
	s_cbranch_execnz .LBB110_102
.LBB110_70:                             ;   in Loop: Header=BB110_45 Depth=1
	s_or_b32 exec_lo, exec_lo, s75
	s_and_saveexec_b32 s75, s25
	s_cbranch_execnz .LBB110_103
.LBB110_71:                             ;   in Loop: Header=BB110_45 Depth=1
	s_or_b32 exec_lo, exec_lo, s75
	s_and_saveexec_b32 s75, s26
	s_cbranch_execnz .LBB110_104
.LBB110_72:                             ;   in Loop: Header=BB110_45 Depth=1
	s_or_b32 exec_lo, exec_lo, s75
	s_and_saveexec_b32 s75, s27
	s_cbranch_execnz .LBB110_105
.LBB110_73:                             ;   in Loop: Header=BB110_45 Depth=1
	s_or_b32 exec_lo, exec_lo, s75
	s_and_saveexec_b32 s75, s28
	s_cbranch_execnz .LBB110_106
.LBB110_74:                             ;   in Loop: Header=BB110_45 Depth=1
	s_or_b32 exec_lo, exec_lo, s75
	s_and_saveexec_b32 s75, s29
	s_cbranch_execnz .LBB110_107
.LBB110_75:                             ;   in Loop: Header=BB110_45 Depth=1
	s_or_b32 exec_lo, exec_lo, s75
	s_and_saveexec_b32 s75, s30
	s_cbranch_execnz .LBB110_108
.LBB110_76:                             ;   in Loop: Header=BB110_45 Depth=1
	s_or_b32 exec_lo, exec_lo, s75
	v_ashrrev_i32_e32 v13, 31, v12
	s_and_saveexec_b32 s75, s31
	s_cbranch_execnz .LBB110_109
.LBB110_77:                             ;   in Loop: Header=BB110_45 Depth=1
	s_or_b32 exec_lo, exec_lo, s75
	s_and_saveexec_b32 s31, vcc_lo
	s_cbranch_execz .LBB110_44
	s_branch .LBB110_110
.LBB110_78:                             ;   in Loop: Header=BB110_45 Depth=1
	v_mov_b32_e32 v6, s36
	ds_load_b32 v6, v6
	s_wait_dscnt 0x0
	v_add_nc_u32_e32 v12, v6, v12
	s_or_b32 exec_lo, exec_lo, s75
	s_and_saveexec_b32 s75, s1
	s_cbranch_execz .LBB110_47
.LBB110_79:                             ;   in Loop: Header=BB110_45 Depth=1
	v_mov_b32_e32 v6, s37
	ds_load_b32 v6, v6
	s_wait_dscnt 0x0
	v_add_nc_u32_e32 v12, v12, v6
	s_or_b32 exec_lo, exec_lo, s75
	s_and_saveexec_b32 s75, s2
	s_cbranch_execz .LBB110_48
.LBB110_80:                             ;   in Loop: Header=BB110_45 Depth=1
	v_mov_b32_e32 v6, s38
	ds_load_b32 v6, v6
	s_wait_dscnt 0x0
	v_add_nc_u32_e32 v12, v12, v6
	s_or_b32 exec_lo, exec_lo, s75
	s_and_saveexec_b32 s75, s3
	s_cbranch_execz .LBB110_49
.LBB110_81:                             ;   in Loop: Header=BB110_45 Depth=1
	v_mov_b32_e32 v6, s39
	ds_load_b32 v6, v6
	s_wait_dscnt 0x0
	v_add_nc_u32_e32 v12, v12, v6
	s_or_b32 exec_lo, exec_lo, s75
	s_and_saveexec_b32 s75, s4
	s_cbranch_execz .LBB110_50
.LBB110_82:                             ;   in Loop: Header=BB110_45 Depth=1
	v_mov_b32_e32 v6, s40
	ds_load_b32 v6, v6
	s_wait_dscnt 0x0
	v_add_nc_u32_e32 v12, v12, v6
	s_or_b32 exec_lo, exec_lo, s75
	s_and_saveexec_b32 s75, s5
	s_cbranch_execz .LBB110_51
.LBB110_83:                             ;   in Loop: Header=BB110_45 Depth=1
	v_mov_b32_e32 v6, s41
	ds_load_b32 v6, v6
	s_wait_dscnt 0x0
	v_add_nc_u32_e32 v12, v12, v6
	s_or_b32 exec_lo, exec_lo, s75
	s_and_saveexec_b32 s75, s6
	s_cbranch_execz .LBB110_52
.LBB110_84:                             ;   in Loop: Header=BB110_45 Depth=1
	v_mov_b32_e32 v6, s44
	ds_load_b32 v6, v6
	s_wait_dscnt 0x0
	v_add_nc_u32_e32 v12, v12, v6
	s_or_b32 exec_lo, exec_lo, s75
	s_and_saveexec_b32 s75, s7
	s_cbranch_execz .LBB110_53
.LBB110_85:                             ;   in Loop: Header=BB110_45 Depth=1
	v_mov_b32_e32 v6, s45
	ds_load_b32 v6, v6
	s_wait_dscnt 0x0
	v_add_nc_u32_e32 v12, v12, v6
	s_or_b32 exec_lo, exec_lo, s75
	s_and_saveexec_b32 s75, s8
	s_cbranch_execz .LBB110_54
.LBB110_86:                             ;   in Loop: Header=BB110_45 Depth=1
	v_mov_b32_e32 v6, s47
	ds_load_b32 v6, v6
	s_wait_dscnt 0x0
	v_add_nc_u32_e32 v12, v12, v6
	s_or_b32 exec_lo, exec_lo, s75
	s_and_saveexec_b32 s75, s9
	s_cbranch_execz .LBB110_55
.LBB110_87:                             ;   in Loop: Header=BB110_45 Depth=1
	v_mov_b32_e32 v6, s52
	ds_load_b32 v6, v6
	s_wait_dscnt 0x0
	v_add_nc_u32_e32 v12, v12, v6
	s_or_b32 exec_lo, exec_lo, s75
	s_and_saveexec_b32 s75, s10
	s_cbranch_execz .LBB110_56
.LBB110_88:                             ;   in Loop: Header=BB110_45 Depth=1
	v_mov_b32_e32 v6, s53
	ds_load_b32 v6, v6
	s_wait_dscnt 0x0
	v_add_nc_u32_e32 v12, v12, v6
	s_or_b32 exec_lo, exec_lo, s75
	s_and_saveexec_b32 s75, s11
	s_cbranch_execz .LBB110_57
.LBB110_89:                             ;   in Loop: Header=BB110_45 Depth=1
	v_mov_b32_e32 v6, s54
	ds_load_b32 v6, v6
	s_wait_dscnt 0x0
	v_add_nc_u32_e32 v12, v12, v6
	s_or_b32 exec_lo, exec_lo, s75
	s_and_saveexec_b32 s75, s12
	s_cbranch_execz .LBB110_58
.LBB110_90:                             ;   in Loop: Header=BB110_45 Depth=1
	v_mov_b32_e32 v6, s55
	ds_load_b32 v6, v6
	s_wait_dscnt 0x0
	v_add_nc_u32_e32 v12, v12, v6
	s_or_b32 exec_lo, exec_lo, s75
	s_and_saveexec_b32 s75, s13
	s_cbranch_execz .LBB110_59
.LBB110_91:                             ;   in Loop: Header=BB110_45 Depth=1
	v_mov_b32_e32 v6, s56
	ds_load_b32 v6, v6
	s_wait_dscnt 0x0
	v_add_nc_u32_e32 v12, v12, v6
	s_or_b32 exec_lo, exec_lo, s75
	s_and_saveexec_b32 s75, s14
	s_cbranch_execz .LBB110_60
.LBB110_92:                             ;   in Loop: Header=BB110_45 Depth=1
	v_mov_b32_e32 v6, s57
	ds_load_b32 v6, v6
	s_wait_dscnt 0x0
	v_add_nc_u32_e32 v12, v12, v6
	s_or_b32 exec_lo, exec_lo, s75
	s_and_saveexec_b32 s75, s15
	s_cbranch_execz .LBB110_61
.LBB110_93:                             ;   in Loop: Header=BB110_45 Depth=1
	v_mov_b32_e32 v6, s58
	ds_load_b32 v6, v6
	s_wait_dscnt 0x0
	v_add_nc_u32_e32 v12, v12, v6
	s_or_b32 exec_lo, exec_lo, s75
	s_and_saveexec_b32 s75, s16
	s_cbranch_execz .LBB110_62
.LBB110_94:                             ;   in Loop: Header=BB110_45 Depth=1
	v_mov_b32_e32 v6, s59
	ds_load_b32 v6, v6
	s_wait_dscnt 0x0
	v_add_nc_u32_e32 v12, v12, v6
	s_or_b32 exec_lo, exec_lo, s75
	s_and_saveexec_b32 s75, s17
	s_cbranch_execz .LBB110_63
.LBB110_95:                             ;   in Loop: Header=BB110_45 Depth=1
	v_mov_b32_e32 v6, s60
	ds_load_b32 v6, v6
	s_wait_dscnt 0x0
	v_add_nc_u32_e32 v12, v12, v6
	s_or_b32 exec_lo, exec_lo, s75
	s_and_saveexec_b32 s75, s18
	s_cbranch_execz .LBB110_64
.LBB110_96:                             ;   in Loop: Header=BB110_45 Depth=1
	v_mov_b32_e32 v6, s61
	ds_load_b32 v6, v6
	s_wait_dscnt 0x0
	v_add_nc_u32_e32 v12, v12, v6
	s_or_b32 exec_lo, exec_lo, s75
	s_and_saveexec_b32 s75, s19
	s_cbranch_execz .LBB110_65
.LBB110_97:                             ;   in Loop: Header=BB110_45 Depth=1
	v_mov_b32_e32 v6, s62
	ds_load_b32 v6, v6
	s_wait_dscnt 0x0
	v_add_nc_u32_e32 v12, v12, v6
	s_or_b32 exec_lo, exec_lo, s75
	s_and_saveexec_b32 s75, s20
	s_cbranch_execz .LBB110_66
.LBB110_98:                             ;   in Loop: Header=BB110_45 Depth=1
	v_mov_b32_e32 v6, s63
	ds_load_b32 v6, v6
	s_wait_dscnt 0x0
	v_add_nc_u32_e32 v12, v12, v6
	s_or_b32 exec_lo, exec_lo, s75
	s_and_saveexec_b32 s75, s21
	s_cbranch_execz .LBB110_67
.LBB110_99:                             ;   in Loop: Header=BB110_45 Depth=1
	v_mov_b32_e32 v6, s64
	ds_load_b32 v6, v6
	s_wait_dscnt 0x0
	v_add_nc_u32_e32 v12, v12, v6
	s_or_b32 exec_lo, exec_lo, s75
	s_and_saveexec_b32 s75, s22
	s_cbranch_execz .LBB110_68
.LBB110_100:                            ;   in Loop: Header=BB110_45 Depth=1
	v_mov_b32_e32 v6, s65
	ds_load_b32 v6, v6
	s_wait_dscnt 0x0
	v_add_nc_u32_e32 v12, v12, v6
	s_or_b32 exec_lo, exec_lo, s75
	s_and_saveexec_b32 s75, s23
	s_cbranch_execz .LBB110_69
.LBB110_101:                            ;   in Loop: Header=BB110_45 Depth=1
	v_mov_b32_e32 v6, s66
	ds_load_b32 v6, v6
	s_wait_dscnt 0x0
	v_add_nc_u32_e32 v12, v12, v6
	s_or_b32 exec_lo, exec_lo, s75
	s_and_saveexec_b32 s75, s24
	s_cbranch_execz .LBB110_70
.LBB110_102:                            ;   in Loop: Header=BB110_45 Depth=1
	v_mov_b32_e32 v6, s67
	ds_load_b32 v6, v6
	s_wait_dscnt 0x0
	v_add_nc_u32_e32 v12, v12, v6
	s_or_b32 exec_lo, exec_lo, s75
	s_and_saveexec_b32 s75, s25
	s_cbranch_execz .LBB110_71
.LBB110_103:                            ;   in Loop: Header=BB110_45 Depth=1
	v_mov_b32_e32 v6, s68
	ds_load_b32 v6, v6
	s_wait_dscnt 0x0
	v_add_nc_u32_e32 v12, v12, v6
	s_or_b32 exec_lo, exec_lo, s75
	s_and_saveexec_b32 s75, s26
	s_cbranch_execz .LBB110_72
.LBB110_104:                            ;   in Loop: Header=BB110_45 Depth=1
	v_mov_b32_e32 v6, s69
	ds_load_b32 v6, v6
	s_wait_dscnt 0x0
	v_add_nc_u32_e32 v12, v12, v6
	s_or_b32 exec_lo, exec_lo, s75
	s_and_saveexec_b32 s75, s27
	s_cbranch_execz .LBB110_73
.LBB110_105:                            ;   in Loop: Header=BB110_45 Depth=1
	v_mov_b32_e32 v6, s70
	ds_load_b32 v6, v6
	s_wait_dscnt 0x0
	v_add_nc_u32_e32 v12, v12, v6
	s_or_b32 exec_lo, exec_lo, s75
	s_and_saveexec_b32 s75, s28
	s_cbranch_execz .LBB110_74
.LBB110_106:                            ;   in Loop: Header=BB110_45 Depth=1
	v_mov_b32_e32 v6, s71
	ds_load_b32 v6, v6
	s_wait_dscnt 0x0
	v_add_nc_u32_e32 v12, v12, v6
	s_or_b32 exec_lo, exec_lo, s75
	s_and_saveexec_b32 s75, s29
	s_cbranch_execz .LBB110_75
.LBB110_107:                            ;   in Loop: Header=BB110_45 Depth=1
	v_mov_b32_e32 v6, s72
	ds_load_b32 v6, v6
	s_wait_dscnt 0x0
	v_add_nc_u32_e32 v12, v12, v6
	s_or_b32 exec_lo, exec_lo, s75
	s_and_saveexec_b32 s75, s30
	s_cbranch_execz .LBB110_76
.LBB110_108:                            ;   in Loop: Header=BB110_45 Depth=1
	v_mov_b32_e32 v6, s73
	ds_load_b32 v6, v6
	s_wait_dscnt 0x0
	v_add_nc_u32_e32 v12, v12, v6
	s_or_b32 exec_lo, exec_lo, s75
	s_delay_alu instid0(VALU_DEP_1)
	v_ashrrev_i32_e32 v13, 31, v12
	s_and_saveexec_b32 s75, s31
	s_cbranch_execz .LBB110_77
.LBB110_109:                            ;   in Loop: Header=BB110_45 Depth=1
	v_add3_u32 v6, v10, -1, v12
	v_add_nc_u32_e32 v9, v10, v12
	s_delay_alu instid0(VALU_DEP_2) | instskip(NEXT) | instid1(VALU_DEP_2)
	v_lshl_add_u32 v6, v6, 3, 0
	v_lshl_add_u32 v9, v9, 3, 0
	ds_store_b64 v6, v[2:3]
	ds_store_b64 v9, v[4:5] offset:32760
	s_or_b32 exec_lo, exec_lo, s75
	s_and_saveexec_b32 s31, vcc_lo
	s_cbranch_execz .LBB110_44
.LBB110_110:                            ;   in Loop: Header=BB110_45 Depth=1
	v_mov_b32_e32 v2, s74
	ds_store_b64 v2, v[12:13]
	s_branch .LBB110_44
.LBB110_111:
	s_or_b32 exec_lo, exec_lo, s33
	s_wait_kmcnt 0x0
	s_lshl_b64 s[0:1], s[50:51], 3
	v_mov_b32_e32 v1, 0
	s_add_nc_u64 s[4:5], s[42:43], s[0:1]
	s_mov_b32 s6, exec_lo
	s_load_b128 s[0:3], s[4:5], 0x0
	s_wait_kmcnt 0x0
	s_sub_nc_u64 s[4:5], s[2:3], s[0:1]
	s_delay_alu instid0(SALU_CYCLE_1)
	v_cmpx_gt_i64_e64 s[4:5], v[0:1]
	s_cbranch_execz .LBB110_121
; %bb.112:
	s_sub_nc_u64 s[8:9], s[0:1], s[2:3]
	s_and_b64 s[6:7], s[4:5], 7
	v_cmp_lt_u64_e64 s10, s[8:9], -7
	s_and_b64 s[2:3], s[4:5], -8
	s_mov_b32 s47, 0
	s_cmp_lg_u64 s[6:7], 0
	s_sub_nc_u64 s[0:1], s[0:1], s[46:47]
	s_cselect_b32 s11, -1, 0
	s_mov_b32 s12, 0
	s_branch .LBB110_114
.LBB110_113:                            ;   in Loop: Header=BB110_114 Depth=1
	v_add_nc_u64_e32 v[0:1], 0x400, v[0:1]
	s_wait_dscnt 0x0
	s_delay_alu instid0(VALU_DEP_2)
	v_lshl_add_u64 v[2:3], v[6:7], 3, s[34:35]
	global_store_b64 v[2:3], v[4:5], off
	v_cmp_le_i64_e32 vcc_lo, s[4:5], v[0:1]
	s_or_b32 s12, vcc_lo, s12
	s_wait_xcnt 0x0
	s_and_not1_b32 exec_lo, exec_lo, s12
	s_cbranch_execz .LBB110_121
.LBB110_114:                            ; =>This Loop Header: Depth=1
                                        ;     Child Loop BB110_116 Depth 2
                                        ;     Child Loop BB110_120 Depth 2
	v_lshl_add_u32 v2, v0, 3, 0
	v_mov_b64_e32 v[6:7], s[0:1]
	s_and_not1_b32 vcc_lo, exec_lo, s10
	s_mov_b64 s[8:9], 0
	ds_load_2addr_stride64_b64 v[2:5], v2 offset1:64
	s_cbranch_vccnz .LBB110_118
; %bb.115:                              ;   in Loop: Header=BB110_114 Depth=1
	v_mov_b64_e32 v[6:7], s[0:1]
	s_mov_b32 s13, 0
.LBB110_116:                            ;   Parent Loop BB110_114 Depth=1
                                        ; =>  This Inner Loop Header: Depth=2
	s_delay_alu instid0(SALU_CYCLE_1)
	v_dual_mov_b32 v20, s13 :: v_dual_mov_b32 v17, s47
	v_mov_b32_e32 v19, s47
	s_add_nc_u64 s[8:9], s[8:9], 8
	s_add_co_i32 s13, s13, 64
	ds_load_2addr_b64 v[8:11], v20 offset1:1
	ds_load_2addr_b64 v[12:15], v20 offset0:2 offset1:3
	s_cmp_eq_u64 s[2:3], s[8:9]
	s_wait_dscnt 0x1
	v_cmp_gt_i64_e32 vcc_lo, v[2:3], v[8:9]
	v_cndmask_b32_e64 v16, 0, 1, vcc_lo
	v_cmp_gt_i64_e32 vcc_lo, v[2:3], v[10:11]
	s_delay_alu instid0(VALU_DEP_2) | instskip(SKIP_4) | instid1(VALU_DEP_2)
	v_add_nc_u64_e32 v[10:11], v[6:7], v[16:17]
	ds_load_2addr_b64 v[6:9], v20 offset0:4 offset1:5
	v_cndmask_b32_e64 v18, 0, 1, vcc_lo
	s_wait_dscnt 0x1
	v_cmp_gt_i64_e32 vcc_lo, v[2:3], v[12:13]
	v_add_nc_u64_e32 v[10:11], v[10:11], v[18:19]
	v_cndmask_b32_e64 v16, 0, 1, vcc_lo
	v_cmp_gt_i64_e32 vcc_lo, v[2:3], v[14:15]
	s_delay_alu instid0(VALU_DEP_2)
	v_add_nc_u64_e32 v[14:15], v[10:11], v[16:17]
	ds_load_2addr_b64 v[10:13], v20 offset0:6 offset1:7
	v_cndmask_b32_e64 v18, 0, 1, vcc_lo
	s_wait_dscnt 0x1
	v_cmp_gt_i64_e32 vcc_lo, v[2:3], v[6:7]
	v_mov_b32_e32 v7, s47
	s_delay_alu instid0(VALU_DEP_3) | instskip(SKIP_3) | instid1(VALU_DEP_3)
	v_add_nc_u64_e32 v[14:15], v[14:15], v[18:19]
	v_cndmask_b32_e64 v16, 0, 1, vcc_lo
	v_cmp_gt_i64_e32 vcc_lo, v[2:3], v[8:9]
	v_mov_b32_e32 v9, s47
	v_add_nc_u64_e32 v[14:15], v[14:15], v[16:17]
	v_cndmask_b32_e64 v6, 0, 1, vcc_lo
	s_wait_dscnt 0x0
	v_cmp_gt_i64_e32 vcc_lo, v[2:3], v[10:11]
	v_mov_b32_e32 v11, s47
	s_delay_alu instid0(VALU_DEP_3) | instskip(SKIP_2) | instid1(VALU_DEP_2)
	v_add_nc_u64_e32 v[6:7], v[14:15], v[6:7]
	v_cndmask_b32_e64 v8, 0, 1, vcc_lo
	v_cmp_gt_i64_e32 vcc_lo, v[2:3], v[12:13]
	v_add_nc_u64_e32 v[6:7], v[6:7], v[8:9]
	v_cndmask_b32_e64 v10, 0, 1, vcc_lo
	s_delay_alu instid0(VALU_DEP_1)
	v_add_nc_u64_e32 v[6:7], v[6:7], v[10:11]
	s_cbranch_scc0 .LBB110_116
; %bb.117:                              ;   in Loop: Header=BB110_114 Depth=1
	s_mov_b64 s[8:9], s[2:3]
.LBB110_118:                            ;   in Loop: Header=BB110_114 Depth=1
	s_and_not1_b32 vcc_lo, exec_lo, s11
	s_cbranch_vccnz .LBB110_113
; %bb.119:                              ;   in Loop: Header=BB110_114 Depth=1
	s_lshl_b32 s8, s8, 3
	s_delay_alu instid0(SALU_CYCLE_1)
	s_add_co_i32 s13, s8, 0
	s_mov_b64 s[8:9], s[6:7]
.LBB110_120:                            ;   Parent Loop BB110_114 Depth=1
                                        ; =>  This Inner Loop Header: Depth=2
	v_dual_mov_b32 v8, s13 :: v_dual_mov_b32 v11, s47
	s_add_nc_u64 s[8:9], s[8:9], -1
	s_add_co_i32 s13, s13, 8
	s_cmp_lg_u64 s[8:9], 0
	ds_load_b64 v[8:9], v8
	s_wait_dscnt 0x0
	v_cmp_gt_i64_e32 vcc_lo, v[2:3], v[8:9]
	v_cndmask_b32_e64 v10, 0, 1, vcc_lo
	s_delay_alu instid0(VALU_DEP_1)
	v_add_nc_u64_e32 v[6:7], v[6:7], v[10:11]
	s_cbranch_scc1 .LBB110_120
	s_branch .LBB110_113
.LBB110_121:
	s_endpgm
	.section	.rodata,"a",@progbits
	.p2align	6, 0x0
	.amdhsa_kernel _ZN9rocsparseL41csrgemm_numeric_fill_block_per_row_kernelILj1024ELj64ELj4096ELj137ELj32ElldEEvT5_PKS1_S3_NS_24const_host_device_scalarIT6_EEPKT4_S3_PKS5_S9_S3_SB_S6_S9_S3_SB_S9_S3_PS5_21rocsparse_index_base_SD_SD_SD_bbb
		.amdhsa_group_segment_fixed_size 0
		.amdhsa_private_segment_fixed_size 0
		.amdhsa_kernarg_size 156
		.amdhsa_user_sgpr_count 2
		.amdhsa_user_sgpr_dispatch_ptr 0
		.amdhsa_user_sgpr_queue_ptr 0
		.amdhsa_user_sgpr_kernarg_segment_ptr 1
		.amdhsa_user_sgpr_dispatch_id 0
		.amdhsa_user_sgpr_kernarg_preload_length 0
		.amdhsa_user_sgpr_kernarg_preload_offset 0
		.amdhsa_user_sgpr_private_segment_size 0
		.amdhsa_wavefront_size32 1
		.amdhsa_uses_dynamic_stack 0
		.amdhsa_enable_private_segment 0
		.amdhsa_system_sgpr_workgroup_id_x 1
		.amdhsa_system_sgpr_workgroup_id_y 0
		.amdhsa_system_sgpr_workgroup_id_z 0
		.amdhsa_system_sgpr_workgroup_info 0
		.amdhsa_system_vgpr_workitem_id 0
		.amdhsa_next_free_vgpr 28
		.amdhsa_next_free_sgpr 76
		.amdhsa_named_barrier_count 0
		.amdhsa_reserve_vcc 1
		.amdhsa_float_round_mode_32 0
		.amdhsa_float_round_mode_16_64 0
		.amdhsa_float_denorm_mode_32 3
		.amdhsa_float_denorm_mode_16_64 3
		.amdhsa_fp16_overflow 0
		.amdhsa_memory_ordered 1
		.amdhsa_forward_progress 1
		.amdhsa_inst_pref_size 35
		.amdhsa_round_robin_scheduling 0
		.amdhsa_exception_fp_ieee_invalid_op 0
		.amdhsa_exception_fp_denorm_src 0
		.amdhsa_exception_fp_ieee_div_zero 0
		.amdhsa_exception_fp_ieee_overflow 0
		.amdhsa_exception_fp_ieee_underflow 0
		.amdhsa_exception_fp_ieee_inexact 0
		.amdhsa_exception_int_div_zero 0
	.end_amdhsa_kernel
	.section	.text._ZN9rocsparseL41csrgemm_numeric_fill_block_per_row_kernelILj1024ELj64ELj4096ELj137ELj32ElldEEvT5_PKS1_S3_NS_24const_host_device_scalarIT6_EEPKT4_S3_PKS5_S9_S3_SB_S6_S9_S3_SB_S9_S3_PS5_21rocsparse_index_base_SD_SD_SD_bbb,"axG",@progbits,_ZN9rocsparseL41csrgemm_numeric_fill_block_per_row_kernelILj1024ELj64ELj4096ELj137ELj32ElldEEvT5_PKS1_S3_NS_24const_host_device_scalarIT6_EEPKT4_S3_PKS5_S9_S3_SB_S6_S9_S3_SB_S9_S3_PS5_21rocsparse_index_base_SD_SD_SD_bbb,comdat
.Lfunc_end110:
	.size	_ZN9rocsparseL41csrgemm_numeric_fill_block_per_row_kernelILj1024ELj64ELj4096ELj137ELj32ElldEEvT5_PKS1_S3_NS_24const_host_device_scalarIT6_EEPKT4_S3_PKS5_S9_S3_SB_S6_S9_S3_SB_S9_S3_PS5_21rocsparse_index_base_SD_SD_SD_bbb, .Lfunc_end110-_ZN9rocsparseL41csrgemm_numeric_fill_block_per_row_kernelILj1024ELj64ELj4096ELj137ELj32ElldEEvT5_PKS1_S3_NS_24const_host_device_scalarIT6_EEPKT4_S3_PKS5_S9_S3_SB_S6_S9_S3_SB_S9_S3_PS5_21rocsparse_index_base_SD_SD_SD_bbb
                                        ; -- End function
	.set _ZN9rocsparseL41csrgemm_numeric_fill_block_per_row_kernelILj1024ELj64ELj4096ELj137ELj32ElldEEvT5_PKS1_S3_NS_24const_host_device_scalarIT6_EEPKT4_S3_PKS5_S9_S3_SB_S6_S9_S3_SB_S9_S3_PS5_21rocsparse_index_base_SD_SD_SD_bbb.num_vgpr, 28
	.set _ZN9rocsparseL41csrgemm_numeric_fill_block_per_row_kernelILj1024ELj64ELj4096ELj137ELj32ElldEEvT5_PKS1_S3_NS_24const_host_device_scalarIT6_EEPKT4_S3_PKS5_S9_S3_SB_S6_S9_S3_SB_S9_S3_PS5_21rocsparse_index_base_SD_SD_SD_bbb.num_agpr, 0
	.set _ZN9rocsparseL41csrgemm_numeric_fill_block_per_row_kernelILj1024ELj64ELj4096ELj137ELj32ElldEEvT5_PKS1_S3_NS_24const_host_device_scalarIT6_EEPKT4_S3_PKS5_S9_S3_SB_S6_S9_S3_SB_S9_S3_PS5_21rocsparse_index_base_SD_SD_SD_bbb.numbered_sgpr, 76
	.set _ZN9rocsparseL41csrgemm_numeric_fill_block_per_row_kernelILj1024ELj64ELj4096ELj137ELj32ElldEEvT5_PKS1_S3_NS_24const_host_device_scalarIT6_EEPKT4_S3_PKS5_S9_S3_SB_S6_S9_S3_SB_S9_S3_PS5_21rocsparse_index_base_SD_SD_SD_bbb.num_named_barrier, 0
	.set _ZN9rocsparseL41csrgemm_numeric_fill_block_per_row_kernelILj1024ELj64ELj4096ELj137ELj32ElldEEvT5_PKS1_S3_NS_24const_host_device_scalarIT6_EEPKT4_S3_PKS5_S9_S3_SB_S6_S9_S3_SB_S9_S3_PS5_21rocsparse_index_base_SD_SD_SD_bbb.private_seg_size, 0
	.set _ZN9rocsparseL41csrgemm_numeric_fill_block_per_row_kernelILj1024ELj64ELj4096ELj137ELj32ElldEEvT5_PKS1_S3_NS_24const_host_device_scalarIT6_EEPKT4_S3_PKS5_S9_S3_SB_S6_S9_S3_SB_S9_S3_PS5_21rocsparse_index_base_SD_SD_SD_bbb.uses_vcc, 1
	.set _ZN9rocsparseL41csrgemm_numeric_fill_block_per_row_kernelILj1024ELj64ELj4096ELj137ELj32ElldEEvT5_PKS1_S3_NS_24const_host_device_scalarIT6_EEPKT4_S3_PKS5_S9_S3_SB_S6_S9_S3_SB_S9_S3_PS5_21rocsparse_index_base_SD_SD_SD_bbb.uses_flat_scratch, 0
	.set _ZN9rocsparseL41csrgemm_numeric_fill_block_per_row_kernelILj1024ELj64ELj4096ELj137ELj32ElldEEvT5_PKS1_S3_NS_24const_host_device_scalarIT6_EEPKT4_S3_PKS5_S9_S3_SB_S6_S9_S3_SB_S9_S3_PS5_21rocsparse_index_base_SD_SD_SD_bbb.has_dyn_sized_stack, 0
	.set _ZN9rocsparseL41csrgemm_numeric_fill_block_per_row_kernelILj1024ELj64ELj4096ELj137ELj32ElldEEvT5_PKS1_S3_NS_24const_host_device_scalarIT6_EEPKT4_S3_PKS5_S9_S3_SB_S6_S9_S3_SB_S9_S3_PS5_21rocsparse_index_base_SD_SD_SD_bbb.has_recursion, 0
	.set _ZN9rocsparseL41csrgemm_numeric_fill_block_per_row_kernelILj1024ELj64ELj4096ELj137ELj32ElldEEvT5_PKS1_S3_NS_24const_host_device_scalarIT6_EEPKT4_S3_PKS5_S9_S3_SB_S6_S9_S3_SB_S9_S3_PS5_21rocsparse_index_base_SD_SD_SD_bbb.has_indirect_call, 0
	.section	.AMDGPU.csdata,"",@progbits
; Kernel info:
; codeLenInByte = 4480
; TotalNumSgprs: 78
; NumVgprs: 28
; ScratchSize: 0
; MemoryBound: 0
; FloatMode: 240
; IeeeMode: 1
; LDSByteSize: 0 bytes/workgroup (compile time only)
; SGPRBlocks: 0
; VGPRBlocks: 1
; NumSGPRsForWavesPerEU: 78
; NumVGPRsForWavesPerEU: 28
; NamedBarCnt: 0
; Occupancy: 16
; WaveLimiterHint : 1
; COMPUTE_PGM_RSRC2:SCRATCH_EN: 0
; COMPUTE_PGM_RSRC2:USER_SGPR: 2
; COMPUTE_PGM_RSRC2:TRAP_HANDLER: 0
; COMPUTE_PGM_RSRC2:TGID_X_EN: 1
; COMPUTE_PGM_RSRC2:TGID_Y_EN: 0
; COMPUTE_PGM_RSRC2:TGID_Z_EN: 0
; COMPUTE_PGM_RSRC2:TIDIG_COMP_CNT: 0
	.section	.text._ZN9rocsparseL41csrgemm_numeric_fill_block_per_row_kernelILj1024ELj64ELj4096ELj137ELj64ElldEEvT5_PKS1_S3_NS_24const_host_device_scalarIT6_EEPKT4_S3_PKS5_S9_S3_SB_S6_S9_S3_SB_S9_S3_PS5_21rocsparse_index_base_SD_SD_SD_bbb,"axG",@progbits,_ZN9rocsparseL41csrgemm_numeric_fill_block_per_row_kernelILj1024ELj64ELj4096ELj137ELj64ElldEEvT5_PKS1_S3_NS_24const_host_device_scalarIT6_EEPKT4_S3_PKS5_S9_S3_SB_S6_S9_S3_SB_S9_S3_PS5_21rocsparse_index_base_SD_SD_SD_bbb,comdat
	.globl	_ZN9rocsparseL41csrgemm_numeric_fill_block_per_row_kernelILj1024ELj64ELj4096ELj137ELj64ElldEEvT5_PKS1_S3_NS_24const_host_device_scalarIT6_EEPKT4_S3_PKS5_S9_S3_SB_S6_S9_S3_SB_S9_S3_PS5_21rocsparse_index_base_SD_SD_SD_bbb ; -- Begin function _ZN9rocsparseL41csrgemm_numeric_fill_block_per_row_kernelILj1024ELj64ELj4096ELj137ELj64ElldEEvT5_PKS1_S3_NS_24const_host_device_scalarIT6_EEPKT4_S3_PKS5_S9_S3_SB_S6_S9_S3_SB_S9_S3_PS5_21rocsparse_index_base_SD_SD_SD_bbb
	.p2align	8
	.type	_ZN9rocsparseL41csrgemm_numeric_fill_block_per_row_kernelILj1024ELj64ELj4096ELj137ELj64ElldEEvT5_PKS1_S3_NS_24const_host_device_scalarIT6_EEPKT4_S3_PKS5_S9_S3_SB_S6_S9_S3_SB_S9_S3_PS5_21rocsparse_index_base_SD_SD_SD_bbb,@function
_ZN9rocsparseL41csrgemm_numeric_fill_block_per_row_kernelILj1024ELj64ELj4096ELj137ELj64ElldEEvT5_PKS1_S3_NS_24const_host_device_scalarIT6_EEPKT4_S3_PKS5_S9_S3_SB_S6_S9_S3_SB_S9_S3_PS5_21rocsparse_index_base_SD_SD_SD_bbb: ; @_ZN9rocsparseL41csrgemm_numeric_fill_block_per_row_kernelILj1024ELj64ELj4096ELj137ELj64ElldEEvT5_PKS1_S3_NS_24const_host_device_scalarIT6_EEPKT4_S3_PKS5_S9_S3_SB_S6_S9_S3_SB_S9_S3_PS5_21rocsparse_index_base_SD_SD_SD_bbb
; %bb.0:
	s_clause 0x3
	s_load_b32 s6, s[0:1], 0x98
	s_load_b64 s[2:3], s[0:1], 0x18
	s_load_b128 s[20:23], s[0:1], 0x88
	s_load_b64 s[4:5], s[0:1], 0x50
	s_wait_kmcnt 0x0
	s_bitcmp1_b32 s6, 0
	s_cselect_b32 s36, -1, 0
	s_bitcmp1_b32 s6, 16
	s_cselect_b32 s7, -1, 0
	s_xor_b32 s8, s36, -1
	s_delay_alu instid0(SALU_CYCLE_1)
	s_or_b32 s10, s7, s8
	s_and_b32 s8, s36, exec_lo
	s_cselect_b32 s9, s3, 0
	s_cselect_b32 s8, s2, 0
	s_and_b32 vcc_lo, exec_lo, s10
	v_mov_b64_e32 v[6:7], s[8:9]
	s_cbranch_vccnz .LBB111_2
; %bb.1:
	v_mov_b32_e32 v1, 0
	flat_load_b64 v[6:7], v1, s[2:3]
.LBB111_2:
	s_wait_xcnt 0x0
	s_load_b64 s[2:3], s[0:1], 0x8
	s_bitcmp1_b32 s6, 8
	s_cselect_b32 s33, -1, 0
	s_delay_alu instid0(SALU_CYCLE_1) | instskip(NEXT) | instid1(SALU_CYCLE_1)
	s_xor_b32 s6, s33, -1
	s_or_b32 s8, s7, s6
	s_and_b32 s6, s33, exec_lo
	s_cselect_b32 s7, s5, 0
	s_cselect_b32 s6, s4, 0
	s_and_b32 vcc_lo, exec_lo, s8
	v_mov_b64_e32 v[2:3], s[6:7]
	s_cbranch_vccnz .LBB111_4
; %bb.3:
	v_mov_b32_e32 v1, 0
	flat_load_b64 v[2:3], v1, s[4:5]
.LBB111_4:
	s_clause 0x5
	s_load_b64 s[30:31], s[0:1], 0x0
	s_load_b64 s[34:35], s[0:1], 0x10
	s_load_b64 s[28:29], s[0:1], 0x80
	s_load_b256 s[12:19], s[0:1], 0x58
	s_load_b128 s[24:27], s[0:1], 0x40
	s_load_b256 s[4:11], s[0:1], 0x20
	v_lshl_add_u32 v28, v0, 3, 0
	v_or_b32_e32 v29, 0xfffffc00, v0
	v_mov_b64_e32 v[4:5], 0
	s_wait_xcnt 0x0
	s_mov_b32 s0, 0
	s_delay_alu instid0(VALU_DEP_2)
	v_dual_mov_b32 v1, v28 :: v_dual_mov_b32 v10, v29
	s_wait_kmcnt 0x0
	v_mov_b64_e32 v[8:9], s[30:31]
.LBB111_5:                              ; =>This Inner Loop Header: Depth=1
	s_delay_alu instid0(VALU_DEP_2) | instskip(SKIP_4) | instid1(SALU_CYCLE_1)
	v_add_nc_u32_e32 v10, 0x400, v10
	ds_store_2addr_stride64_b64 v1, v[8:9], v[4:5] offset1:64
	v_add_nc_u32_e32 v1, 0x2000, v1
	v_cmp_lt_u32_e32 vcc_lo, 0xbff, v10
	s_or_b32 s0, vcc_lo, s0
	s_and_not1_b32 exec_lo, exec_lo, s0
	s_cbranch_execnz .LBB111_5
; %bb.6:
	s_or_b32 exec_lo, exec_lo, s0
	s_wait_loadcnt_dscnt 0x0
	s_barrier_signal -1
	s_barrier_wait -1
	s_load_b64 s[0:1], s[2:3], 0x0
	s_wait_xcnt 0x0
	s_bfe_u32 s2, ttmp6, 0x4000c
	s_and_b32 s3, ttmp6, 15
	s_add_co_i32 s2, s2, 1
	s_getreg_b32 s37, hwreg(HW_REG_IB_STS2, 6, 4)
	s_mul_i32 s2, ttmp9, s2
	v_lshrrev_b32_e32 v4, 6, v0
	s_add_co_i32 s3, s3, s2
	s_wait_kmcnt 0x0
	s_lshl_b64 s[0:1], s[0:1], 3
	s_cmp_eq_u32 s37, 0
	s_add_nc_u64 s[0:1], s[34:35], s[0:1]
	s_cselect_b32 s2, ttmp9, s3
	s_and_b32 vcc_lo, exec_lo, s36
	s_load_b64 s[34:35], s[0:1], s2 offset:0x0 scale_offset
	s_wait_xcnt 0x0
	s_mov_b32 s1, 0
	s_cbranch_vccz .LBB111_26
; %bb.7:
	s_wait_kmcnt 0x0
	s_lshl_b64 s[2:3], s[34:35], 3
	v_mov_b32_e32 v5, 0
	s_add_nc_u64 s[2:3], s[4:5], s[2:3]
	s_mov_b32 s0, s20
	s_load_b128 s[36:39], s[2:3], 0x0
	s_mov_b32 s20, exec_lo
	v_sub_nc_u64_e64 v[8:9], v[4:5], s[0:1]
	s_wait_kmcnt 0x0
	s_delay_alu instid0(VALU_DEP_1)
	v_add_nc_u64_e32 v[8:9], s[36:37], v[8:9]
	s_sub_nc_u64 s[2:3], s[38:39], s[0:1]
	s_delay_alu instid0(VALU_DEP_1) | instid1(SALU_CYCLE_1)
	v_cmpx_gt_i64_e64 s[2:3], v[8:9]
	s_cbranch_execz .LBB111_25
; %bb.8:
	v_dual_mov_b32 v11, v5 :: v_dual_bitop2_b32 v10, 63, v0 bitop3:0x40
	s_mov_b32 s5, 0
	s_mov_b32 s4, s21
	;; [unrolled: 1-line block ×3, first 2 shown]
	s_delay_alu instid0(VALU_DEP_1)
	v_sub_nc_u64_e64 v[10:11], v[10:11], s[4:5]
	s_branch .LBB111_10
.LBB111_9:                              ;   in Loop: Header=BB111_10 Depth=1
	s_or_b32 exec_lo, exec_lo, s36
	v_add_nc_u64_e32 v[8:9], 16, v[8:9]
	s_delay_alu instid0(VALU_DEP_1) | instskip(SKIP_1) | instid1(SALU_CYCLE_1)
	v_cmp_le_i64_e32 vcc_lo, s[2:3], v[8:9]
	s_or_b32 s21, vcc_lo, s21
	s_and_not1_b32 exec_lo, exec_lo, s21
	s_cbranch_execz .LBB111_25
.LBB111_10:                             ; =>This Loop Header: Depth=1
                                        ;     Child Loop BB111_14 Depth 2
                                        ;       Child Loop BB111_17 Depth 3
	v_lshl_add_u64 v[12:13], v[8:9], 3, s[6:7]
	s_mov_b32 s36, exec_lo
	global_load_b64 v[12:13], v[12:13], off
	s_wait_loadcnt 0x0
	s_wait_xcnt 0x0
	v_sub_nc_u64_e64 v[12:13], v[12:13], s[0:1]
	s_delay_alu instid0(VALU_DEP_1)
	v_lshl_add_u64 v[12:13], v[12:13], 3, s[10:11]
	global_load_b128 v[14:17], v[12:13], off
	s_wait_loadcnt 0x0
	s_wait_xcnt 0x0
	v_sub_nc_u64_e64 v[12:13], v[16:17], s[4:5]
	v_add_nc_u64_e32 v[14:15], v[14:15], v[10:11]
	s_delay_alu instid0(VALU_DEP_1)
	v_cmpx_lt_i64_e64 v[14:15], v[12:13]
	s_cbranch_execz .LBB111_9
; %bb.11:                               ;   in Loop: Header=BB111_10 Depth=1
	v_lshl_add_u64 v[16:17], v[8:9], 3, s[8:9]
	s_mov_b32 s37, 0
	global_load_b64 v[16:17], v[16:17], off
	s_wait_loadcnt 0x0
	s_wait_xcnt 0x0
	v_mul_f64_e32 v[16:17], v[6:7], v[16:17]
	s_branch .LBB111_14
.LBB111_12:                             ;   in Loop: Header=BB111_14 Depth=2
	s_or_b32 exec_lo, exec_lo, s39
.LBB111_13:                             ;   in Loop: Header=BB111_14 Depth=2
	s_delay_alu instid0(SALU_CYCLE_1) | instskip(SKIP_4) | instid1(VALU_DEP_1)
	s_or_b32 exec_lo, exec_lo, s38
	s_wait_loadcnt 0x0
	v_mul_f64_e32 v[18:19], v[16:17], v[18:19]
	v_lshl_add_u32 v1, v20, 3, 0
	v_add_nc_u64_e32 v[14:15], 64, v[14:15]
	v_cmp_ge_i64_e32 vcc_lo, v[14:15], v[12:13]
	s_or_b32 s37, vcc_lo, s37
	ds_add_f64 v1, v[18:19] offset:32768
	s_and_not1_b32 exec_lo, exec_lo, s37
	s_cbranch_execz .LBB111_9
.LBB111_14:                             ;   Parent Loop BB111_10 Depth=1
                                        ; =>  This Loop Header: Depth=2
                                        ;       Child Loop BB111_17 Depth 3
	v_lshlrev_b64_e32 v[18:19], 3, v[14:15]
	s_mov_b32 s38, exec_lo
	s_delay_alu instid0(VALU_DEP_1)
	v_add_nc_u64_e32 v[20:21], s[24:25], v[18:19]
	v_add_nc_u64_e32 v[18:19], s[26:27], v[18:19]
	global_load_b64 v[20:21], v[20:21], off
	global_load_b64 v[18:19], v[18:19], off
	s_wait_loadcnt 0x1
	v_sub_nc_u64_e64 v[22:23], v[20:21], s[4:5]
	s_delay_alu instid0(VALU_DEP_1) | instskip(SKIP_1) | instid1(VALU_DEP_1)
	v_mul_lo_u32 v1, 0x89, v22
	s_wait_xcnt 0x1
	v_and_b32_e32 v20, 0xfff, v1
	s_delay_alu instid0(VALU_DEP_1)
	v_lshl_add_u32 v1, v20, 3, 0
	ds_load_b64 v[26:27], v1
	s_wait_dscnt 0x0
	s_wait_xcnt 0x0
	v_cmpx_ne_u64_e64 v[26:27], v[22:23]
	s_cbranch_execz .LBB111_13
; %bb.15:                               ;   in Loop: Header=BB111_14 Depth=2
	s_mov_b32 s39, 0
                                        ; implicit-def: $sgpr40
                                        ; implicit-def: $sgpr41
	s_branch .LBB111_17
.LBB111_16:                             ;   in Loop: Header=BB111_17 Depth=3
	s_or_b32 exec_lo, exec_lo, s44
	s_delay_alu instid0(SALU_CYCLE_1) | instskip(NEXT) | instid1(SALU_CYCLE_1)
	s_and_b32 s42, exec_lo, s43
	s_or_b32 s39, s42, s39
	s_and_not1_b32 s40, s40, exec_lo
	s_and_b32 s42, s41, exec_lo
	s_delay_alu instid0(SALU_CYCLE_1)
	s_or_b32 s40, s40, s42
	s_and_not1_b32 exec_lo, exec_lo, s39
	s_cbranch_execz .LBB111_23
.LBB111_17:                             ;   Parent Loop BB111_10 Depth=1
                                        ;     Parent Loop BB111_14 Depth=2
                                        ; =>    This Inner Loop Header: Depth=3
	v_mov_b64_e32 v[24:25], v[20:21]
	s_mov_b32 s42, 0
	s_mov_b32 s43, exec_lo
                                        ; implicit-def: $vgpr20_vgpr21
	v_cmpx_ne_u64_e64 s[30:31], v[26:27]
	s_xor_b32 s43, exec_lo, s43
; %bb.18:                               ;   in Loop: Header=BB111_17 Depth=3
	s_delay_alu instid0(VALU_DEP_2) | instskip(SKIP_1) | instid1(VALU_DEP_1)
	v_add_nc_u32_e32 v1, 1, v24
	s_mov_b32 s42, exec_lo
	v_and_b32_e32 v20, 0xfff, v1
                                        ; implicit-def: $vgpr1
; %bb.19:                               ;   in Loop: Header=BB111_17 Depth=3
	s_and_not1_saveexec_b32 s43, s43
	s_cbranch_execz .LBB111_21
; %bb.20:                               ;   in Loop: Header=BB111_17 Depth=3
	v_mov_b64_e32 v[20:21], s[30:31]
	s_and_not1_b32 s42, s42, exec_lo
	ds_cmpstore_rtn_b64 v[20:21], v1, v[22:23], v[20:21]
	s_wait_dscnt 0x0
	v_cmp_ne_u64_e32 vcc_lo, s[30:31], v[20:21]
	v_mov_b64_e32 v[20:21], v[24:25]
	s_and_b32 s44, vcc_lo, exec_lo
	s_delay_alu instid0(SALU_CYCLE_1)
	s_or_b32 s42, s42, s44
.LBB111_21:                             ;   in Loop: Header=BB111_17 Depth=3
	s_or_b32 exec_lo, exec_lo, s43
	s_mov_b32 s43, -1
	s_or_b32 s41, s41, exec_lo
                                        ; implicit-def: $vgpr1
                                        ; implicit-def: $vgpr26_vgpr27
	s_and_saveexec_b32 s44, s42
	s_cbranch_execz .LBB111_16
; %bb.22:                               ;   in Loop: Header=BB111_17 Depth=3
	v_lshl_add_u32 v1, v20, 3, 0
	s_and_not1_b32 s41, s41, exec_lo
	ds_load_b64 v[26:27], v1
	s_wait_dscnt 0x0
	v_cmp_eq_u64_e32 vcc_lo, v[26:27], v[22:23]
	s_or_not1_b32 s43, vcc_lo, exec_lo
	s_branch .LBB111_16
.LBB111_23:                             ;   in Loop: Header=BB111_14 Depth=2
	s_or_b32 exec_lo, exec_lo, s39
	s_and_saveexec_b32 s39, s40
	s_delay_alu instid0(SALU_CYCLE_1)
	s_xor_b32 s39, exec_lo, s39
	s_cbranch_execz .LBB111_12
; %bb.24:                               ;   in Loop: Header=BB111_14 Depth=2
	v_mov_b32_e32 v20, v24
	s_branch .LBB111_12
.LBB111_25:
	s_or_b32 exec_lo, exec_lo, s20
.LBB111_26:
	s_delay_alu instid0(SALU_CYCLE_1)
	s_and_not1_b32 vcc_lo, exec_lo, s33
	s_cbranch_vccnz .LBB111_43
; %bb.27:
	s_wait_kmcnt 0x0
	s_lshl_b64 s[0:1], s[34:35], 3
	v_mov_b32_e32 v1, 0
	s_add_nc_u64 s[0:1], s[12:13], s[0:1]
	s_load_b128 s[4:7], s[0:1], 0x0
	s_wait_xcnt 0x0
	s_mov_b32 s1, 0
	s_mov_b32 s0, s23
	s_delay_alu instid0(SALU_CYCLE_1) | instskip(SKIP_1) | instid1(VALU_DEP_1)
	v_sub_nc_u64_e64 v[6:7], v[0:1], s[0:1]
	s_wait_kmcnt 0x0
	v_add_nc_u64_e32 v[6:7], s[4:5], v[6:7]
	s_sub_nc_u64 s[2:3], s[6:7], s[0:1]
	s_mov_b32 s4, exec_lo
	s_delay_alu instid0(VALU_DEP_1)
	v_cmpx_gt_i64_e64 s[2:3], v[6:7]
	s_cbranch_execz .LBB111_42
; %bb.28:
	s_mov_b32 s5, s1
	s_branch .LBB111_31
.LBB111_29:                             ;   in Loop: Header=BB111_31 Depth=1
	s_or_b32 exec_lo, exec_lo, s7
.LBB111_30:                             ;   in Loop: Header=BB111_31 Depth=1
	s_delay_alu instid0(SALU_CYCLE_1) | instskip(SKIP_4) | instid1(VALU_DEP_1)
	s_or_b32 exec_lo, exec_lo, s6
	s_wait_loadcnt 0x0
	v_mul_f64_e32 v[8:9], v[2:3], v[8:9]
	v_lshl_add_u32 v1, v10, 3, 0
	v_add_nc_u64_e32 v[6:7], 0x400, v[6:7]
	v_cmp_le_i64_e32 vcc_lo, s[2:3], v[6:7]
	s_or_b32 s5, vcc_lo, s5
	ds_add_f64 v1, v[8:9] offset:32768
	s_and_not1_b32 exec_lo, exec_lo, s5
	s_cbranch_execz .LBB111_42
.LBB111_31:                             ; =>This Loop Header: Depth=1
                                        ;     Child Loop BB111_34 Depth 2
	v_lshlrev_b64_e32 v[8:9], 3, v[6:7]
	s_mov_b32 s6, exec_lo
	s_delay_alu instid0(VALU_DEP_1)
	v_add_nc_u64_e32 v[10:11], s[14:15], v[8:9]
	v_add_nc_u64_e32 v[8:9], s[16:17], v[8:9]
	global_load_b64 v[10:11], v[10:11], off
	global_load_b64 v[8:9], v[8:9], off
	s_wait_loadcnt 0x1
	v_sub_nc_u64_e64 v[12:13], v[10:11], s[0:1]
	s_delay_alu instid0(VALU_DEP_1) | instskip(NEXT) | instid1(VALU_DEP_1)
	v_mul_lo_u32 v1, 0x89, v12
	v_and_b32_e32 v10, 0xfff, v1
	s_delay_alu instid0(VALU_DEP_1)
	v_lshl_add_u32 v1, v10, 3, 0
	ds_load_b64 v[16:17], v1
	s_wait_dscnt 0x0
	s_wait_xcnt 0x0
	v_cmpx_ne_u64_e64 v[16:17], v[12:13]
	s_cbranch_execz .LBB111_30
; %bb.32:                               ;   in Loop: Header=BB111_31 Depth=1
	s_mov_b32 s7, 0
                                        ; implicit-def: $sgpr8
                                        ; implicit-def: $sgpr9
	s_branch .LBB111_34
.LBB111_33:                             ;   in Loop: Header=BB111_34 Depth=2
	s_or_b32 exec_lo, exec_lo, s12
	s_delay_alu instid0(SALU_CYCLE_1) | instskip(NEXT) | instid1(SALU_CYCLE_1)
	s_and_b32 s10, exec_lo, s11
	s_or_b32 s7, s10, s7
	s_and_not1_b32 s8, s8, exec_lo
	s_and_b32 s10, s9, exec_lo
	s_delay_alu instid0(SALU_CYCLE_1)
	s_or_b32 s8, s8, s10
	s_and_not1_b32 exec_lo, exec_lo, s7
	s_cbranch_execz .LBB111_40
.LBB111_34:                             ;   Parent Loop BB111_31 Depth=1
                                        ; =>  This Inner Loop Header: Depth=2
	v_mov_b64_e32 v[14:15], v[10:11]
	s_mov_b32 s10, 0
	s_mov_b32 s11, exec_lo
                                        ; implicit-def: $vgpr10_vgpr11
	v_cmpx_ne_u64_e64 s[30:31], v[16:17]
	s_xor_b32 s11, exec_lo, s11
; %bb.35:                               ;   in Loop: Header=BB111_34 Depth=2
	s_delay_alu instid0(VALU_DEP_2) | instskip(SKIP_1) | instid1(VALU_DEP_1)
	v_add_nc_u32_e32 v1, 1, v14
	s_mov_b32 s10, exec_lo
	v_and_b32_e32 v10, 0xfff, v1
                                        ; implicit-def: $vgpr1
; %bb.36:                               ;   in Loop: Header=BB111_34 Depth=2
	s_and_not1_saveexec_b32 s11, s11
	s_cbranch_execz .LBB111_38
; %bb.37:                               ;   in Loop: Header=BB111_34 Depth=2
	v_mov_b64_e32 v[10:11], s[30:31]
	s_and_not1_b32 s10, s10, exec_lo
	ds_cmpstore_rtn_b64 v[10:11], v1, v[12:13], v[10:11]
	s_wait_dscnt 0x0
	v_cmp_ne_u64_e32 vcc_lo, s[30:31], v[10:11]
	v_mov_b64_e32 v[10:11], v[14:15]
	s_and_b32 s12, vcc_lo, exec_lo
	s_delay_alu instid0(SALU_CYCLE_1)
	s_or_b32 s10, s10, s12
.LBB111_38:                             ;   in Loop: Header=BB111_34 Depth=2
	s_or_b32 exec_lo, exec_lo, s11
	s_mov_b32 s11, -1
	s_or_b32 s9, s9, exec_lo
                                        ; implicit-def: $vgpr1
                                        ; implicit-def: $vgpr16_vgpr17
	s_and_saveexec_b32 s12, s10
	s_cbranch_execz .LBB111_33
; %bb.39:                               ;   in Loop: Header=BB111_34 Depth=2
	v_lshl_add_u32 v1, v10, 3, 0
	s_and_not1_b32 s9, s9, exec_lo
	ds_load_b64 v[16:17], v1
	s_wait_dscnt 0x0
	v_cmp_eq_u64_e32 vcc_lo, v[16:17], v[12:13]
	s_or_not1_b32 s11, vcc_lo, exec_lo
	s_branch .LBB111_33
.LBB111_40:                             ;   in Loop: Header=BB111_31 Depth=1
	s_or_b32 exec_lo, exec_lo, s7
	s_and_saveexec_b32 s7, s8
	s_delay_alu instid0(SALU_CYCLE_1)
	s_xor_b32 s7, exec_lo, s7
	s_cbranch_execz .LBB111_29
; %bb.41:                               ;   in Loop: Header=BB111_31 Depth=1
	v_mov_b32_e32 v10, v14
	s_branch .LBB111_29
.LBB111_42:
	s_or_b32 exec_lo, exec_lo, s4
.LBB111_43:
	v_mbcnt_lo_u32_b32 v1, -1, 0
	v_lshlrev_b32_e32 v2, 3, v4
	v_mov_b64_e32 v[10:11], 0
	s_add_co_i32 s38, 0, 0x10078
	s_delay_alu instid0(SALU_CYCLE_1)
	v_dual_mov_b32 v7, 0 :: v_dual_mov_b32 v9, s38
	v_xor_b32_e32 v3, 31, v1
	v_add3_u32 v1, 0x10000, 0, v2
	v_cmp_lt_u32_e64 s0, 63, v0
	v_cmp_lt_u32_e64 s1, 0x7f, v0
	;; [unrolled: 1-line block ×3, first 2 shown]
	v_lshrrev_b32_e64 v8, v3, -1
	v_cmp_lt_u32_e64 s3, 0xff, v0
	v_cmp_lt_u32_e64 s4, 0x13f, v0
	;; [unrolled: 1-line block ×12, first 2 shown]
	s_mov_b32 s16, 0
	s_add_co_i32 s17, 0, 0x10000
	s_add_co_i32 s20, 0, 0x10008
	;; [unrolled: 1-line block ×15, first 2 shown]
	s_wait_dscnt 0x0
	s_barrier_signal -1
	s_barrier_wait -1
	v_cmp_eq_u32_e32 vcc_lo, 0x3ff, v0
	s_branch .LBB111_45
.LBB111_44:                             ;   in Loop: Header=BB111_45 Depth=1
	s_or_b32 exec_lo, exec_lo, s15
	s_wait_dscnt 0x0
	s_barrier_signal -1
	s_barrier_wait -1
	ds_load_b64 v[2:3], v9
	v_add_nc_u32_e32 v29, 0x400, v29
	v_add_nc_u32_e32 v28, 0x2000, v28
	s_delay_alu instid0(VALU_DEP_2)
	v_cmp_lt_u32_e64 s15, 0xbff, v29
	s_or_b32 s16, s15, s16
	s_wait_dscnt 0x0
	v_add_nc_u64_e32 v[10:11], v[2:3], v[10:11]
	s_and_not1_b32 exec_lo, exec_lo, s16
	s_cbranch_execz .LBB111_79
.LBB111_45:                             ; =>This Inner Loop Header: Depth=1
	ds_load_2addr_stride64_b64 v[2:5], v28 offset1:64
	s_wait_dscnt 0x0
	s_barrier_signal -1
	s_barrier_wait -1
	v_cmp_gt_i64_e64 s15, s[30:31], v[2:3]
	s_bcnt1_i32_b32 s43, s15
	s_delay_alu instid0(SALU_CYCLE_1) | instskip(NEXT) | instid1(VALU_DEP_1)
	v_dual_mov_b32 v6, s43 :: v_dual_bitop2_b32 v12, s15, v8 bitop3:0x40
	v_bcnt_u32_b32 v12, v12, 0
	ds_store_b64 v1, v[6:7]
	s_wait_dscnt 0x0
	s_barrier_signal -1
	s_barrier_wait -1
	s_and_saveexec_b32 s43, s0
	s_cbranch_execnz .LBB111_62
; %bb.46:                               ;   in Loop: Header=BB111_45 Depth=1
	s_or_b32 exec_lo, exec_lo, s43
	s_and_saveexec_b32 s43, s1
	s_cbranch_execnz .LBB111_63
.LBB111_47:                             ;   in Loop: Header=BB111_45 Depth=1
	s_or_b32 exec_lo, exec_lo, s43
	s_and_saveexec_b32 s43, s2
	s_cbranch_execnz .LBB111_64
.LBB111_48:                             ;   in Loop: Header=BB111_45 Depth=1
	s_or_b32 exec_lo, exec_lo, s43
	s_and_saveexec_b32 s43, s3
	s_cbranch_execnz .LBB111_65
.LBB111_49:                             ;   in Loop: Header=BB111_45 Depth=1
	s_or_b32 exec_lo, exec_lo, s43
	s_and_saveexec_b32 s43, s4
	s_cbranch_execnz .LBB111_66
.LBB111_50:                             ;   in Loop: Header=BB111_45 Depth=1
	s_or_b32 exec_lo, exec_lo, s43
	s_and_saveexec_b32 s43, s5
	s_cbranch_execnz .LBB111_67
.LBB111_51:                             ;   in Loop: Header=BB111_45 Depth=1
	s_or_b32 exec_lo, exec_lo, s43
	s_and_saveexec_b32 s43, s6
	s_cbranch_execnz .LBB111_68
.LBB111_52:                             ;   in Loop: Header=BB111_45 Depth=1
	s_or_b32 exec_lo, exec_lo, s43
	s_and_saveexec_b32 s43, s7
	s_cbranch_execnz .LBB111_69
.LBB111_53:                             ;   in Loop: Header=BB111_45 Depth=1
	s_or_b32 exec_lo, exec_lo, s43
	s_and_saveexec_b32 s43, s8
	s_cbranch_execnz .LBB111_70
.LBB111_54:                             ;   in Loop: Header=BB111_45 Depth=1
	s_or_b32 exec_lo, exec_lo, s43
	s_and_saveexec_b32 s43, s9
	s_cbranch_execnz .LBB111_71
.LBB111_55:                             ;   in Loop: Header=BB111_45 Depth=1
	s_or_b32 exec_lo, exec_lo, s43
	s_and_saveexec_b32 s43, s10
	s_cbranch_execnz .LBB111_72
.LBB111_56:                             ;   in Loop: Header=BB111_45 Depth=1
	s_or_b32 exec_lo, exec_lo, s43
	s_and_saveexec_b32 s43, s11
	s_cbranch_execnz .LBB111_73
.LBB111_57:                             ;   in Loop: Header=BB111_45 Depth=1
	s_or_b32 exec_lo, exec_lo, s43
	s_and_saveexec_b32 s43, s12
	s_cbranch_execnz .LBB111_74
.LBB111_58:                             ;   in Loop: Header=BB111_45 Depth=1
	s_or_b32 exec_lo, exec_lo, s43
	s_and_saveexec_b32 s43, s13
	s_cbranch_execnz .LBB111_75
.LBB111_59:                             ;   in Loop: Header=BB111_45 Depth=1
	s_or_b32 exec_lo, exec_lo, s43
	s_and_saveexec_b32 s43, s14
	s_cbranch_execnz .LBB111_76
.LBB111_60:                             ;   in Loop: Header=BB111_45 Depth=1
	s_or_b32 exec_lo, exec_lo, s43
	v_ashrrev_i32_e32 v13, 31, v12
	s_and_saveexec_b32 s43, s15
	s_cbranch_execnz .LBB111_77
.LBB111_61:                             ;   in Loop: Header=BB111_45 Depth=1
	s_or_b32 exec_lo, exec_lo, s43
	s_and_saveexec_b32 s15, vcc_lo
	s_cbranch_execz .LBB111_44
	s_branch .LBB111_78
.LBB111_62:                             ;   in Loop: Header=BB111_45 Depth=1
	v_mov_b32_e32 v6, s17
	ds_load_b32 v6, v6
	s_wait_dscnt 0x0
	v_add_nc_u32_e32 v12, v6, v12
	s_or_b32 exec_lo, exec_lo, s43
	s_and_saveexec_b32 s43, s1
	s_cbranch_execz .LBB111_47
.LBB111_63:                             ;   in Loop: Header=BB111_45 Depth=1
	v_mov_b32_e32 v6, s20
	ds_load_b32 v6, v6
	s_wait_dscnt 0x0
	v_add_nc_u32_e32 v12, v12, v6
	s_or_b32 exec_lo, exec_lo, s43
	s_and_saveexec_b32 s43, s2
	s_cbranch_execz .LBB111_48
.LBB111_64:                             ;   in Loop: Header=BB111_45 Depth=1
	v_mov_b32_e32 v6, s21
	ds_load_b32 v6, v6
	s_wait_dscnt 0x0
	v_add_nc_u32_e32 v12, v12, v6
	s_or_b32 exec_lo, exec_lo, s43
	s_and_saveexec_b32 s43, s3
	s_cbranch_execz .LBB111_49
.LBB111_65:                             ;   in Loop: Header=BB111_45 Depth=1
	v_mov_b32_e32 v6, s23
	ds_load_b32 v6, v6
	s_wait_dscnt 0x0
	v_add_nc_u32_e32 v12, v12, v6
	s_or_b32 exec_lo, exec_lo, s43
	s_and_saveexec_b32 s43, s4
	s_cbranch_execz .LBB111_50
.LBB111_66:                             ;   in Loop: Header=BB111_45 Depth=1
	v_mov_b32_e32 v6, s24
	ds_load_b32 v6, v6
	s_wait_dscnt 0x0
	v_add_nc_u32_e32 v12, v12, v6
	s_or_b32 exec_lo, exec_lo, s43
	s_and_saveexec_b32 s43, s5
	s_cbranch_execz .LBB111_51
.LBB111_67:                             ;   in Loop: Header=BB111_45 Depth=1
	v_mov_b32_e32 v6, s25
	ds_load_b32 v6, v6
	s_wait_dscnt 0x0
	v_add_nc_u32_e32 v12, v12, v6
	s_or_b32 exec_lo, exec_lo, s43
	s_and_saveexec_b32 s43, s6
	s_cbranch_execz .LBB111_52
.LBB111_68:                             ;   in Loop: Header=BB111_45 Depth=1
	v_mov_b32_e32 v6, s26
	ds_load_b32 v6, v6
	s_wait_dscnt 0x0
	v_add_nc_u32_e32 v12, v12, v6
	s_or_b32 exec_lo, exec_lo, s43
	s_and_saveexec_b32 s43, s7
	s_cbranch_execz .LBB111_53
.LBB111_69:                             ;   in Loop: Header=BB111_45 Depth=1
	v_mov_b32_e32 v6, s27
	ds_load_b32 v6, v6
	s_wait_dscnt 0x0
	v_add_nc_u32_e32 v12, v12, v6
	s_or_b32 exec_lo, exec_lo, s43
	s_and_saveexec_b32 s43, s8
	s_cbranch_execz .LBB111_54
.LBB111_70:                             ;   in Loop: Header=BB111_45 Depth=1
	v_mov_b32_e32 v6, s33
	ds_load_b32 v6, v6
	s_wait_dscnt 0x0
	v_add_nc_u32_e32 v12, v12, v6
	s_or_b32 exec_lo, exec_lo, s43
	s_and_saveexec_b32 s43, s9
	s_cbranch_execz .LBB111_55
.LBB111_71:                             ;   in Loop: Header=BB111_45 Depth=1
	v_mov_b32_e32 v6, s36
	ds_load_b32 v6, v6
	s_wait_dscnt 0x0
	v_add_nc_u32_e32 v12, v12, v6
	s_or_b32 exec_lo, exec_lo, s43
	s_and_saveexec_b32 s43, s10
	s_cbranch_execz .LBB111_56
.LBB111_72:                             ;   in Loop: Header=BB111_45 Depth=1
	v_mov_b32_e32 v6, s37
	ds_load_b32 v6, v6
	s_wait_dscnt 0x0
	v_add_nc_u32_e32 v12, v12, v6
	s_or_b32 exec_lo, exec_lo, s43
	s_and_saveexec_b32 s43, s11
	s_cbranch_execz .LBB111_57
.LBB111_73:                             ;   in Loop: Header=BB111_45 Depth=1
	v_mov_b32_e32 v6, s39
	ds_load_b32 v6, v6
	s_wait_dscnt 0x0
	v_add_nc_u32_e32 v12, v12, v6
	s_or_b32 exec_lo, exec_lo, s43
	s_and_saveexec_b32 s43, s12
	s_cbranch_execz .LBB111_58
.LBB111_74:                             ;   in Loop: Header=BB111_45 Depth=1
	v_mov_b32_e32 v6, s40
	ds_load_b32 v6, v6
	s_wait_dscnt 0x0
	v_add_nc_u32_e32 v12, v12, v6
	s_or_b32 exec_lo, exec_lo, s43
	s_and_saveexec_b32 s43, s13
	s_cbranch_execz .LBB111_59
.LBB111_75:                             ;   in Loop: Header=BB111_45 Depth=1
	v_mov_b32_e32 v6, s41
	ds_load_b32 v6, v6
	s_wait_dscnt 0x0
	v_add_nc_u32_e32 v12, v12, v6
	s_or_b32 exec_lo, exec_lo, s43
	s_and_saveexec_b32 s43, s14
	s_cbranch_execz .LBB111_60
.LBB111_76:                             ;   in Loop: Header=BB111_45 Depth=1
	v_mov_b32_e32 v6, s42
	ds_load_b32 v6, v6
	s_wait_dscnt 0x0
	v_add_nc_u32_e32 v12, v12, v6
	s_or_b32 exec_lo, exec_lo, s43
	s_delay_alu instid0(VALU_DEP_1)
	v_ashrrev_i32_e32 v13, 31, v12
	s_and_saveexec_b32 s43, s15
	s_cbranch_execz .LBB111_61
.LBB111_77:                             ;   in Loop: Header=BB111_45 Depth=1
	v_add3_u32 v6, v10, -1, v12
	v_add_nc_u32_e32 v14, v10, v12
	s_delay_alu instid0(VALU_DEP_2) | instskip(NEXT) | instid1(VALU_DEP_2)
	v_lshl_add_u32 v6, v6, 3, 0
	v_lshl_add_u32 v14, v14, 3, 0
	ds_store_b64 v6, v[2:3]
	ds_store_b64 v14, v[4:5] offset:32760
	s_or_b32 exec_lo, exec_lo, s43
	s_and_saveexec_b32 s15, vcc_lo
	s_cbranch_execz .LBB111_44
.LBB111_78:                             ;   in Loop: Header=BB111_45 Depth=1
	v_mov_b32_e32 v2, s38
	ds_store_b64 v2, v[12:13]
	s_branch .LBB111_44
.LBB111_79:
	s_or_b32 exec_lo, exec_lo, s16
	s_wait_kmcnt 0x0
	s_lshl_b64 s[0:1], s[34:35], 3
	v_mov_b32_e32 v1, 0
	s_add_nc_u64 s[4:5], s[18:19], s[0:1]
	s_mov_b32 s6, exec_lo
	s_load_b128 s[0:3], s[4:5], 0x0
	s_wait_kmcnt 0x0
	s_sub_nc_u64 s[4:5], s[2:3], s[0:1]
	s_delay_alu instid0(SALU_CYCLE_1)
	v_cmpx_gt_i64_e64 s[4:5], v[0:1]
	s_cbranch_execz .LBB111_89
; %bb.80:
	s_sub_nc_u64 s[8:9], s[0:1], s[2:3]
	s_and_b64 s[6:7], s[4:5], 7
	v_cmp_lt_u64_e64 s10, s[8:9], -7
	s_and_b64 s[2:3], s[4:5], -8
	s_mov_b32 s23, 0
	s_cmp_lg_u64 s[6:7], 0
	s_sub_nc_u64 s[0:1], s[0:1], s[22:23]
	s_cselect_b32 s11, -1, 0
	s_mov_b32 s12, 0
	s_branch .LBB111_82
.LBB111_81:                             ;   in Loop: Header=BB111_82 Depth=1
	v_add_nc_u64_e32 v[0:1], 0x400, v[0:1]
	s_wait_dscnt 0x0
	s_delay_alu instid0(VALU_DEP_2)
	v_lshl_add_u64 v[2:3], v[6:7], 3, s[28:29]
	global_store_b64 v[2:3], v[4:5], off
	v_cmp_le_i64_e32 vcc_lo, s[4:5], v[0:1]
	s_or_b32 s12, vcc_lo, s12
	s_wait_xcnt 0x0
	s_and_not1_b32 exec_lo, exec_lo, s12
	s_cbranch_execz .LBB111_89
.LBB111_82:                             ; =>This Loop Header: Depth=1
                                        ;     Child Loop BB111_84 Depth 2
                                        ;     Child Loop BB111_88 Depth 2
	v_lshl_add_u32 v2, v0, 3, 0
	v_mov_b64_e32 v[6:7], s[0:1]
	s_and_not1_b32 vcc_lo, exec_lo, s10
	s_mov_b64 s[8:9], 0
	ds_load_2addr_stride64_b64 v[2:5], v2 offset1:64
	s_cbranch_vccnz .LBB111_86
; %bb.83:                               ;   in Loop: Header=BB111_82 Depth=1
	v_mov_b64_e32 v[6:7], s[0:1]
	s_mov_b32 s13, 0
.LBB111_84:                             ;   Parent Loop BB111_82 Depth=1
                                        ; =>  This Inner Loop Header: Depth=2
	s_delay_alu instid0(SALU_CYCLE_1)
	v_dual_mov_b32 v20, s13 :: v_dual_mov_b32 v17, s23
	v_mov_b32_e32 v19, s23
	s_add_nc_u64 s[8:9], s[8:9], 8
	s_add_co_i32 s13, s13, 64
	ds_load_2addr_b64 v[8:11], v20 offset1:1
	ds_load_2addr_b64 v[12:15], v20 offset0:2 offset1:3
	s_cmp_eq_u64 s[2:3], s[8:9]
	s_wait_dscnt 0x1
	v_cmp_gt_i64_e32 vcc_lo, v[2:3], v[8:9]
	v_cndmask_b32_e64 v16, 0, 1, vcc_lo
	v_cmp_gt_i64_e32 vcc_lo, v[2:3], v[10:11]
	s_delay_alu instid0(VALU_DEP_2) | instskip(SKIP_4) | instid1(VALU_DEP_2)
	v_add_nc_u64_e32 v[10:11], v[6:7], v[16:17]
	ds_load_2addr_b64 v[6:9], v20 offset0:4 offset1:5
	v_cndmask_b32_e64 v18, 0, 1, vcc_lo
	s_wait_dscnt 0x1
	v_cmp_gt_i64_e32 vcc_lo, v[2:3], v[12:13]
	v_add_nc_u64_e32 v[10:11], v[10:11], v[18:19]
	v_cndmask_b32_e64 v16, 0, 1, vcc_lo
	v_cmp_gt_i64_e32 vcc_lo, v[2:3], v[14:15]
	s_delay_alu instid0(VALU_DEP_2)
	v_add_nc_u64_e32 v[14:15], v[10:11], v[16:17]
	ds_load_2addr_b64 v[10:13], v20 offset0:6 offset1:7
	v_cndmask_b32_e64 v18, 0, 1, vcc_lo
	s_wait_dscnt 0x1
	v_cmp_gt_i64_e32 vcc_lo, v[2:3], v[6:7]
	v_mov_b32_e32 v7, s23
	s_delay_alu instid0(VALU_DEP_3) | instskip(SKIP_3) | instid1(VALU_DEP_3)
	v_add_nc_u64_e32 v[14:15], v[14:15], v[18:19]
	v_cndmask_b32_e64 v16, 0, 1, vcc_lo
	v_cmp_gt_i64_e32 vcc_lo, v[2:3], v[8:9]
	v_mov_b32_e32 v9, s23
	v_add_nc_u64_e32 v[14:15], v[14:15], v[16:17]
	v_cndmask_b32_e64 v6, 0, 1, vcc_lo
	s_wait_dscnt 0x0
	v_cmp_gt_i64_e32 vcc_lo, v[2:3], v[10:11]
	v_mov_b32_e32 v11, s23
	s_delay_alu instid0(VALU_DEP_3) | instskip(SKIP_2) | instid1(VALU_DEP_2)
	v_add_nc_u64_e32 v[6:7], v[14:15], v[6:7]
	v_cndmask_b32_e64 v8, 0, 1, vcc_lo
	v_cmp_gt_i64_e32 vcc_lo, v[2:3], v[12:13]
	v_add_nc_u64_e32 v[6:7], v[6:7], v[8:9]
	v_cndmask_b32_e64 v10, 0, 1, vcc_lo
	s_delay_alu instid0(VALU_DEP_1)
	v_add_nc_u64_e32 v[6:7], v[6:7], v[10:11]
	s_cbranch_scc0 .LBB111_84
; %bb.85:                               ;   in Loop: Header=BB111_82 Depth=1
	s_mov_b64 s[8:9], s[2:3]
.LBB111_86:                             ;   in Loop: Header=BB111_82 Depth=1
	s_and_not1_b32 vcc_lo, exec_lo, s11
	s_cbranch_vccnz .LBB111_81
; %bb.87:                               ;   in Loop: Header=BB111_82 Depth=1
	s_lshl_b32 s8, s8, 3
	s_delay_alu instid0(SALU_CYCLE_1)
	s_add_co_i32 s13, s8, 0
	s_mov_b64 s[8:9], s[6:7]
.LBB111_88:                             ;   Parent Loop BB111_82 Depth=1
                                        ; =>  This Inner Loop Header: Depth=2
	v_dual_mov_b32 v8, s13 :: v_dual_mov_b32 v11, s23
	s_add_nc_u64 s[8:9], s[8:9], -1
	s_add_co_i32 s13, s13, 8
	s_cmp_lg_u64 s[8:9], 0
	ds_load_b64 v[8:9], v8
	s_wait_dscnt 0x0
	v_cmp_gt_i64_e32 vcc_lo, v[2:3], v[8:9]
	v_cndmask_b32_e64 v10, 0, 1, vcc_lo
	s_delay_alu instid0(VALU_DEP_1)
	v_add_nc_u64_e32 v[6:7], v[6:7], v[10:11]
	s_cbranch_scc1 .LBB111_88
	s_branch .LBB111_81
.LBB111_89:
	s_endpgm
	.section	.rodata,"a",@progbits
	.p2align	6, 0x0
	.amdhsa_kernel _ZN9rocsparseL41csrgemm_numeric_fill_block_per_row_kernelILj1024ELj64ELj4096ELj137ELj64ElldEEvT5_PKS1_S3_NS_24const_host_device_scalarIT6_EEPKT4_S3_PKS5_S9_S3_SB_S6_S9_S3_SB_S9_S3_PS5_21rocsparse_index_base_SD_SD_SD_bbb
		.amdhsa_group_segment_fixed_size 0
		.amdhsa_private_segment_fixed_size 0
		.amdhsa_kernarg_size 156
		.amdhsa_user_sgpr_count 2
		.amdhsa_user_sgpr_dispatch_ptr 0
		.amdhsa_user_sgpr_queue_ptr 0
		.amdhsa_user_sgpr_kernarg_segment_ptr 1
		.amdhsa_user_sgpr_dispatch_id 0
		.amdhsa_user_sgpr_kernarg_preload_length 0
		.amdhsa_user_sgpr_kernarg_preload_offset 0
		.amdhsa_user_sgpr_private_segment_size 0
		.amdhsa_wavefront_size32 1
		.amdhsa_uses_dynamic_stack 0
		.amdhsa_enable_private_segment 0
		.amdhsa_system_sgpr_workgroup_id_x 1
		.amdhsa_system_sgpr_workgroup_id_y 0
		.amdhsa_system_sgpr_workgroup_id_z 0
		.amdhsa_system_sgpr_workgroup_info 0
		.amdhsa_system_vgpr_workitem_id 0
		.amdhsa_next_free_vgpr 30
		.amdhsa_next_free_sgpr 45
		.amdhsa_named_barrier_count 0
		.amdhsa_reserve_vcc 1
		.amdhsa_float_round_mode_32 0
		.amdhsa_float_round_mode_16_64 0
		.amdhsa_float_denorm_mode_32 3
		.amdhsa_float_denorm_mode_16_64 3
		.amdhsa_fp16_overflow 0
		.amdhsa_memory_ordered 1
		.amdhsa_forward_progress 1
		.amdhsa_inst_pref_size 28
		.amdhsa_round_robin_scheduling 0
		.amdhsa_exception_fp_ieee_invalid_op 0
		.amdhsa_exception_fp_denorm_src 0
		.amdhsa_exception_fp_ieee_div_zero 0
		.amdhsa_exception_fp_ieee_overflow 0
		.amdhsa_exception_fp_ieee_underflow 0
		.amdhsa_exception_fp_ieee_inexact 0
		.amdhsa_exception_int_div_zero 0
	.end_amdhsa_kernel
	.section	.text._ZN9rocsparseL41csrgemm_numeric_fill_block_per_row_kernelILj1024ELj64ELj4096ELj137ELj64ElldEEvT5_PKS1_S3_NS_24const_host_device_scalarIT6_EEPKT4_S3_PKS5_S9_S3_SB_S6_S9_S3_SB_S9_S3_PS5_21rocsparse_index_base_SD_SD_SD_bbb,"axG",@progbits,_ZN9rocsparseL41csrgemm_numeric_fill_block_per_row_kernelILj1024ELj64ELj4096ELj137ELj64ElldEEvT5_PKS1_S3_NS_24const_host_device_scalarIT6_EEPKT4_S3_PKS5_S9_S3_SB_S6_S9_S3_SB_S9_S3_PS5_21rocsparse_index_base_SD_SD_SD_bbb,comdat
.Lfunc_end111:
	.size	_ZN9rocsparseL41csrgemm_numeric_fill_block_per_row_kernelILj1024ELj64ELj4096ELj137ELj64ElldEEvT5_PKS1_S3_NS_24const_host_device_scalarIT6_EEPKT4_S3_PKS5_S9_S3_SB_S6_S9_S3_SB_S9_S3_PS5_21rocsparse_index_base_SD_SD_SD_bbb, .Lfunc_end111-_ZN9rocsparseL41csrgemm_numeric_fill_block_per_row_kernelILj1024ELj64ELj4096ELj137ELj64ElldEEvT5_PKS1_S3_NS_24const_host_device_scalarIT6_EEPKT4_S3_PKS5_S9_S3_SB_S6_S9_S3_SB_S9_S3_PS5_21rocsparse_index_base_SD_SD_SD_bbb
                                        ; -- End function
	.set _ZN9rocsparseL41csrgemm_numeric_fill_block_per_row_kernelILj1024ELj64ELj4096ELj137ELj64ElldEEvT5_PKS1_S3_NS_24const_host_device_scalarIT6_EEPKT4_S3_PKS5_S9_S3_SB_S6_S9_S3_SB_S9_S3_PS5_21rocsparse_index_base_SD_SD_SD_bbb.num_vgpr, 30
	.set _ZN9rocsparseL41csrgemm_numeric_fill_block_per_row_kernelILj1024ELj64ELj4096ELj137ELj64ElldEEvT5_PKS1_S3_NS_24const_host_device_scalarIT6_EEPKT4_S3_PKS5_S9_S3_SB_S6_S9_S3_SB_S9_S3_PS5_21rocsparse_index_base_SD_SD_SD_bbb.num_agpr, 0
	.set _ZN9rocsparseL41csrgemm_numeric_fill_block_per_row_kernelILj1024ELj64ELj4096ELj137ELj64ElldEEvT5_PKS1_S3_NS_24const_host_device_scalarIT6_EEPKT4_S3_PKS5_S9_S3_SB_S6_S9_S3_SB_S9_S3_PS5_21rocsparse_index_base_SD_SD_SD_bbb.numbered_sgpr, 45
	.set _ZN9rocsparseL41csrgemm_numeric_fill_block_per_row_kernelILj1024ELj64ELj4096ELj137ELj64ElldEEvT5_PKS1_S3_NS_24const_host_device_scalarIT6_EEPKT4_S3_PKS5_S9_S3_SB_S6_S9_S3_SB_S9_S3_PS5_21rocsparse_index_base_SD_SD_SD_bbb.num_named_barrier, 0
	.set _ZN9rocsparseL41csrgemm_numeric_fill_block_per_row_kernelILj1024ELj64ELj4096ELj137ELj64ElldEEvT5_PKS1_S3_NS_24const_host_device_scalarIT6_EEPKT4_S3_PKS5_S9_S3_SB_S6_S9_S3_SB_S9_S3_PS5_21rocsparse_index_base_SD_SD_SD_bbb.private_seg_size, 0
	.set _ZN9rocsparseL41csrgemm_numeric_fill_block_per_row_kernelILj1024ELj64ELj4096ELj137ELj64ElldEEvT5_PKS1_S3_NS_24const_host_device_scalarIT6_EEPKT4_S3_PKS5_S9_S3_SB_S6_S9_S3_SB_S9_S3_PS5_21rocsparse_index_base_SD_SD_SD_bbb.uses_vcc, 1
	.set _ZN9rocsparseL41csrgemm_numeric_fill_block_per_row_kernelILj1024ELj64ELj4096ELj137ELj64ElldEEvT5_PKS1_S3_NS_24const_host_device_scalarIT6_EEPKT4_S3_PKS5_S9_S3_SB_S6_S9_S3_SB_S9_S3_PS5_21rocsparse_index_base_SD_SD_SD_bbb.uses_flat_scratch, 0
	.set _ZN9rocsparseL41csrgemm_numeric_fill_block_per_row_kernelILj1024ELj64ELj4096ELj137ELj64ElldEEvT5_PKS1_S3_NS_24const_host_device_scalarIT6_EEPKT4_S3_PKS5_S9_S3_SB_S6_S9_S3_SB_S9_S3_PS5_21rocsparse_index_base_SD_SD_SD_bbb.has_dyn_sized_stack, 0
	.set _ZN9rocsparseL41csrgemm_numeric_fill_block_per_row_kernelILj1024ELj64ELj4096ELj137ELj64ElldEEvT5_PKS1_S3_NS_24const_host_device_scalarIT6_EEPKT4_S3_PKS5_S9_S3_SB_S6_S9_S3_SB_S9_S3_PS5_21rocsparse_index_base_SD_SD_SD_bbb.has_recursion, 0
	.set _ZN9rocsparseL41csrgemm_numeric_fill_block_per_row_kernelILj1024ELj64ELj4096ELj137ELj64ElldEEvT5_PKS1_S3_NS_24const_host_device_scalarIT6_EEPKT4_S3_PKS5_S9_S3_SB_S6_S9_S3_SB_S9_S3_PS5_21rocsparse_index_base_SD_SD_SD_bbb.has_indirect_call, 0
	.section	.AMDGPU.csdata,"",@progbits
; Kernel info:
; codeLenInByte = 3468
; TotalNumSgprs: 47
; NumVgprs: 30
; ScratchSize: 0
; MemoryBound: 0
; FloatMode: 240
; IeeeMode: 1
; LDSByteSize: 0 bytes/workgroup (compile time only)
; SGPRBlocks: 0
; VGPRBlocks: 1
; NumSGPRsForWavesPerEU: 47
; NumVGPRsForWavesPerEU: 30
; NamedBarCnt: 0
; Occupancy: 16
; WaveLimiterHint : 1
; COMPUTE_PGM_RSRC2:SCRATCH_EN: 0
; COMPUTE_PGM_RSRC2:USER_SGPR: 2
; COMPUTE_PGM_RSRC2:TRAP_HANDLER: 0
; COMPUTE_PGM_RSRC2:TGID_X_EN: 1
; COMPUTE_PGM_RSRC2:TGID_Y_EN: 0
; COMPUTE_PGM_RSRC2:TGID_Z_EN: 0
; COMPUTE_PGM_RSRC2:TIDIG_COMP_CNT: 0
	.section	.text._ZN9rocsparseL41csrgemm_numeric_fill_block_per_row_kernelILj1024ELj64ELj8192ELj137ELj32ElldEEvT5_PKS1_S3_NS_24const_host_device_scalarIT6_EEPKT4_S3_PKS5_S9_S3_SB_S6_S9_S3_SB_S9_S3_PS5_21rocsparse_index_base_SD_SD_SD_bbb,"axG",@progbits,_ZN9rocsparseL41csrgemm_numeric_fill_block_per_row_kernelILj1024ELj64ELj8192ELj137ELj32ElldEEvT5_PKS1_S3_NS_24const_host_device_scalarIT6_EEPKT4_S3_PKS5_S9_S3_SB_S6_S9_S3_SB_S9_S3_PS5_21rocsparse_index_base_SD_SD_SD_bbb,comdat
	.globl	_ZN9rocsparseL41csrgemm_numeric_fill_block_per_row_kernelILj1024ELj64ELj8192ELj137ELj32ElldEEvT5_PKS1_S3_NS_24const_host_device_scalarIT6_EEPKT4_S3_PKS5_S9_S3_SB_S6_S9_S3_SB_S9_S3_PS5_21rocsparse_index_base_SD_SD_SD_bbb ; -- Begin function _ZN9rocsparseL41csrgemm_numeric_fill_block_per_row_kernelILj1024ELj64ELj8192ELj137ELj32ElldEEvT5_PKS1_S3_NS_24const_host_device_scalarIT6_EEPKT4_S3_PKS5_S9_S3_SB_S6_S9_S3_SB_S9_S3_PS5_21rocsparse_index_base_SD_SD_SD_bbb
	.p2align	8
	.type	_ZN9rocsparseL41csrgemm_numeric_fill_block_per_row_kernelILj1024ELj64ELj8192ELj137ELj32ElldEEvT5_PKS1_S3_NS_24const_host_device_scalarIT6_EEPKT4_S3_PKS5_S9_S3_SB_S6_S9_S3_SB_S9_S3_PS5_21rocsparse_index_base_SD_SD_SD_bbb,@function
_ZN9rocsparseL41csrgemm_numeric_fill_block_per_row_kernelILj1024ELj64ELj8192ELj137ELj32ElldEEvT5_PKS1_S3_NS_24const_host_device_scalarIT6_EEPKT4_S3_PKS5_S9_S3_SB_S6_S9_S3_SB_S9_S3_PS5_21rocsparse_index_base_SD_SD_SD_bbb: ; @_ZN9rocsparseL41csrgemm_numeric_fill_block_per_row_kernelILj1024ELj64ELj8192ELj137ELj32ElldEEvT5_PKS1_S3_NS_24const_host_device_scalarIT6_EEPKT4_S3_PKS5_S9_S3_SB_S6_S9_S3_SB_S9_S3_PS5_21rocsparse_index_base_SD_SD_SD_bbb
; %bb.0:
	s_clause 0x4
	s_load_b32 s9, s[0:1], 0x98
	s_load_b64 s[4:5], s[0:1], 0x18
	s_load_b128 s[36:39], s[0:1], 0x88
	s_load_b64 s[2:3], s[0:1], 0x8
	s_load_b64 s[6:7], s[0:1], 0x50
	s_wait_kmcnt 0x0
	s_bitcmp1_b32 s9, 0
	s_cselect_b32 s8, -1, 0
	s_bitcmp1_b32 s9, 16
	s_cselect_b32 s10, -1, 0
	s_xor_b32 s11, s8, -1
	s_delay_alu instid0(SALU_CYCLE_1)
	s_or_b32 s11, s10, s11
	s_and_b32 s12, s8, exec_lo
	s_cselect_b32 s13, s5, 0
	s_cselect_b32 s12, s4, 0
	s_and_b32 vcc_lo, exec_lo, s11
	v_mov_b64_e32 v[4:5], s[12:13]
	s_cbranch_vccnz .LBB112_2
; %bb.1:
	v_mov_b32_e32 v1, 0
	flat_load_b64 v[4:5], v1, s[4:5]
.LBB112_2:
	s_wait_xcnt 0x0
	s_load_b64 s[4:5], s[0:1], 0x10
	s_bitcmp1_b32 s9, 8
	s_cselect_b32 s18, -1, 0
	s_delay_alu instid0(SALU_CYCLE_1) | instskip(NEXT) | instid1(SALU_CYCLE_1)
	s_xor_b32 s9, s18, -1
	s_or_b32 s9, s10, s9
	s_and_b32 s10, s18, exec_lo
	s_cselect_b32 s11, s7, 0
	s_cselect_b32 s10, s6, 0
	s_and_b32 vcc_lo, exec_lo, s9
	v_mov_b64_e32 v[2:3], s[10:11]
	s_cbranch_vccnz .LBB112_4
; %bb.3:
	v_mov_b32_e32 v1, 0
	flat_load_b64 v[2:3], v1, s[6:7]
.LBB112_4:
	s_load_b64 s[34:35], s[0:1], 0x0
	v_lshl_add_u32 v26, v0, 3, 0
	v_mov_b64_e32 v[6:7], 0
	s_bfe_u32 s6, ttmp6, 0x4000c
	s_and_b32 s7, ttmp6, 15
	s_add_co_i32 s6, s6, 1
	v_add_nc_u32_e32 v1, 0x10000, v26
	s_mul_i32 s6, ttmp9, s6
	s_getreg_b32 s9, hwreg(HW_REG_IB_STS2, 6, 4)
	s_add_co_i32 s7, s7, s6
	ds_store_2addr_stride64_b64 v1, v[6:7], v[6:7] offset1:16
	ds_store_2addr_stride64_b64 v1, v[6:7], v[6:7] offset0:32 offset1:48
	ds_store_2addr_stride64_b64 v1, v[6:7], v[6:7] offset0:64 offset1:80
	s_wait_kmcnt 0x0
	v_mov_b64_e32 v[8:9], s[34:35]
	v_mov_b64_e32 v[10:11], s[34:35]
	v_mov_b64_e32 v[12:13], s[34:35]
	v_mov_b64_e32 v[14:15], s[34:35]
	v_mov_b64_e32 v[16:17], s[34:35]
	v_mov_b64_e32 v[18:19], s[34:35]
	v_mov_b64_e32 v[20:21], s[34:35]
	v_mov_b64_e32 v[22:23], s[34:35]
	ds_store_2addr_stride64_b64 v1, v[6:7], v[6:7] offset0:96 offset1:112
	ds_store_2addr_stride64_b64 v26, v[8:9], v[10:11] offset1:16
	ds_store_2addr_stride64_b64 v26, v[12:13], v[14:15] offset0:32 offset1:48
	ds_store_2addr_stride64_b64 v26, v[16:17], v[18:19] offset0:64 offset1:80
	;; [unrolled: 1-line block ×3, first 2 shown]
	s_wait_loadcnt_dscnt 0x0
	s_barrier_signal -1
	s_barrier_wait -1
	s_load_b64 s[2:3], s[2:3], 0x0
	s_wait_kmcnt 0x0
	s_lshl_b64 s[2:3], s[2:3], 3
	s_cmp_eq_u32 s9, 0
	s_add_nc_u64 s[2:3], s[4:5], s[2:3]
	s_cselect_b32 s4, ttmp9, s7
	s_and_not1_b32 vcc_lo, exec_lo, s8
	s_load_b64 s[40:41], s[2:3], s4 offset:0x0 scale_offset
	s_wait_xcnt 0x0
	s_mov_b32 s3, 0
	s_cbranch_vccnz .LBB112_24
; %bb.5:
	s_load_b64 s[4:5], s[0:1], 0x20
	s_wait_kmcnt 0x0
	s_lshl_b64 s[6:7], s[40:41], 3
	v_dual_mov_b32 v9, 0 :: v_dual_lshrrev_b32 v8, 6, v0
	s_mov_b32 s2, s36
	s_mov_b32 s19, exec_lo
	s_delay_alu instid0(VALU_DEP_1) | instskip(SKIP_3) | instid1(VALU_DEP_1)
	v_sub_nc_u64_e64 v[6:7], v[8:9], s[2:3]
	s_add_nc_u64 s[8:9], s[4:5], s[6:7]
	s_load_b128 s[4:7], s[8:9], 0x0
	s_wait_kmcnt 0x0
	v_add_nc_u64_e32 v[6:7], s[4:5], v[6:7]
	s_sub_nc_u64 s[12:13], s[6:7], s[2:3]
	s_delay_alu instid0(VALU_DEP_1) | instid1(SALU_CYCLE_1)
	v_cmpx_gt_i64_e64 s[12:13], v[6:7]
	s_cbranch_execz .LBB112_23
; %bb.6:
	s_clause 0x1
	s_load_b64 s[14:15], s[0:1], 0x48
	s_load_b256 s[4:11], s[0:1], 0x28
	v_and_b32_e32 v8, 63, v0
	s_mov_b32 s17, 0
	s_mov_b32 s16, s37
	;; [unrolled: 1-line block ×3, first 2 shown]
	s_delay_alu instid0(VALU_DEP_1)
	v_sub_nc_u64_e64 v[8:9], v[8:9], s[16:17]
	s_branch .LBB112_8
.LBB112_7:                              ;   in Loop: Header=BB112_8 Depth=1
	s_or_b32 exec_lo, exec_lo, s21
	v_add_nc_u64_e32 v[6:7], 16, v[6:7]
	s_delay_alu instid0(VALU_DEP_1) | instskip(SKIP_1) | instid1(SALU_CYCLE_1)
	v_cmp_le_i64_e32 vcc_lo, s[12:13], v[6:7]
	s_or_b32 s20, vcc_lo, s20
	s_and_not1_b32 exec_lo, exec_lo, s20
	s_cbranch_execz .LBB112_23
.LBB112_8:                              ; =>This Loop Header: Depth=1
                                        ;     Child Loop BB112_12 Depth 2
                                        ;       Child Loop BB112_15 Depth 3
	s_wait_kmcnt 0x0
	v_lshl_add_u64 v[10:11], v[6:7], 3, s[4:5]
	s_mov_b32 s21, exec_lo
	global_load_b64 v[10:11], v[10:11], off
	s_wait_loadcnt 0x0
	s_wait_xcnt 0x0
	v_sub_nc_u64_e64 v[10:11], v[10:11], s[2:3]
	s_delay_alu instid0(VALU_DEP_1)
	v_lshl_add_u64 v[10:11], v[10:11], 3, s[8:9]
	global_load_b128 v[12:15], v[10:11], off
	s_wait_loadcnt 0x0
	s_wait_xcnt 0x0
	v_sub_nc_u64_e64 v[10:11], v[14:15], s[16:17]
	v_add_nc_u64_e32 v[12:13], v[12:13], v[8:9]
	s_delay_alu instid0(VALU_DEP_1)
	v_cmpx_lt_i64_e64 v[12:13], v[10:11]
	s_cbranch_execz .LBB112_7
; %bb.9:                                ;   in Loop: Header=BB112_8 Depth=1
	v_lshl_add_u64 v[14:15], v[6:7], 3, s[6:7]
	s_mov_b32 s22, 0
	global_load_b64 v[14:15], v[14:15], off
	s_wait_loadcnt 0x0
	s_wait_xcnt 0x0
	v_mul_f64_e32 v[14:15], v[4:5], v[14:15]
	s_branch .LBB112_12
.LBB112_10:                             ;   in Loop: Header=BB112_12 Depth=2
	s_or_b32 exec_lo, exec_lo, s24
.LBB112_11:                             ;   in Loop: Header=BB112_12 Depth=2
	s_delay_alu instid0(SALU_CYCLE_1) | instskip(SKIP_3) | instid1(VALU_DEP_2)
	s_or_b32 exec_lo, exec_lo, s23
	s_wait_loadcnt 0x0
	v_dual_mul_f64 v[16:17], v[14:15], v[16:17] :: v_dual_lshlrev_b32 v1, 3, v18
	v_add_nc_u64_e32 v[12:13], 64, v[12:13]
	v_add3_u32 v1, 0, v1, 0x10000
	s_delay_alu instid0(VALU_DEP_2)
	v_cmp_ge_i64_e32 vcc_lo, v[12:13], v[10:11]
	s_or_b32 s22, vcc_lo, s22
	ds_add_f64 v1, v[16:17]
	s_and_not1_b32 exec_lo, exec_lo, s22
	s_cbranch_execz .LBB112_7
.LBB112_12:                             ;   Parent Loop BB112_8 Depth=1
                                        ; =>  This Loop Header: Depth=2
                                        ;       Child Loop BB112_15 Depth 3
	v_lshlrev_b64_e32 v[16:17], 3, v[12:13]
	s_mov_b32 s23, exec_lo
	s_delay_alu instid0(VALU_DEP_1)
	v_add_nc_u64_e32 v[18:19], s[10:11], v[16:17]
	v_add_nc_u64_e32 v[16:17], s[14:15], v[16:17]
	global_load_b64 v[18:19], v[18:19], off
	global_load_b64 v[16:17], v[16:17], off
	s_wait_loadcnt 0x1
	v_sub_nc_u64_e64 v[20:21], v[18:19], s[16:17]
	s_delay_alu instid0(VALU_DEP_1) | instskip(SKIP_1) | instid1(VALU_DEP_1)
	v_mul_lo_u32 v1, 0x89, v20
	s_wait_xcnt 0x1
	v_and_b32_e32 v18, 0x1fff, v1
	s_delay_alu instid0(VALU_DEP_1)
	v_lshl_add_u32 v1, v18, 3, 0
	ds_load_b64 v[24:25], v1
	s_wait_dscnt 0x0
	s_wait_xcnt 0x0
	v_cmpx_ne_u64_e64 v[24:25], v[20:21]
	s_cbranch_execz .LBB112_11
; %bb.13:                               ;   in Loop: Header=BB112_12 Depth=2
	s_mov_b32 s24, 0
                                        ; implicit-def: $sgpr25
                                        ; implicit-def: $sgpr26
	s_branch .LBB112_15
.LBB112_14:                             ;   in Loop: Header=BB112_15 Depth=3
	s_or_b32 exec_lo, exec_lo, s29
	s_delay_alu instid0(SALU_CYCLE_1) | instskip(NEXT) | instid1(SALU_CYCLE_1)
	s_and_b32 s27, exec_lo, s28
	s_or_b32 s24, s27, s24
	s_and_not1_b32 s25, s25, exec_lo
	s_and_b32 s27, s26, exec_lo
	s_delay_alu instid0(SALU_CYCLE_1)
	s_or_b32 s25, s25, s27
	s_and_not1_b32 exec_lo, exec_lo, s24
	s_cbranch_execz .LBB112_21
.LBB112_15:                             ;   Parent Loop BB112_8 Depth=1
                                        ;     Parent Loop BB112_12 Depth=2
                                        ; =>    This Inner Loop Header: Depth=3
	v_mov_b64_e32 v[22:23], v[18:19]
	s_mov_b32 s27, 0
	s_mov_b32 s28, exec_lo
                                        ; implicit-def: $vgpr18_vgpr19
	v_cmpx_ne_u64_e64 s[34:35], v[24:25]
	s_xor_b32 s28, exec_lo, s28
; %bb.16:                               ;   in Loop: Header=BB112_15 Depth=3
	s_delay_alu instid0(VALU_DEP_2) | instskip(SKIP_1) | instid1(VALU_DEP_1)
	v_add_nc_u32_e32 v1, 1, v22
	s_mov_b32 s27, exec_lo
	v_and_b32_e32 v18, 0x1fff, v1
                                        ; implicit-def: $vgpr1
; %bb.17:                               ;   in Loop: Header=BB112_15 Depth=3
	s_and_not1_saveexec_b32 s28, s28
	s_cbranch_execz .LBB112_19
; %bb.18:                               ;   in Loop: Header=BB112_15 Depth=3
	v_mov_b64_e32 v[18:19], s[34:35]
	s_and_not1_b32 s27, s27, exec_lo
	ds_cmpstore_rtn_b64 v[18:19], v1, v[20:21], v[18:19]
	s_wait_dscnt 0x0
	v_cmp_ne_u64_e32 vcc_lo, s[34:35], v[18:19]
	v_mov_b64_e32 v[18:19], v[22:23]
	s_and_b32 s29, vcc_lo, exec_lo
	s_delay_alu instid0(SALU_CYCLE_1)
	s_or_b32 s27, s27, s29
.LBB112_19:                             ;   in Loop: Header=BB112_15 Depth=3
	s_or_b32 exec_lo, exec_lo, s28
	s_mov_b32 s28, -1
	s_or_b32 s26, s26, exec_lo
                                        ; implicit-def: $vgpr1
                                        ; implicit-def: $vgpr24_vgpr25
	s_and_saveexec_b32 s29, s27
	s_cbranch_execz .LBB112_14
; %bb.20:                               ;   in Loop: Header=BB112_15 Depth=3
	v_lshl_add_u32 v1, v18, 3, 0
	s_and_not1_b32 s26, s26, exec_lo
	ds_load_b64 v[24:25], v1
	s_wait_dscnt 0x0
	v_cmp_eq_u64_e32 vcc_lo, v[24:25], v[20:21]
	s_or_not1_b32 s28, vcc_lo, exec_lo
	s_branch .LBB112_14
.LBB112_21:                             ;   in Loop: Header=BB112_12 Depth=2
	s_or_b32 exec_lo, exec_lo, s24
	s_and_saveexec_b32 s24, s25
	s_delay_alu instid0(SALU_CYCLE_1)
	s_xor_b32 s24, exec_lo, s24
	s_cbranch_execz .LBB112_10
; %bb.22:                               ;   in Loop: Header=BB112_12 Depth=2
	v_mov_b32_e32 v18, v22
	s_branch .LBB112_10
.LBB112_23:
	s_or_b32 exec_lo, exec_lo, s19
.LBB112_24:
	s_delay_alu instid0(SALU_CYCLE_1)
	s_and_not1_b32 vcc_lo, exec_lo, s18
	s_cbranch_vccnz .LBB112_41
; %bb.25:
	s_load_b64 s[2:3], s[0:1], 0x58
	s_wait_kmcnt 0x0
	s_lshl_b64 s[4:5], s[40:41], 3
	v_mov_b32_e32 v1, 0
	s_mov_b32 s10, exec_lo
	s_add_nc_u64 s[2:3], s[2:3], s[4:5]
	s_load_b128 s[4:7], s[2:3], 0x0
	s_wait_xcnt 0x0
	s_mov_b32 s3, 0
	s_mov_b32 s2, s39
	s_delay_alu instid0(SALU_CYCLE_1) | instskip(SKIP_1) | instid1(VALU_DEP_1)
	v_sub_nc_u64_e64 v[4:5], v[0:1], s[2:3]
	s_wait_kmcnt 0x0
	v_add_nc_u64_e32 v[4:5], s[4:5], v[4:5]
	s_sub_nc_u64 s[8:9], s[6:7], s[2:3]
	s_delay_alu instid0(VALU_DEP_1) | instid1(SALU_CYCLE_1)
	v_cmpx_gt_i64_e64 s[8:9], v[4:5]
	s_cbranch_execz .LBB112_40
; %bb.26:
	s_load_b128 s[4:7], s[0:1], 0x60
	s_mov_b32 s11, s3
	s_branch .LBB112_29
.LBB112_27:                             ;   in Loop: Header=BB112_29 Depth=1
	s_or_b32 exec_lo, exec_lo, s13
.LBB112_28:                             ;   in Loop: Header=BB112_29 Depth=1
	s_delay_alu instid0(SALU_CYCLE_1) | instskip(SKIP_3) | instid1(VALU_DEP_2)
	s_or_b32 exec_lo, exec_lo, s12
	s_wait_loadcnt 0x0
	v_dual_mul_f64 v[6:7], v[2:3], v[6:7] :: v_dual_lshlrev_b32 v1, 3, v8
	v_add_nc_u64_e32 v[4:5], 0x400, v[4:5]
	v_add3_u32 v1, 0, v1, 0x10000
	s_delay_alu instid0(VALU_DEP_2)
	v_cmp_le_i64_e32 vcc_lo, s[8:9], v[4:5]
	s_or_b32 s11, vcc_lo, s11
	ds_add_f64 v1, v[6:7]
	s_and_not1_b32 exec_lo, exec_lo, s11
	s_cbranch_execz .LBB112_40
.LBB112_29:                             ; =>This Loop Header: Depth=1
                                        ;     Child Loop BB112_32 Depth 2
	v_lshlrev_b64_e32 v[6:7], 3, v[4:5]
	s_mov_b32 s12, exec_lo
	s_wait_kmcnt 0x0
	s_delay_alu instid0(VALU_DEP_1)
	v_add_nc_u64_e32 v[8:9], s[4:5], v[6:7]
	v_add_nc_u64_e32 v[6:7], s[6:7], v[6:7]
	global_load_b64 v[8:9], v[8:9], off
	global_load_b64 v[6:7], v[6:7], off
	s_wait_loadcnt 0x1
	v_sub_nc_u64_e64 v[10:11], v[8:9], s[2:3]
	s_delay_alu instid0(VALU_DEP_1) | instskip(NEXT) | instid1(VALU_DEP_1)
	v_mul_lo_u32 v1, 0x89, v10
	v_and_b32_e32 v8, 0x1fff, v1
	s_delay_alu instid0(VALU_DEP_1)
	v_lshl_add_u32 v1, v8, 3, 0
	ds_load_b64 v[14:15], v1
	s_wait_dscnt 0x0
	s_wait_xcnt 0x0
	v_cmpx_ne_u64_e64 v[14:15], v[10:11]
	s_cbranch_execz .LBB112_28
; %bb.30:                               ;   in Loop: Header=BB112_29 Depth=1
	s_mov_b32 s13, 0
                                        ; implicit-def: $sgpr14
                                        ; implicit-def: $sgpr15
	s_branch .LBB112_32
.LBB112_31:                             ;   in Loop: Header=BB112_32 Depth=2
	s_or_b32 exec_lo, exec_lo, s18
	s_delay_alu instid0(SALU_CYCLE_1) | instskip(NEXT) | instid1(SALU_CYCLE_1)
	s_and_b32 s16, exec_lo, s17
	s_or_b32 s13, s16, s13
	s_and_not1_b32 s14, s14, exec_lo
	s_and_b32 s16, s15, exec_lo
	s_delay_alu instid0(SALU_CYCLE_1)
	s_or_b32 s14, s14, s16
	s_and_not1_b32 exec_lo, exec_lo, s13
	s_cbranch_execz .LBB112_38
.LBB112_32:                             ;   Parent Loop BB112_29 Depth=1
                                        ; =>  This Inner Loop Header: Depth=2
	v_mov_b64_e32 v[12:13], v[8:9]
	s_mov_b32 s16, 0
	s_mov_b32 s17, exec_lo
                                        ; implicit-def: $vgpr8_vgpr9
	v_cmpx_ne_u64_e64 s[34:35], v[14:15]
	s_xor_b32 s17, exec_lo, s17
; %bb.33:                               ;   in Loop: Header=BB112_32 Depth=2
	s_delay_alu instid0(VALU_DEP_2) | instskip(SKIP_1) | instid1(VALU_DEP_1)
	v_add_nc_u32_e32 v1, 1, v12
	s_mov_b32 s16, exec_lo
	v_and_b32_e32 v8, 0x1fff, v1
                                        ; implicit-def: $vgpr1
; %bb.34:                               ;   in Loop: Header=BB112_32 Depth=2
	s_and_not1_saveexec_b32 s17, s17
	s_cbranch_execz .LBB112_36
; %bb.35:                               ;   in Loop: Header=BB112_32 Depth=2
	v_mov_b64_e32 v[8:9], s[34:35]
	s_and_not1_b32 s16, s16, exec_lo
	ds_cmpstore_rtn_b64 v[8:9], v1, v[10:11], v[8:9]
	s_wait_dscnt 0x0
	v_cmp_ne_u64_e32 vcc_lo, s[34:35], v[8:9]
	v_mov_b64_e32 v[8:9], v[12:13]
	s_and_b32 s18, vcc_lo, exec_lo
	s_delay_alu instid0(SALU_CYCLE_1)
	s_or_b32 s16, s16, s18
.LBB112_36:                             ;   in Loop: Header=BB112_32 Depth=2
	s_or_b32 exec_lo, exec_lo, s17
	s_mov_b32 s17, -1
	s_or_b32 s15, s15, exec_lo
                                        ; implicit-def: $vgpr1
                                        ; implicit-def: $vgpr14_vgpr15
	s_and_saveexec_b32 s18, s16
	s_cbranch_execz .LBB112_31
; %bb.37:                               ;   in Loop: Header=BB112_32 Depth=2
	v_lshl_add_u32 v1, v8, 3, 0
	s_and_not1_b32 s15, s15, exec_lo
	ds_load_b64 v[14:15], v1
	s_wait_dscnt 0x0
	v_cmp_eq_u64_e32 vcc_lo, v[14:15], v[10:11]
	s_or_not1_b32 s17, vcc_lo, exec_lo
	s_branch .LBB112_31
.LBB112_38:                             ;   in Loop: Header=BB112_29 Depth=1
	s_or_b32 exec_lo, exec_lo, s13
	s_and_saveexec_b32 s13, s14
	s_delay_alu instid0(SALU_CYCLE_1)
	s_xor_b32 s13, exec_lo, s13
	s_cbranch_execz .LBB112_27
; %bb.39:                               ;   in Loop: Header=BB112_29 Depth=1
	v_mov_b32_e32 v8, v12
	s_branch .LBB112_27
.LBB112_40:
	s_or_b32 exec_lo, exec_lo, s10
.LBB112_41:
	s_clause 0x1
	s_load_b64 s[36:37], s[0:1], 0x80
	s_load_b64 s[42:43], s[0:1], 0x70
	v_mbcnt_lo_u32_b32 v1, -1, 0
	v_lshrrev_b32_e32 v2, 2, v0
	v_mov_b64_e32 v[6:7], 0
	v_mov_b32_e32 v5, 0
	s_wait_xcnt 0x0
	v_cmp_lt_u32_e64 s0, 31, v0
	v_xor_b32_e32 v1, 31, v1
	v_and_b32_e32 v3, 0xf8, v2
	v_cmp_lt_u32_e64 s1, 63, v0
	v_cmp_lt_u32_e64 s2, 0x5f, v0
	;; [unrolled: 1-line block ×3, first 2 shown]
	v_lshrrev_b32_e64 v2, v1, -1
	v_add3_u32 v1, 0x20000, 0, v3
	v_cmp_lt_u32_e64 s4, 0x9f, v0
	v_cmp_lt_u32_e64 s5, 0xbf, v0
	;; [unrolled: 1-line block ×27, first 2 shown]
	v_or_b32_e32 v3, 0xfffffc00, v0
	s_mov_b32 s33, 0
	s_add_co_i32 s39, 0, 0x20000
	s_add_co_i32 s44, 0, 0x20008
	;; [unrolled: 1-line block ×32, first 2 shown]
	s_wait_dscnt 0x0
	s_barrier_signal -1
	s_barrier_wait -1
	v_cmp_eq_u32_e32 vcc_lo, 0x3ff, v0
	s_branch .LBB112_43
.LBB112_42:                             ;   in Loop: Header=BB112_43 Depth=1
	s_or_b32 exec_lo, exec_lo, s31
	v_dual_mov_b32 v4, s74 :: v_dual_add_nc_u32 v3, 0x400, v3
	s_wait_dscnt 0x0
	s_barrier_signal -1
	s_barrier_wait -1
	ds_load_b64 v[8:9], v4
	v_cmp_lt_u32_e64 s31, 0x1bff, v3
	v_add_nc_u32_e32 v26, 0x2000, v26
	s_or_b32 s33, s31, s33
	s_wait_dscnt 0x0
	v_add_nc_u64_e32 v[6:7], v[8:9], v[6:7]
	s_and_not1_b32 exec_lo, exec_lo, s33
	s_cbranch_execz .LBB112_109
.LBB112_43:                             ; =>This Inner Loop Header: Depth=1
	ds_load_b64 v[8:9], v26
	v_add_nc_u32_e32 v4, 0x10000, v26
	ds_load_b64 v[10:11], v4
	s_wait_dscnt 0x0
	s_barrier_signal -1
	s_barrier_wait -1
	v_cmp_gt_i64_e64 s31, s[34:35], v[8:9]
	s_bcnt1_i32_b32 s75, s31
	s_delay_alu instid0(SALU_CYCLE_1) | instskip(NEXT) | instid1(VALU_DEP_1)
	v_dual_mov_b32 v4, s75 :: v_dual_bitop2_b32 v12, s31, v2 bitop3:0x40
	v_bcnt_u32_b32 v12, v12, 0
	ds_store_b64 v1, v[4:5]
	s_wait_dscnt 0x0
	s_barrier_signal -1
	s_barrier_wait -1
	s_and_saveexec_b32 s75, s0
	s_cbranch_execnz .LBB112_76
; %bb.44:                               ;   in Loop: Header=BB112_43 Depth=1
	s_or_b32 exec_lo, exec_lo, s75
	s_and_saveexec_b32 s75, s1
	s_cbranch_execnz .LBB112_77
.LBB112_45:                             ;   in Loop: Header=BB112_43 Depth=1
	s_or_b32 exec_lo, exec_lo, s75
	s_and_saveexec_b32 s75, s2
	s_cbranch_execnz .LBB112_78
.LBB112_46:                             ;   in Loop: Header=BB112_43 Depth=1
	s_or_b32 exec_lo, exec_lo, s75
	s_and_saveexec_b32 s75, s3
	s_cbranch_execnz .LBB112_79
.LBB112_47:                             ;   in Loop: Header=BB112_43 Depth=1
	s_or_b32 exec_lo, exec_lo, s75
	s_and_saveexec_b32 s75, s4
	s_cbranch_execnz .LBB112_80
.LBB112_48:                             ;   in Loop: Header=BB112_43 Depth=1
	s_or_b32 exec_lo, exec_lo, s75
	s_and_saveexec_b32 s75, s5
	s_cbranch_execnz .LBB112_81
.LBB112_49:                             ;   in Loop: Header=BB112_43 Depth=1
	s_or_b32 exec_lo, exec_lo, s75
	s_and_saveexec_b32 s75, s6
	s_cbranch_execnz .LBB112_82
.LBB112_50:                             ;   in Loop: Header=BB112_43 Depth=1
	s_or_b32 exec_lo, exec_lo, s75
	s_and_saveexec_b32 s75, s7
	s_cbranch_execnz .LBB112_83
.LBB112_51:                             ;   in Loop: Header=BB112_43 Depth=1
	s_or_b32 exec_lo, exec_lo, s75
	s_and_saveexec_b32 s75, s8
	s_cbranch_execnz .LBB112_84
.LBB112_52:                             ;   in Loop: Header=BB112_43 Depth=1
	s_or_b32 exec_lo, exec_lo, s75
	s_and_saveexec_b32 s75, s9
	s_cbranch_execnz .LBB112_85
.LBB112_53:                             ;   in Loop: Header=BB112_43 Depth=1
	s_or_b32 exec_lo, exec_lo, s75
	s_and_saveexec_b32 s75, s10
	s_cbranch_execnz .LBB112_86
.LBB112_54:                             ;   in Loop: Header=BB112_43 Depth=1
	s_or_b32 exec_lo, exec_lo, s75
	s_and_saveexec_b32 s75, s11
	s_cbranch_execnz .LBB112_87
.LBB112_55:                             ;   in Loop: Header=BB112_43 Depth=1
	s_or_b32 exec_lo, exec_lo, s75
	s_and_saveexec_b32 s75, s12
	s_cbranch_execnz .LBB112_88
.LBB112_56:                             ;   in Loop: Header=BB112_43 Depth=1
	s_or_b32 exec_lo, exec_lo, s75
	s_and_saveexec_b32 s75, s13
	s_cbranch_execnz .LBB112_89
.LBB112_57:                             ;   in Loop: Header=BB112_43 Depth=1
	s_or_b32 exec_lo, exec_lo, s75
	s_and_saveexec_b32 s75, s14
	s_cbranch_execnz .LBB112_90
.LBB112_58:                             ;   in Loop: Header=BB112_43 Depth=1
	s_or_b32 exec_lo, exec_lo, s75
	s_and_saveexec_b32 s75, s15
	s_cbranch_execnz .LBB112_91
.LBB112_59:                             ;   in Loop: Header=BB112_43 Depth=1
	s_or_b32 exec_lo, exec_lo, s75
	s_and_saveexec_b32 s75, s16
	s_cbranch_execnz .LBB112_92
.LBB112_60:                             ;   in Loop: Header=BB112_43 Depth=1
	s_or_b32 exec_lo, exec_lo, s75
	s_and_saveexec_b32 s75, s17
	s_cbranch_execnz .LBB112_93
.LBB112_61:                             ;   in Loop: Header=BB112_43 Depth=1
	s_or_b32 exec_lo, exec_lo, s75
	s_and_saveexec_b32 s75, s18
	s_cbranch_execnz .LBB112_94
.LBB112_62:                             ;   in Loop: Header=BB112_43 Depth=1
	s_or_b32 exec_lo, exec_lo, s75
	s_and_saveexec_b32 s75, s19
	s_cbranch_execnz .LBB112_95
.LBB112_63:                             ;   in Loop: Header=BB112_43 Depth=1
	s_or_b32 exec_lo, exec_lo, s75
	s_and_saveexec_b32 s75, s20
	s_cbranch_execnz .LBB112_96
.LBB112_64:                             ;   in Loop: Header=BB112_43 Depth=1
	s_or_b32 exec_lo, exec_lo, s75
	s_and_saveexec_b32 s75, s21
	s_cbranch_execnz .LBB112_97
.LBB112_65:                             ;   in Loop: Header=BB112_43 Depth=1
	s_or_b32 exec_lo, exec_lo, s75
	s_and_saveexec_b32 s75, s22
	s_cbranch_execnz .LBB112_98
.LBB112_66:                             ;   in Loop: Header=BB112_43 Depth=1
	s_or_b32 exec_lo, exec_lo, s75
	s_and_saveexec_b32 s75, s23
	s_cbranch_execnz .LBB112_99
.LBB112_67:                             ;   in Loop: Header=BB112_43 Depth=1
	s_or_b32 exec_lo, exec_lo, s75
	s_and_saveexec_b32 s75, s24
	s_cbranch_execnz .LBB112_100
.LBB112_68:                             ;   in Loop: Header=BB112_43 Depth=1
	s_or_b32 exec_lo, exec_lo, s75
	s_and_saveexec_b32 s75, s25
	s_cbranch_execnz .LBB112_101
.LBB112_69:                             ;   in Loop: Header=BB112_43 Depth=1
	s_or_b32 exec_lo, exec_lo, s75
	s_and_saveexec_b32 s75, s26
	s_cbranch_execnz .LBB112_102
.LBB112_70:                             ;   in Loop: Header=BB112_43 Depth=1
	s_or_b32 exec_lo, exec_lo, s75
	s_and_saveexec_b32 s75, s27
	s_cbranch_execnz .LBB112_103
.LBB112_71:                             ;   in Loop: Header=BB112_43 Depth=1
	s_or_b32 exec_lo, exec_lo, s75
	s_and_saveexec_b32 s75, s28
	s_cbranch_execnz .LBB112_104
.LBB112_72:                             ;   in Loop: Header=BB112_43 Depth=1
	s_or_b32 exec_lo, exec_lo, s75
	s_and_saveexec_b32 s75, s29
	s_cbranch_execnz .LBB112_105
.LBB112_73:                             ;   in Loop: Header=BB112_43 Depth=1
	s_or_b32 exec_lo, exec_lo, s75
	s_and_saveexec_b32 s75, s30
	s_cbranch_execnz .LBB112_106
.LBB112_74:                             ;   in Loop: Header=BB112_43 Depth=1
	s_or_b32 exec_lo, exec_lo, s75
	v_ashrrev_i32_e32 v13, 31, v12
	s_and_saveexec_b32 s75, s31
	s_cbranch_execnz .LBB112_107
.LBB112_75:                             ;   in Loop: Header=BB112_43 Depth=1
	s_or_b32 exec_lo, exec_lo, s75
	s_and_saveexec_b32 s31, vcc_lo
	s_cbranch_execz .LBB112_42
	s_branch .LBB112_108
.LBB112_76:                             ;   in Loop: Header=BB112_43 Depth=1
	v_mov_b32_e32 v4, s39
	ds_load_b32 v4, v4
	s_wait_dscnt 0x0
	v_add_nc_u32_e32 v12, v4, v12
	s_or_b32 exec_lo, exec_lo, s75
	s_and_saveexec_b32 s75, s1
	s_cbranch_execz .LBB112_45
.LBB112_77:                             ;   in Loop: Header=BB112_43 Depth=1
	v_mov_b32_e32 v4, s44
	ds_load_b32 v4, v4
	s_wait_dscnt 0x0
	v_add_nc_u32_e32 v12, v12, v4
	s_or_b32 exec_lo, exec_lo, s75
	s_and_saveexec_b32 s75, s2
	s_cbranch_execz .LBB112_46
.LBB112_78:                             ;   in Loop: Header=BB112_43 Depth=1
	v_mov_b32_e32 v4, s45
	ds_load_b32 v4, v4
	s_wait_dscnt 0x0
	v_add_nc_u32_e32 v12, v12, v4
	s_or_b32 exec_lo, exec_lo, s75
	s_and_saveexec_b32 s75, s3
	s_cbranch_execz .LBB112_47
.LBB112_79:                             ;   in Loop: Header=BB112_43 Depth=1
	v_mov_b32_e32 v4, s46
	ds_load_b32 v4, v4
	s_wait_dscnt 0x0
	v_add_nc_u32_e32 v12, v12, v4
	s_or_b32 exec_lo, exec_lo, s75
	s_and_saveexec_b32 s75, s4
	s_cbranch_execz .LBB112_48
.LBB112_80:                             ;   in Loop: Header=BB112_43 Depth=1
	v_mov_b32_e32 v4, s47
	ds_load_b32 v4, v4
	s_wait_dscnt 0x0
	v_add_nc_u32_e32 v12, v12, v4
	s_or_b32 exec_lo, exec_lo, s75
	s_and_saveexec_b32 s75, s5
	s_cbranch_execz .LBB112_49
.LBB112_81:                             ;   in Loop: Header=BB112_43 Depth=1
	v_mov_b32_e32 v4, s48
	ds_load_b32 v4, v4
	s_wait_dscnt 0x0
	v_add_nc_u32_e32 v12, v12, v4
	s_or_b32 exec_lo, exec_lo, s75
	s_and_saveexec_b32 s75, s6
	s_cbranch_execz .LBB112_50
.LBB112_82:                             ;   in Loop: Header=BB112_43 Depth=1
	v_mov_b32_e32 v4, s49
	ds_load_b32 v4, v4
	s_wait_dscnt 0x0
	v_add_nc_u32_e32 v12, v12, v4
	s_or_b32 exec_lo, exec_lo, s75
	s_and_saveexec_b32 s75, s7
	s_cbranch_execz .LBB112_51
.LBB112_83:                             ;   in Loop: Header=BB112_43 Depth=1
	v_mov_b32_e32 v4, s50
	ds_load_b32 v4, v4
	s_wait_dscnt 0x0
	v_add_nc_u32_e32 v12, v12, v4
	s_or_b32 exec_lo, exec_lo, s75
	s_and_saveexec_b32 s75, s8
	s_cbranch_execz .LBB112_52
.LBB112_84:                             ;   in Loop: Header=BB112_43 Depth=1
	v_mov_b32_e32 v4, s51
	ds_load_b32 v4, v4
	s_wait_dscnt 0x0
	v_add_nc_u32_e32 v12, v12, v4
	s_or_b32 exec_lo, exec_lo, s75
	s_and_saveexec_b32 s75, s9
	s_cbranch_execz .LBB112_53
.LBB112_85:                             ;   in Loop: Header=BB112_43 Depth=1
	v_mov_b32_e32 v4, s52
	ds_load_b32 v4, v4
	s_wait_dscnt 0x0
	v_add_nc_u32_e32 v12, v12, v4
	s_or_b32 exec_lo, exec_lo, s75
	s_and_saveexec_b32 s75, s10
	s_cbranch_execz .LBB112_54
.LBB112_86:                             ;   in Loop: Header=BB112_43 Depth=1
	v_mov_b32_e32 v4, s53
	ds_load_b32 v4, v4
	s_wait_dscnt 0x0
	v_add_nc_u32_e32 v12, v12, v4
	s_or_b32 exec_lo, exec_lo, s75
	s_and_saveexec_b32 s75, s11
	s_cbranch_execz .LBB112_55
.LBB112_87:                             ;   in Loop: Header=BB112_43 Depth=1
	v_mov_b32_e32 v4, s54
	ds_load_b32 v4, v4
	s_wait_dscnt 0x0
	v_add_nc_u32_e32 v12, v12, v4
	s_or_b32 exec_lo, exec_lo, s75
	s_and_saveexec_b32 s75, s12
	s_cbranch_execz .LBB112_56
.LBB112_88:                             ;   in Loop: Header=BB112_43 Depth=1
	v_mov_b32_e32 v4, s55
	ds_load_b32 v4, v4
	s_wait_dscnt 0x0
	v_add_nc_u32_e32 v12, v12, v4
	s_or_b32 exec_lo, exec_lo, s75
	s_and_saveexec_b32 s75, s13
	s_cbranch_execz .LBB112_57
.LBB112_89:                             ;   in Loop: Header=BB112_43 Depth=1
	v_mov_b32_e32 v4, s56
	ds_load_b32 v4, v4
	s_wait_dscnt 0x0
	v_add_nc_u32_e32 v12, v12, v4
	s_or_b32 exec_lo, exec_lo, s75
	s_and_saveexec_b32 s75, s14
	s_cbranch_execz .LBB112_58
.LBB112_90:                             ;   in Loop: Header=BB112_43 Depth=1
	v_mov_b32_e32 v4, s57
	ds_load_b32 v4, v4
	s_wait_dscnt 0x0
	v_add_nc_u32_e32 v12, v12, v4
	s_or_b32 exec_lo, exec_lo, s75
	s_and_saveexec_b32 s75, s15
	s_cbranch_execz .LBB112_59
.LBB112_91:                             ;   in Loop: Header=BB112_43 Depth=1
	v_mov_b32_e32 v4, s58
	ds_load_b32 v4, v4
	s_wait_dscnt 0x0
	v_add_nc_u32_e32 v12, v12, v4
	s_or_b32 exec_lo, exec_lo, s75
	s_and_saveexec_b32 s75, s16
	s_cbranch_execz .LBB112_60
.LBB112_92:                             ;   in Loop: Header=BB112_43 Depth=1
	v_mov_b32_e32 v4, s59
	ds_load_b32 v4, v4
	s_wait_dscnt 0x0
	v_add_nc_u32_e32 v12, v12, v4
	s_or_b32 exec_lo, exec_lo, s75
	s_and_saveexec_b32 s75, s17
	s_cbranch_execz .LBB112_61
.LBB112_93:                             ;   in Loop: Header=BB112_43 Depth=1
	v_mov_b32_e32 v4, s60
	ds_load_b32 v4, v4
	s_wait_dscnt 0x0
	v_add_nc_u32_e32 v12, v12, v4
	s_or_b32 exec_lo, exec_lo, s75
	s_and_saveexec_b32 s75, s18
	s_cbranch_execz .LBB112_62
.LBB112_94:                             ;   in Loop: Header=BB112_43 Depth=1
	v_mov_b32_e32 v4, s61
	ds_load_b32 v4, v4
	s_wait_dscnt 0x0
	v_add_nc_u32_e32 v12, v12, v4
	s_or_b32 exec_lo, exec_lo, s75
	s_and_saveexec_b32 s75, s19
	s_cbranch_execz .LBB112_63
.LBB112_95:                             ;   in Loop: Header=BB112_43 Depth=1
	v_mov_b32_e32 v4, s62
	ds_load_b32 v4, v4
	s_wait_dscnt 0x0
	v_add_nc_u32_e32 v12, v12, v4
	s_or_b32 exec_lo, exec_lo, s75
	s_and_saveexec_b32 s75, s20
	s_cbranch_execz .LBB112_64
.LBB112_96:                             ;   in Loop: Header=BB112_43 Depth=1
	v_mov_b32_e32 v4, s63
	ds_load_b32 v4, v4
	s_wait_dscnt 0x0
	v_add_nc_u32_e32 v12, v12, v4
	s_or_b32 exec_lo, exec_lo, s75
	s_and_saveexec_b32 s75, s21
	s_cbranch_execz .LBB112_65
.LBB112_97:                             ;   in Loop: Header=BB112_43 Depth=1
	v_mov_b32_e32 v4, s64
	ds_load_b32 v4, v4
	s_wait_dscnt 0x0
	v_add_nc_u32_e32 v12, v12, v4
	s_or_b32 exec_lo, exec_lo, s75
	s_and_saveexec_b32 s75, s22
	s_cbranch_execz .LBB112_66
.LBB112_98:                             ;   in Loop: Header=BB112_43 Depth=1
	v_mov_b32_e32 v4, s65
	ds_load_b32 v4, v4
	s_wait_dscnt 0x0
	v_add_nc_u32_e32 v12, v12, v4
	s_or_b32 exec_lo, exec_lo, s75
	s_and_saveexec_b32 s75, s23
	s_cbranch_execz .LBB112_67
.LBB112_99:                             ;   in Loop: Header=BB112_43 Depth=1
	v_mov_b32_e32 v4, s66
	ds_load_b32 v4, v4
	s_wait_dscnt 0x0
	v_add_nc_u32_e32 v12, v12, v4
	s_or_b32 exec_lo, exec_lo, s75
	s_and_saveexec_b32 s75, s24
	s_cbranch_execz .LBB112_68
.LBB112_100:                            ;   in Loop: Header=BB112_43 Depth=1
	v_mov_b32_e32 v4, s67
	ds_load_b32 v4, v4
	s_wait_dscnt 0x0
	v_add_nc_u32_e32 v12, v12, v4
	s_or_b32 exec_lo, exec_lo, s75
	s_and_saveexec_b32 s75, s25
	s_cbranch_execz .LBB112_69
.LBB112_101:                            ;   in Loop: Header=BB112_43 Depth=1
	v_mov_b32_e32 v4, s68
	ds_load_b32 v4, v4
	s_wait_dscnt 0x0
	v_add_nc_u32_e32 v12, v12, v4
	s_or_b32 exec_lo, exec_lo, s75
	s_and_saveexec_b32 s75, s26
	s_cbranch_execz .LBB112_70
.LBB112_102:                            ;   in Loop: Header=BB112_43 Depth=1
	v_mov_b32_e32 v4, s69
	ds_load_b32 v4, v4
	s_wait_dscnt 0x0
	v_add_nc_u32_e32 v12, v12, v4
	s_or_b32 exec_lo, exec_lo, s75
	s_and_saveexec_b32 s75, s27
	s_cbranch_execz .LBB112_71
.LBB112_103:                            ;   in Loop: Header=BB112_43 Depth=1
	v_mov_b32_e32 v4, s70
	ds_load_b32 v4, v4
	s_wait_dscnt 0x0
	v_add_nc_u32_e32 v12, v12, v4
	s_or_b32 exec_lo, exec_lo, s75
	s_and_saveexec_b32 s75, s28
	s_cbranch_execz .LBB112_72
.LBB112_104:                            ;   in Loop: Header=BB112_43 Depth=1
	v_mov_b32_e32 v4, s71
	ds_load_b32 v4, v4
	s_wait_dscnt 0x0
	v_add_nc_u32_e32 v12, v12, v4
	s_or_b32 exec_lo, exec_lo, s75
	s_and_saveexec_b32 s75, s29
	s_cbranch_execz .LBB112_73
.LBB112_105:                            ;   in Loop: Header=BB112_43 Depth=1
	v_mov_b32_e32 v4, s72
	ds_load_b32 v4, v4
	s_wait_dscnt 0x0
	v_add_nc_u32_e32 v12, v12, v4
	s_or_b32 exec_lo, exec_lo, s75
	s_and_saveexec_b32 s75, s30
	s_cbranch_execz .LBB112_74
.LBB112_106:                            ;   in Loop: Header=BB112_43 Depth=1
	v_mov_b32_e32 v4, s73
	ds_load_b32 v4, v4
	s_wait_dscnt 0x0
	v_add_nc_u32_e32 v12, v12, v4
	s_or_b32 exec_lo, exec_lo, s75
	s_delay_alu instid0(VALU_DEP_1)
	v_ashrrev_i32_e32 v13, 31, v12
	s_and_saveexec_b32 s75, s31
	s_cbranch_execz .LBB112_75
.LBB112_107:                            ;   in Loop: Header=BB112_43 Depth=1
	v_add3_u32 v4, v6, -1, v12
	v_add_nc_u32_e32 v14, v6, v12
	s_delay_alu instid0(VALU_DEP_2) | instskip(NEXT) | instid1(VALU_DEP_2)
	v_lshl_add_u32 v4, v4, 3, 0
	v_lshl_add_u32 v14, v14, 3, 0
	ds_store_b64 v4, v[8:9]
	ds_store_b64 v14, v[10:11] offset:65528
	s_or_b32 exec_lo, exec_lo, s75
	s_and_saveexec_b32 s31, vcc_lo
	s_cbranch_execz .LBB112_42
.LBB112_108:                            ;   in Loop: Header=BB112_43 Depth=1
	v_mov_b32_e32 v4, s74
	ds_store_b64 v4, v[12:13]
	s_branch .LBB112_42
.LBB112_109:
	s_or_b32 exec_lo, exec_lo, s33
	s_wait_kmcnt 0x0
	s_lshl_b64 s[0:1], s[40:41], 3
	v_mov_b32_e32 v1, 0
	s_add_nc_u64 s[4:5], s[42:43], s[0:1]
	s_mov_b32 s6, exec_lo
	s_load_b128 s[0:3], s[4:5], 0x0
	s_wait_kmcnt 0x0
	s_sub_nc_u64 s[4:5], s[2:3], s[0:1]
	s_delay_alu instid0(SALU_CYCLE_1)
	v_cmpx_gt_i64_e64 s[4:5], v[0:1]
	s_cbranch_execz .LBB112_119
; %bb.110:
	s_sub_nc_u64 s[8:9], s[0:1], s[2:3]
	s_and_b64 s[6:7], s[4:5], 7
	v_cmp_lt_u64_e64 s10, s[8:9], -7
	s_and_b64 s[2:3], s[4:5], -8
	s_mov_b32 s39, 0
	s_cmp_lg_u64 s[6:7], 0
	s_sub_nc_u64 s[0:1], s[0:1], s[38:39]
	s_cselect_b32 s11, -1, 0
	s_mov_b32 s12, 0
	s_branch .LBB112_112
.LBB112_111:                            ;   in Loop: Header=BB112_112 Depth=1
	v_add_nc_u64_e32 v[0:1], 0x400, v[0:1]
	s_wait_dscnt 0x1
	s_delay_alu instid0(VALU_DEP_2)
	v_lshl_add_u64 v[4:5], v[6:7], 3, s[36:37]
	s_wait_dscnt 0x0
	global_store_b64 v[4:5], v[2:3], off
	v_cmp_le_i64_e32 vcc_lo, s[4:5], v[0:1]
	s_or_b32 s12, vcc_lo, s12
	s_wait_xcnt 0x0
	s_and_not1_b32 exec_lo, exec_lo, s12
	s_cbranch_execz .LBB112_119
.LBB112_112:                            ; =>This Loop Header: Depth=1
                                        ;     Child Loop BB112_114 Depth 2
                                        ;     Child Loop BB112_118 Depth 2
	v_lshl_add_u32 v2, v0, 3, 0
	v_mov_b64_e32 v[6:7], s[0:1]
	s_and_not1_b32 vcc_lo, exec_lo, s10
	s_mov_b64 s[8:9], 0
	s_delay_alu instid0(VALU_DEP_2)
	v_add_nc_u32_e32 v3, 0x10000, v2
	ds_load_b64 v[4:5], v2
	ds_load_b64 v[2:3], v3
	s_cbranch_vccnz .LBB112_116
; %bb.113:                              ;   in Loop: Header=BB112_112 Depth=1
	v_mov_b64_e32 v[6:7], s[0:1]
	s_mov_b32 s13, 0
.LBB112_114:                            ;   Parent Loop BB112_112 Depth=1
                                        ; =>  This Inner Loop Header: Depth=2
	s_delay_alu instid0(SALU_CYCLE_1)
	v_dual_mov_b32 v20, s13 :: v_dual_mov_b32 v17, s39
	v_mov_b32_e32 v19, s39
	s_add_nc_u64 s[8:9], s[8:9], 8
	s_add_co_i32 s13, s13, 64
	ds_load_2addr_b64 v[8:11], v20 offset1:1
	ds_load_2addr_b64 v[12:15], v20 offset0:2 offset1:3
	s_cmp_eq_u64 s[2:3], s[8:9]
	s_wait_dscnt 0x1
	v_cmp_gt_i64_e32 vcc_lo, v[4:5], v[8:9]
	v_cndmask_b32_e64 v16, 0, 1, vcc_lo
	v_cmp_gt_i64_e32 vcc_lo, v[4:5], v[10:11]
	s_delay_alu instid0(VALU_DEP_2) | instskip(SKIP_4) | instid1(VALU_DEP_2)
	v_add_nc_u64_e32 v[10:11], v[6:7], v[16:17]
	ds_load_2addr_b64 v[6:9], v20 offset0:4 offset1:5
	v_cndmask_b32_e64 v18, 0, 1, vcc_lo
	s_wait_dscnt 0x1
	v_cmp_gt_i64_e32 vcc_lo, v[4:5], v[12:13]
	v_add_nc_u64_e32 v[10:11], v[10:11], v[18:19]
	v_cndmask_b32_e64 v16, 0, 1, vcc_lo
	v_cmp_gt_i64_e32 vcc_lo, v[4:5], v[14:15]
	s_delay_alu instid0(VALU_DEP_2)
	v_add_nc_u64_e32 v[14:15], v[10:11], v[16:17]
	ds_load_2addr_b64 v[10:13], v20 offset0:6 offset1:7
	v_cndmask_b32_e64 v18, 0, 1, vcc_lo
	s_wait_dscnt 0x1
	v_cmp_gt_i64_e32 vcc_lo, v[4:5], v[6:7]
	v_mov_b32_e32 v7, s39
	s_delay_alu instid0(VALU_DEP_3) | instskip(SKIP_3) | instid1(VALU_DEP_3)
	v_add_nc_u64_e32 v[14:15], v[14:15], v[18:19]
	v_cndmask_b32_e64 v16, 0, 1, vcc_lo
	v_cmp_gt_i64_e32 vcc_lo, v[4:5], v[8:9]
	v_mov_b32_e32 v9, s39
	v_add_nc_u64_e32 v[14:15], v[14:15], v[16:17]
	v_cndmask_b32_e64 v6, 0, 1, vcc_lo
	s_wait_dscnt 0x0
	v_cmp_gt_i64_e32 vcc_lo, v[4:5], v[10:11]
	v_mov_b32_e32 v11, s39
	s_delay_alu instid0(VALU_DEP_3) | instskip(SKIP_2) | instid1(VALU_DEP_2)
	v_add_nc_u64_e32 v[6:7], v[14:15], v[6:7]
	v_cndmask_b32_e64 v8, 0, 1, vcc_lo
	v_cmp_gt_i64_e32 vcc_lo, v[4:5], v[12:13]
	v_add_nc_u64_e32 v[6:7], v[6:7], v[8:9]
	v_cndmask_b32_e64 v10, 0, 1, vcc_lo
	s_delay_alu instid0(VALU_DEP_1)
	v_add_nc_u64_e32 v[6:7], v[6:7], v[10:11]
	s_cbranch_scc0 .LBB112_114
; %bb.115:                              ;   in Loop: Header=BB112_112 Depth=1
	s_mov_b64 s[8:9], s[2:3]
.LBB112_116:                            ;   in Loop: Header=BB112_112 Depth=1
	s_and_not1_b32 vcc_lo, exec_lo, s11
	s_cbranch_vccnz .LBB112_111
; %bb.117:                              ;   in Loop: Header=BB112_112 Depth=1
	s_lshl_b32 s8, s8, 3
	s_delay_alu instid0(SALU_CYCLE_1)
	s_add_co_i32 s13, s8, 0
	s_mov_b64 s[8:9], s[6:7]
.LBB112_118:                            ;   Parent Loop BB112_112 Depth=1
                                        ; =>  This Inner Loop Header: Depth=2
	v_dual_mov_b32 v8, s13 :: v_dual_mov_b32 v11, s39
	s_add_nc_u64 s[8:9], s[8:9], -1
	s_add_co_i32 s13, s13, 8
	s_cmp_lg_u64 s[8:9], 0
	ds_load_b64 v[8:9], v8
	s_wait_dscnt 0x0
	v_cmp_gt_i64_e32 vcc_lo, v[4:5], v[8:9]
	v_cndmask_b32_e64 v10, 0, 1, vcc_lo
	s_delay_alu instid0(VALU_DEP_1)
	v_add_nc_u64_e32 v[6:7], v[6:7], v[10:11]
	s_cbranch_scc1 .LBB112_118
	s_branch .LBB112_111
.LBB112_119:
	s_endpgm
	.section	.rodata,"a",@progbits
	.p2align	6, 0x0
	.amdhsa_kernel _ZN9rocsparseL41csrgemm_numeric_fill_block_per_row_kernelILj1024ELj64ELj8192ELj137ELj32ElldEEvT5_PKS1_S3_NS_24const_host_device_scalarIT6_EEPKT4_S3_PKS5_S9_S3_SB_S6_S9_S3_SB_S9_S3_PS5_21rocsparse_index_base_SD_SD_SD_bbb
		.amdhsa_group_segment_fixed_size 0
		.amdhsa_private_segment_fixed_size 0
		.amdhsa_kernarg_size 156
		.amdhsa_user_sgpr_count 2
		.amdhsa_user_sgpr_dispatch_ptr 0
		.amdhsa_user_sgpr_queue_ptr 0
		.amdhsa_user_sgpr_kernarg_segment_ptr 1
		.amdhsa_user_sgpr_dispatch_id 0
		.amdhsa_user_sgpr_kernarg_preload_length 0
		.amdhsa_user_sgpr_kernarg_preload_offset 0
		.amdhsa_user_sgpr_private_segment_size 0
		.amdhsa_wavefront_size32 1
		.amdhsa_uses_dynamic_stack 0
		.amdhsa_enable_private_segment 0
		.amdhsa_system_sgpr_workgroup_id_x 1
		.amdhsa_system_sgpr_workgroup_id_y 0
		.amdhsa_system_sgpr_workgroup_id_z 0
		.amdhsa_system_sgpr_workgroup_info 0
		.amdhsa_system_vgpr_workitem_id 0
		.amdhsa_next_free_vgpr 27
		.amdhsa_next_free_sgpr 76
		.amdhsa_named_barrier_count 0
		.amdhsa_reserve_vcc 1
		.amdhsa_float_round_mode_32 0
		.amdhsa_float_round_mode_16_64 0
		.amdhsa_float_denorm_mode_32 3
		.amdhsa_float_denorm_mode_16_64 3
		.amdhsa_fp16_overflow 0
		.amdhsa_memory_ordered 1
		.amdhsa_forward_progress 1
		.amdhsa_inst_pref_size 37
		.amdhsa_round_robin_scheduling 0
		.amdhsa_exception_fp_ieee_invalid_op 0
		.amdhsa_exception_fp_denorm_src 0
		.amdhsa_exception_fp_ieee_div_zero 0
		.amdhsa_exception_fp_ieee_overflow 0
		.amdhsa_exception_fp_ieee_underflow 0
		.amdhsa_exception_fp_ieee_inexact 0
		.amdhsa_exception_int_div_zero 0
	.end_amdhsa_kernel
	.section	.text._ZN9rocsparseL41csrgemm_numeric_fill_block_per_row_kernelILj1024ELj64ELj8192ELj137ELj32ElldEEvT5_PKS1_S3_NS_24const_host_device_scalarIT6_EEPKT4_S3_PKS5_S9_S3_SB_S6_S9_S3_SB_S9_S3_PS5_21rocsparse_index_base_SD_SD_SD_bbb,"axG",@progbits,_ZN9rocsparseL41csrgemm_numeric_fill_block_per_row_kernelILj1024ELj64ELj8192ELj137ELj32ElldEEvT5_PKS1_S3_NS_24const_host_device_scalarIT6_EEPKT4_S3_PKS5_S9_S3_SB_S6_S9_S3_SB_S9_S3_PS5_21rocsparse_index_base_SD_SD_SD_bbb,comdat
.Lfunc_end112:
	.size	_ZN9rocsparseL41csrgemm_numeric_fill_block_per_row_kernelILj1024ELj64ELj8192ELj137ELj32ElldEEvT5_PKS1_S3_NS_24const_host_device_scalarIT6_EEPKT4_S3_PKS5_S9_S3_SB_S6_S9_S3_SB_S9_S3_PS5_21rocsparse_index_base_SD_SD_SD_bbb, .Lfunc_end112-_ZN9rocsparseL41csrgemm_numeric_fill_block_per_row_kernelILj1024ELj64ELj8192ELj137ELj32ElldEEvT5_PKS1_S3_NS_24const_host_device_scalarIT6_EEPKT4_S3_PKS5_S9_S3_SB_S6_S9_S3_SB_S9_S3_PS5_21rocsparse_index_base_SD_SD_SD_bbb
                                        ; -- End function
	.set _ZN9rocsparseL41csrgemm_numeric_fill_block_per_row_kernelILj1024ELj64ELj8192ELj137ELj32ElldEEvT5_PKS1_S3_NS_24const_host_device_scalarIT6_EEPKT4_S3_PKS5_S9_S3_SB_S6_S9_S3_SB_S9_S3_PS5_21rocsparse_index_base_SD_SD_SD_bbb.num_vgpr, 27
	.set _ZN9rocsparseL41csrgemm_numeric_fill_block_per_row_kernelILj1024ELj64ELj8192ELj137ELj32ElldEEvT5_PKS1_S3_NS_24const_host_device_scalarIT6_EEPKT4_S3_PKS5_S9_S3_SB_S6_S9_S3_SB_S9_S3_PS5_21rocsparse_index_base_SD_SD_SD_bbb.num_agpr, 0
	.set _ZN9rocsparseL41csrgemm_numeric_fill_block_per_row_kernelILj1024ELj64ELj8192ELj137ELj32ElldEEvT5_PKS1_S3_NS_24const_host_device_scalarIT6_EEPKT4_S3_PKS5_S9_S3_SB_S6_S9_S3_SB_S9_S3_PS5_21rocsparse_index_base_SD_SD_SD_bbb.numbered_sgpr, 76
	.set _ZN9rocsparseL41csrgemm_numeric_fill_block_per_row_kernelILj1024ELj64ELj8192ELj137ELj32ElldEEvT5_PKS1_S3_NS_24const_host_device_scalarIT6_EEPKT4_S3_PKS5_S9_S3_SB_S6_S9_S3_SB_S9_S3_PS5_21rocsparse_index_base_SD_SD_SD_bbb.num_named_barrier, 0
	.set _ZN9rocsparseL41csrgemm_numeric_fill_block_per_row_kernelILj1024ELj64ELj8192ELj137ELj32ElldEEvT5_PKS1_S3_NS_24const_host_device_scalarIT6_EEPKT4_S3_PKS5_S9_S3_SB_S6_S9_S3_SB_S9_S3_PS5_21rocsparse_index_base_SD_SD_SD_bbb.private_seg_size, 0
	.set _ZN9rocsparseL41csrgemm_numeric_fill_block_per_row_kernelILj1024ELj64ELj8192ELj137ELj32ElldEEvT5_PKS1_S3_NS_24const_host_device_scalarIT6_EEPKT4_S3_PKS5_S9_S3_SB_S6_S9_S3_SB_S9_S3_PS5_21rocsparse_index_base_SD_SD_SD_bbb.uses_vcc, 1
	.set _ZN9rocsparseL41csrgemm_numeric_fill_block_per_row_kernelILj1024ELj64ELj8192ELj137ELj32ElldEEvT5_PKS1_S3_NS_24const_host_device_scalarIT6_EEPKT4_S3_PKS5_S9_S3_SB_S6_S9_S3_SB_S9_S3_PS5_21rocsparse_index_base_SD_SD_SD_bbb.uses_flat_scratch, 0
	.set _ZN9rocsparseL41csrgemm_numeric_fill_block_per_row_kernelILj1024ELj64ELj8192ELj137ELj32ElldEEvT5_PKS1_S3_NS_24const_host_device_scalarIT6_EEPKT4_S3_PKS5_S9_S3_SB_S6_S9_S3_SB_S9_S3_PS5_21rocsparse_index_base_SD_SD_SD_bbb.has_dyn_sized_stack, 0
	.set _ZN9rocsparseL41csrgemm_numeric_fill_block_per_row_kernelILj1024ELj64ELj8192ELj137ELj32ElldEEvT5_PKS1_S3_NS_24const_host_device_scalarIT6_EEPKT4_S3_PKS5_S9_S3_SB_S6_S9_S3_SB_S9_S3_PS5_21rocsparse_index_base_SD_SD_SD_bbb.has_recursion, 0
	.set _ZN9rocsparseL41csrgemm_numeric_fill_block_per_row_kernelILj1024ELj64ELj8192ELj137ELj32ElldEEvT5_PKS1_S3_NS_24const_host_device_scalarIT6_EEPKT4_S3_PKS5_S9_S3_SB_S6_S9_S3_SB_S9_S3_PS5_21rocsparse_index_base_SD_SD_SD_bbb.has_indirect_call, 0
	.section	.AMDGPU.csdata,"",@progbits
; Kernel info:
; codeLenInByte = 4612
; TotalNumSgprs: 78
; NumVgprs: 27
; ScratchSize: 0
; MemoryBound: 0
; FloatMode: 240
; IeeeMode: 1
; LDSByteSize: 0 bytes/workgroup (compile time only)
; SGPRBlocks: 0
; VGPRBlocks: 1
; NumSGPRsForWavesPerEU: 78
; NumVGPRsForWavesPerEU: 27
; NamedBarCnt: 0
; Occupancy: 16
; WaveLimiterHint : 1
; COMPUTE_PGM_RSRC2:SCRATCH_EN: 0
; COMPUTE_PGM_RSRC2:USER_SGPR: 2
; COMPUTE_PGM_RSRC2:TRAP_HANDLER: 0
; COMPUTE_PGM_RSRC2:TGID_X_EN: 1
; COMPUTE_PGM_RSRC2:TGID_Y_EN: 0
; COMPUTE_PGM_RSRC2:TGID_Z_EN: 0
; COMPUTE_PGM_RSRC2:TIDIG_COMP_CNT: 0
	.section	.text._ZN9rocsparseL41csrgemm_numeric_fill_block_per_row_kernelILj1024ELj64ELj8192ELj137ELj64ElldEEvT5_PKS1_S3_NS_24const_host_device_scalarIT6_EEPKT4_S3_PKS5_S9_S3_SB_S6_S9_S3_SB_S9_S3_PS5_21rocsparse_index_base_SD_SD_SD_bbb,"axG",@progbits,_ZN9rocsparseL41csrgemm_numeric_fill_block_per_row_kernelILj1024ELj64ELj8192ELj137ELj64ElldEEvT5_PKS1_S3_NS_24const_host_device_scalarIT6_EEPKT4_S3_PKS5_S9_S3_SB_S6_S9_S3_SB_S9_S3_PS5_21rocsparse_index_base_SD_SD_SD_bbb,comdat
	.globl	_ZN9rocsparseL41csrgemm_numeric_fill_block_per_row_kernelILj1024ELj64ELj8192ELj137ELj64ElldEEvT5_PKS1_S3_NS_24const_host_device_scalarIT6_EEPKT4_S3_PKS5_S9_S3_SB_S6_S9_S3_SB_S9_S3_PS5_21rocsparse_index_base_SD_SD_SD_bbb ; -- Begin function _ZN9rocsparseL41csrgemm_numeric_fill_block_per_row_kernelILj1024ELj64ELj8192ELj137ELj64ElldEEvT5_PKS1_S3_NS_24const_host_device_scalarIT6_EEPKT4_S3_PKS5_S9_S3_SB_S6_S9_S3_SB_S9_S3_PS5_21rocsparse_index_base_SD_SD_SD_bbb
	.p2align	8
	.type	_ZN9rocsparseL41csrgemm_numeric_fill_block_per_row_kernelILj1024ELj64ELj8192ELj137ELj64ElldEEvT5_PKS1_S3_NS_24const_host_device_scalarIT6_EEPKT4_S3_PKS5_S9_S3_SB_S6_S9_S3_SB_S9_S3_PS5_21rocsparse_index_base_SD_SD_SD_bbb,@function
_ZN9rocsparseL41csrgemm_numeric_fill_block_per_row_kernelILj1024ELj64ELj8192ELj137ELj64ElldEEvT5_PKS1_S3_NS_24const_host_device_scalarIT6_EEPKT4_S3_PKS5_S9_S3_SB_S6_S9_S3_SB_S9_S3_PS5_21rocsparse_index_base_SD_SD_SD_bbb: ; @_ZN9rocsparseL41csrgemm_numeric_fill_block_per_row_kernelILj1024ELj64ELj8192ELj137ELj64ElldEEvT5_PKS1_S3_NS_24const_host_device_scalarIT6_EEPKT4_S3_PKS5_S9_S3_SB_S6_S9_S3_SB_S9_S3_PS5_21rocsparse_index_base_SD_SD_SD_bbb
; %bb.0:
	s_clause 0x4
	s_load_b32 s9, s[0:1], 0x98
	s_load_b64 s[4:5], s[0:1], 0x18
	s_load_b128 s[16:19], s[0:1], 0x88
	s_load_b64 s[2:3], s[0:1], 0x8
	s_load_b64 s[6:7], s[0:1], 0x50
	s_wait_kmcnt 0x0
	s_bitcmp1_b32 s9, 0
	s_cselect_b32 s8, -1, 0
	s_bitcmp1_b32 s9, 16
	s_cselect_b32 s10, -1, 0
	s_xor_b32 s11, s8, -1
	s_delay_alu instid0(SALU_CYCLE_1)
	s_or_b32 s11, s10, s11
	s_and_b32 s12, s8, exec_lo
	s_cselect_b32 s13, s5, 0
	s_cselect_b32 s12, s4, 0
	s_and_b32 vcc_lo, exec_lo, s11
	v_mov_b64_e32 v[6:7], s[12:13]
	s_cbranch_vccnz .LBB113_2
; %bb.1:
	v_mov_b32_e32 v1, 0
	flat_load_b64 v[6:7], v1, s[4:5]
.LBB113_2:
	s_wait_xcnt 0x0
	s_load_b64 s[4:5], s[0:1], 0x10
	s_bitcmp1_b32 s9, 8
	s_cselect_b32 s26, -1, 0
	s_delay_alu instid0(SALU_CYCLE_1) | instskip(NEXT) | instid1(SALU_CYCLE_1)
	s_xor_b32 s9, s26, -1
	s_or_b32 s9, s10, s9
	s_and_b32 s10, s26, exec_lo
	s_cselect_b32 s11, s7, 0
	s_cselect_b32 s10, s6, 0
	s_and_b32 vcc_lo, exec_lo, s9
	v_mov_b64_e32 v[2:3], s[10:11]
	s_cbranch_vccnz .LBB113_4
; %bb.3:
	v_mov_b32_e32 v1, 0
	flat_load_b64 v[2:3], v1, s[6:7]
.LBB113_4:
	s_load_b64 s[20:21], s[0:1], 0x0
	v_lshl_add_u32 v28, v0, 3, 0
	v_mov_b64_e32 v[4:5], 0
	s_bfe_u32 s6, ttmp6, 0x4000c
	s_and_b32 s7, ttmp6, 15
	s_add_co_i32 s6, s6, 1
	v_add_nc_u32_e32 v1, 0x10000, v28
	s_mul_i32 s6, ttmp9, s6
	s_getreg_b32 s9, hwreg(HW_REG_IB_STS2, 6, 4)
	s_add_co_i32 s7, s7, s6
	ds_store_2addr_stride64_b64 v1, v[4:5], v[4:5] offset1:16
	ds_store_2addr_stride64_b64 v1, v[4:5], v[4:5] offset0:32 offset1:48
	ds_store_2addr_stride64_b64 v1, v[4:5], v[4:5] offset0:64 offset1:80
	s_wait_kmcnt 0x0
	v_mov_b64_e32 v[8:9], s[20:21]
	v_mov_b64_e32 v[10:11], s[20:21]
	v_mov_b64_e32 v[12:13], s[20:21]
	v_mov_b64_e32 v[14:15], s[20:21]
	v_mov_b64_e32 v[16:17], s[20:21]
	v_mov_b64_e32 v[18:19], s[20:21]
	v_mov_b64_e32 v[20:21], s[20:21]
	v_mov_b64_e32 v[22:23], s[20:21]
	ds_store_2addr_stride64_b64 v1, v[4:5], v[4:5] offset0:96 offset1:112
	ds_store_2addr_stride64_b64 v28, v[8:9], v[10:11] offset1:16
	ds_store_2addr_stride64_b64 v28, v[12:13], v[14:15] offset0:32 offset1:48
	ds_store_2addr_stride64_b64 v28, v[16:17], v[18:19] offset0:64 offset1:80
	ds_store_2addr_stride64_b64 v28, v[20:21], v[22:23] offset0:96 offset1:112
	s_wait_loadcnt_dscnt 0x0
	s_barrier_signal -1
	s_barrier_wait -1
	s_load_b64 s[2:3], s[2:3], 0x0
	v_lshrrev_b32_e32 v4, 6, v0
	s_wait_kmcnt 0x0
	s_lshl_b64 s[2:3], s[2:3], 3
	s_cmp_eq_u32 s9, 0
	s_add_nc_u64 s[2:3], s[4:5], s[2:3]
	s_cselect_b32 s4, ttmp9, s7
	s_and_not1_b32 vcc_lo, exec_lo, s8
	s_load_b64 s[22:23], s[2:3], s4 offset:0x0 scale_offset
	s_wait_xcnt 0x0
	s_mov_b32 s3, 0
	s_cbranch_vccnz .LBB113_24
; %bb.5:
	s_load_b64 s[4:5], s[0:1], 0x20
	s_wait_kmcnt 0x0
	s_lshl_b64 s[6:7], s[22:23], 3
	v_mov_b32_e32 v5, 0
	s_mov_b32 s2, s16
	s_mov_b32 s16, exec_lo
	s_delay_alu instid0(VALU_DEP_1) | instskip(SKIP_3) | instid1(VALU_DEP_1)
	v_sub_nc_u64_e64 v[8:9], v[4:5], s[2:3]
	s_add_nc_u64 s[8:9], s[4:5], s[6:7]
	s_load_b128 s[4:7], s[8:9], 0x0
	s_wait_kmcnt 0x0
	v_add_nc_u64_e32 v[8:9], s[4:5], v[8:9]
	s_sub_nc_u64 s[12:13], s[6:7], s[2:3]
	s_delay_alu instid0(VALU_DEP_1) | instid1(SALU_CYCLE_1)
	v_cmpx_gt_i64_e64 s[12:13], v[8:9]
	s_cbranch_execz .LBB113_23
; %bb.6:
	s_clause 0x1
	s_load_b64 s[14:15], s[0:1], 0x48
	s_load_b256 s[4:11], s[0:1], 0x28
	v_dual_mov_b32 v11, v5 :: v_dual_bitop2_b32 v10, 63, v0 bitop3:0x40
	s_mov_b32 s25, 0
	s_mov_b32 s24, s17
	;; [unrolled: 1-line block ×3, first 2 shown]
	s_delay_alu instid0(VALU_DEP_1)
	v_sub_nc_u64_e64 v[10:11], v[10:11], s[24:25]
	s_branch .LBB113_8
.LBB113_7:                              ;   in Loop: Header=BB113_8 Depth=1
	s_or_b32 exec_lo, exec_lo, s27
	v_add_nc_u64_e32 v[8:9], 16, v[8:9]
	s_delay_alu instid0(VALU_DEP_1) | instskip(SKIP_1) | instid1(SALU_CYCLE_1)
	v_cmp_le_i64_e32 vcc_lo, s[12:13], v[8:9]
	s_or_b32 s17, vcc_lo, s17
	s_and_not1_b32 exec_lo, exec_lo, s17
	s_cbranch_execz .LBB113_23
.LBB113_8:                              ; =>This Loop Header: Depth=1
                                        ;     Child Loop BB113_12 Depth 2
                                        ;       Child Loop BB113_15 Depth 3
	s_wait_kmcnt 0x0
	v_lshl_add_u64 v[12:13], v[8:9], 3, s[4:5]
	s_mov_b32 s27, exec_lo
	global_load_b64 v[12:13], v[12:13], off
	s_wait_loadcnt 0x0
	s_wait_xcnt 0x0
	v_sub_nc_u64_e64 v[12:13], v[12:13], s[2:3]
	s_delay_alu instid0(VALU_DEP_1)
	v_lshl_add_u64 v[12:13], v[12:13], 3, s[8:9]
	global_load_b128 v[14:17], v[12:13], off
	s_wait_loadcnt 0x0
	s_wait_xcnt 0x0
	v_sub_nc_u64_e64 v[12:13], v[16:17], s[24:25]
	v_add_nc_u64_e32 v[14:15], v[14:15], v[10:11]
	s_delay_alu instid0(VALU_DEP_1)
	v_cmpx_lt_i64_e64 v[14:15], v[12:13]
	s_cbranch_execz .LBB113_7
; %bb.9:                                ;   in Loop: Header=BB113_8 Depth=1
	v_lshl_add_u64 v[16:17], v[8:9], 3, s[6:7]
	s_mov_b32 s28, 0
	global_load_b64 v[16:17], v[16:17], off
	s_wait_loadcnt 0x0
	s_wait_xcnt 0x0
	v_mul_f64_e32 v[16:17], v[6:7], v[16:17]
	s_branch .LBB113_12
.LBB113_10:                             ;   in Loop: Header=BB113_12 Depth=2
	s_or_b32 exec_lo, exec_lo, s30
.LBB113_11:                             ;   in Loop: Header=BB113_12 Depth=2
	s_delay_alu instid0(SALU_CYCLE_1) | instskip(SKIP_3) | instid1(VALU_DEP_2)
	s_or_b32 exec_lo, exec_lo, s29
	s_wait_loadcnt 0x0
	v_dual_mul_f64 v[18:19], v[16:17], v[18:19] :: v_dual_lshlrev_b32 v1, 3, v20
	v_add_nc_u64_e32 v[14:15], 64, v[14:15]
	v_add3_u32 v1, 0, v1, 0x10000
	s_delay_alu instid0(VALU_DEP_2)
	v_cmp_ge_i64_e32 vcc_lo, v[14:15], v[12:13]
	s_or_b32 s28, vcc_lo, s28
	ds_add_f64 v1, v[18:19]
	s_and_not1_b32 exec_lo, exec_lo, s28
	s_cbranch_execz .LBB113_7
.LBB113_12:                             ;   Parent Loop BB113_8 Depth=1
                                        ; =>  This Loop Header: Depth=2
                                        ;       Child Loop BB113_15 Depth 3
	v_lshlrev_b64_e32 v[18:19], 3, v[14:15]
	s_mov_b32 s29, exec_lo
	s_delay_alu instid0(VALU_DEP_1)
	v_add_nc_u64_e32 v[20:21], s[10:11], v[18:19]
	v_add_nc_u64_e32 v[18:19], s[14:15], v[18:19]
	global_load_b64 v[20:21], v[20:21], off
	global_load_b64 v[18:19], v[18:19], off
	s_wait_loadcnt 0x1
	v_sub_nc_u64_e64 v[22:23], v[20:21], s[24:25]
	s_delay_alu instid0(VALU_DEP_1) | instskip(SKIP_1) | instid1(VALU_DEP_1)
	v_mul_lo_u32 v1, 0x89, v22
	s_wait_xcnt 0x1
	v_and_b32_e32 v20, 0x1fff, v1
	s_delay_alu instid0(VALU_DEP_1)
	v_lshl_add_u32 v1, v20, 3, 0
	ds_load_b64 v[26:27], v1
	s_wait_dscnt 0x0
	s_wait_xcnt 0x0
	v_cmpx_ne_u64_e64 v[26:27], v[22:23]
	s_cbranch_execz .LBB113_11
; %bb.13:                               ;   in Loop: Header=BB113_12 Depth=2
	s_mov_b32 s30, 0
                                        ; implicit-def: $sgpr31
                                        ; implicit-def: $sgpr33
	s_branch .LBB113_15
.LBB113_14:                             ;   in Loop: Header=BB113_15 Depth=3
	s_or_b32 exec_lo, exec_lo, s36
	s_delay_alu instid0(SALU_CYCLE_1) | instskip(NEXT) | instid1(SALU_CYCLE_1)
	s_and_b32 s34, exec_lo, s35
	s_or_b32 s30, s34, s30
	s_and_not1_b32 s31, s31, exec_lo
	s_and_b32 s34, s33, exec_lo
	s_delay_alu instid0(SALU_CYCLE_1)
	s_or_b32 s31, s31, s34
	s_and_not1_b32 exec_lo, exec_lo, s30
	s_cbranch_execz .LBB113_21
.LBB113_15:                             ;   Parent Loop BB113_8 Depth=1
                                        ;     Parent Loop BB113_12 Depth=2
                                        ; =>    This Inner Loop Header: Depth=3
	v_mov_b64_e32 v[24:25], v[20:21]
	s_mov_b32 s34, 0
	s_mov_b32 s35, exec_lo
                                        ; implicit-def: $vgpr20_vgpr21
	v_cmpx_ne_u64_e64 s[20:21], v[26:27]
	s_xor_b32 s35, exec_lo, s35
; %bb.16:                               ;   in Loop: Header=BB113_15 Depth=3
	s_delay_alu instid0(VALU_DEP_2) | instskip(SKIP_1) | instid1(VALU_DEP_1)
	v_add_nc_u32_e32 v1, 1, v24
	s_mov_b32 s34, exec_lo
	v_and_b32_e32 v20, 0x1fff, v1
                                        ; implicit-def: $vgpr1
; %bb.17:                               ;   in Loop: Header=BB113_15 Depth=3
	s_and_not1_saveexec_b32 s35, s35
	s_cbranch_execz .LBB113_19
; %bb.18:                               ;   in Loop: Header=BB113_15 Depth=3
	v_mov_b64_e32 v[20:21], s[20:21]
	s_and_not1_b32 s34, s34, exec_lo
	ds_cmpstore_rtn_b64 v[20:21], v1, v[22:23], v[20:21]
	s_wait_dscnt 0x0
	v_cmp_ne_u64_e32 vcc_lo, s[20:21], v[20:21]
	v_mov_b64_e32 v[20:21], v[24:25]
	s_and_b32 s36, vcc_lo, exec_lo
	s_delay_alu instid0(SALU_CYCLE_1)
	s_or_b32 s34, s34, s36
.LBB113_19:                             ;   in Loop: Header=BB113_15 Depth=3
	s_or_b32 exec_lo, exec_lo, s35
	s_mov_b32 s35, -1
	s_or_b32 s33, s33, exec_lo
                                        ; implicit-def: $vgpr1
                                        ; implicit-def: $vgpr26_vgpr27
	s_and_saveexec_b32 s36, s34
	s_cbranch_execz .LBB113_14
; %bb.20:                               ;   in Loop: Header=BB113_15 Depth=3
	v_lshl_add_u32 v1, v20, 3, 0
	s_and_not1_b32 s33, s33, exec_lo
	ds_load_b64 v[26:27], v1
	s_wait_dscnt 0x0
	v_cmp_eq_u64_e32 vcc_lo, v[26:27], v[22:23]
	s_or_not1_b32 s35, vcc_lo, exec_lo
	s_branch .LBB113_14
.LBB113_21:                             ;   in Loop: Header=BB113_12 Depth=2
	s_or_b32 exec_lo, exec_lo, s30
	s_and_saveexec_b32 s30, s31
	s_delay_alu instid0(SALU_CYCLE_1)
	s_xor_b32 s30, exec_lo, s30
	s_cbranch_execz .LBB113_10
; %bb.22:                               ;   in Loop: Header=BB113_12 Depth=2
	v_mov_b32_e32 v20, v24
	s_branch .LBB113_10
.LBB113_23:
	s_or_b32 exec_lo, exec_lo, s16
.LBB113_24:
	s_delay_alu instid0(SALU_CYCLE_1)
	s_and_not1_b32 vcc_lo, exec_lo, s26
	s_cbranch_vccnz .LBB113_41
; %bb.25:
	s_load_b64 s[2:3], s[0:1], 0x58
	s_wait_kmcnt 0x0
	s_lshl_b64 s[4:5], s[22:23], 3
	v_mov_b32_e32 v1, 0
	s_mov_b32 s10, exec_lo
	s_add_nc_u64 s[2:3], s[2:3], s[4:5]
	s_load_b128 s[4:7], s[2:3], 0x0
	s_wait_xcnt 0x0
	s_mov_b32 s3, 0
	s_mov_b32 s2, s19
	s_delay_alu instid0(SALU_CYCLE_1) | instskip(SKIP_1) | instid1(VALU_DEP_1)
	v_sub_nc_u64_e64 v[6:7], v[0:1], s[2:3]
	s_wait_kmcnt 0x0
	v_add_nc_u64_e32 v[6:7], s[4:5], v[6:7]
	s_sub_nc_u64 s[8:9], s[6:7], s[2:3]
	s_delay_alu instid0(VALU_DEP_1) | instid1(SALU_CYCLE_1)
	v_cmpx_gt_i64_e64 s[8:9], v[6:7]
	s_cbranch_execz .LBB113_40
; %bb.26:
	s_load_b128 s[4:7], s[0:1], 0x60
	s_mov_b32 s11, s3
	s_branch .LBB113_29
.LBB113_27:                             ;   in Loop: Header=BB113_29 Depth=1
	s_or_b32 exec_lo, exec_lo, s13
.LBB113_28:                             ;   in Loop: Header=BB113_29 Depth=1
	s_delay_alu instid0(SALU_CYCLE_1) | instskip(SKIP_3) | instid1(VALU_DEP_2)
	s_or_b32 exec_lo, exec_lo, s12
	s_wait_loadcnt 0x0
	v_dual_mul_f64 v[8:9], v[2:3], v[8:9] :: v_dual_lshlrev_b32 v1, 3, v10
	v_add_nc_u64_e32 v[6:7], 0x400, v[6:7]
	v_add3_u32 v1, 0, v1, 0x10000
	s_delay_alu instid0(VALU_DEP_2)
	v_cmp_le_i64_e32 vcc_lo, s[8:9], v[6:7]
	s_or_b32 s11, vcc_lo, s11
	ds_add_f64 v1, v[8:9]
	s_and_not1_b32 exec_lo, exec_lo, s11
	s_cbranch_execz .LBB113_40
.LBB113_29:                             ; =>This Loop Header: Depth=1
                                        ;     Child Loop BB113_32 Depth 2
	v_lshlrev_b64_e32 v[8:9], 3, v[6:7]
	s_mov_b32 s12, exec_lo
	s_wait_kmcnt 0x0
	s_delay_alu instid0(VALU_DEP_1)
	v_add_nc_u64_e32 v[10:11], s[4:5], v[8:9]
	v_add_nc_u64_e32 v[8:9], s[6:7], v[8:9]
	global_load_b64 v[10:11], v[10:11], off
	global_load_b64 v[8:9], v[8:9], off
	s_wait_loadcnt 0x1
	v_sub_nc_u64_e64 v[12:13], v[10:11], s[2:3]
	s_delay_alu instid0(VALU_DEP_1) | instskip(NEXT) | instid1(VALU_DEP_1)
	v_mul_lo_u32 v1, 0x89, v12
	v_and_b32_e32 v10, 0x1fff, v1
	s_delay_alu instid0(VALU_DEP_1)
	v_lshl_add_u32 v1, v10, 3, 0
	ds_load_b64 v[16:17], v1
	s_wait_dscnt 0x0
	s_wait_xcnt 0x0
	v_cmpx_ne_u64_e64 v[16:17], v[12:13]
	s_cbranch_execz .LBB113_28
; %bb.30:                               ;   in Loop: Header=BB113_29 Depth=1
	s_mov_b32 s13, 0
                                        ; implicit-def: $sgpr14
                                        ; implicit-def: $sgpr15
	s_branch .LBB113_32
.LBB113_31:                             ;   in Loop: Header=BB113_32 Depth=2
	s_or_b32 exec_lo, exec_lo, s19
	s_delay_alu instid0(SALU_CYCLE_1) | instskip(NEXT) | instid1(SALU_CYCLE_1)
	s_and_b32 s16, exec_lo, s17
	s_or_b32 s13, s16, s13
	s_and_not1_b32 s14, s14, exec_lo
	s_and_b32 s16, s15, exec_lo
	s_delay_alu instid0(SALU_CYCLE_1)
	s_or_b32 s14, s14, s16
	s_and_not1_b32 exec_lo, exec_lo, s13
	s_cbranch_execz .LBB113_38
.LBB113_32:                             ;   Parent Loop BB113_29 Depth=1
                                        ; =>  This Inner Loop Header: Depth=2
	v_mov_b64_e32 v[14:15], v[10:11]
	s_mov_b32 s16, 0
	s_mov_b32 s17, exec_lo
                                        ; implicit-def: $vgpr10_vgpr11
	v_cmpx_ne_u64_e64 s[20:21], v[16:17]
	s_xor_b32 s17, exec_lo, s17
; %bb.33:                               ;   in Loop: Header=BB113_32 Depth=2
	s_delay_alu instid0(VALU_DEP_2) | instskip(SKIP_1) | instid1(VALU_DEP_1)
	v_add_nc_u32_e32 v1, 1, v14
	s_mov_b32 s16, exec_lo
	v_and_b32_e32 v10, 0x1fff, v1
                                        ; implicit-def: $vgpr1
; %bb.34:                               ;   in Loop: Header=BB113_32 Depth=2
	s_and_not1_saveexec_b32 s17, s17
	s_cbranch_execz .LBB113_36
; %bb.35:                               ;   in Loop: Header=BB113_32 Depth=2
	v_mov_b64_e32 v[10:11], s[20:21]
	s_and_not1_b32 s16, s16, exec_lo
	ds_cmpstore_rtn_b64 v[10:11], v1, v[12:13], v[10:11]
	s_wait_dscnt 0x0
	v_cmp_ne_u64_e32 vcc_lo, s[20:21], v[10:11]
	v_mov_b64_e32 v[10:11], v[14:15]
	s_and_b32 s19, vcc_lo, exec_lo
	s_delay_alu instid0(SALU_CYCLE_1)
	s_or_b32 s16, s16, s19
.LBB113_36:                             ;   in Loop: Header=BB113_32 Depth=2
	s_or_b32 exec_lo, exec_lo, s17
	s_mov_b32 s17, -1
	s_or_b32 s15, s15, exec_lo
                                        ; implicit-def: $vgpr1
                                        ; implicit-def: $vgpr16_vgpr17
	s_and_saveexec_b32 s19, s16
	s_cbranch_execz .LBB113_31
; %bb.37:                               ;   in Loop: Header=BB113_32 Depth=2
	v_lshl_add_u32 v1, v10, 3, 0
	s_and_not1_b32 s15, s15, exec_lo
	ds_load_b64 v[16:17], v1
	s_wait_dscnt 0x0
	v_cmp_eq_u64_e32 vcc_lo, v[16:17], v[12:13]
	s_or_not1_b32 s17, vcc_lo, exec_lo
	s_branch .LBB113_31
.LBB113_38:                             ;   in Loop: Header=BB113_29 Depth=1
	s_or_b32 exec_lo, exec_lo, s13
	s_and_saveexec_b32 s13, s14
	s_delay_alu instid0(SALU_CYCLE_1)
	s_xor_b32 s13, exec_lo, s13
	s_cbranch_execz .LBB113_27
; %bb.39:                               ;   in Loop: Header=BB113_29 Depth=1
	v_mov_b32_e32 v10, v14
	s_branch .LBB113_27
.LBB113_40:
	s_or_b32 exec_lo, exec_lo, s10
.LBB113_41:
	s_clause 0x1
	s_load_b64 s[16:17], s[0:1], 0x80
	s_load_b64 s[24:25], s[0:1], 0x70
	v_mbcnt_lo_u32_b32 v1, -1, 0
	v_mov_b64_e32 v[6:7], 0
	s_add_co_i32 s38, 0, 0x20078
	s_delay_alu instid0(SALU_CYCLE_1) | instskip(NEXT) | instid1(VALU_DEP_3)
	v_dual_mov_b32 v3, 0 :: v_dual_mov_b32 v14, s38
	v_dual_lshlrev_b32 v2, 3, v4 :: v_dual_bitop2_b32 v1, 31, v1 bitop3:0x14
	s_wait_xcnt 0x0
	v_cmp_lt_u32_e64 s0, 63, v0
	v_cmp_lt_u32_e64 s1, 0x7f, v0
	;; [unrolled: 1-line block ×3, first 2 shown]
	v_lshrrev_b32_e64 v4, v1, -1
	v_add3_u32 v1, 0x20000, 0, v2
	v_cmp_lt_u32_e64 s3, 0xff, v0
	v_cmp_lt_u32_e64 s4, 0x13f, v0
	;; [unrolled: 1-line block ×12, first 2 shown]
	v_or_b32_e32 v5, 0xfffffc00, v0
	s_mov_b32 s19, 0
	s_add_co_i32 s26, 0, 0x20000
	s_add_co_i32 s27, 0, 0x20008
	;; [unrolled: 1-line block ×15, first 2 shown]
	s_wait_dscnt 0x0
	s_barrier_signal -1
	s_barrier_wait -1
	v_cmp_eq_u32_e32 vcc_lo, 0x3ff, v0
	s_branch .LBB113_43
.LBB113_42:                             ;   in Loop: Header=BB113_43 Depth=1
	s_or_b32 exec_lo, exec_lo, s15
	s_wait_dscnt 0x0
	s_barrier_signal -1
	s_barrier_wait -1
	ds_load_b64 v[8:9], v14
	v_add_nc_u32_e32 v5, 0x400, v5
	v_add_nc_u32_e32 v28, 0x2000, v28
	s_delay_alu instid0(VALU_DEP_2)
	v_cmp_lt_u32_e64 s15, 0x1bff, v5
	s_or_b32 s19, s15, s19
	s_wait_dscnt 0x0
	v_add_nc_u64_e32 v[6:7], v[8:9], v[6:7]
	s_and_not1_b32 exec_lo, exec_lo, s19
	s_cbranch_execz .LBB113_77
.LBB113_43:                             ; =>This Inner Loop Header: Depth=1
	ds_load_b64 v[8:9], v28
	v_add_nc_u32_e32 v2, 0x10000, v28
	ds_load_b64 v[10:11], v2
	s_wait_dscnt 0x0
	s_barrier_signal -1
	s_barrier_wait -1
	v_cmp_gt_i64_e64 s15, s[20:21], v[8:9]
	s_bcnt1_i32_b32 s43, s15
	s_delay_alu instid0(SALU_CYCLE_1) | instskip(NEXT) | instid1(VALU_DEP_1)
	v_dual_mov_b32 v2, s43 :: v_dual_bitop2_b32 v12, s15, v4 bitop3:0x40
	v_bcnt_u32_b32 v12, v12, 0
	ds_store_b64 v1, v[2:3]
	s_wait_dscnt 0x0
	s_barrier_signal -1
	s_barrier_wait -1
	s_and_saveexec_b32 s43, s0
	s_cbranch_execnz .LBB113_60
; %bb.44:                               ;   in Loop: Header=BB113_43 Depth=1
	s_or_b32 exec_lo, exec_lo, s43
	s_and_saveexec_b32 s43, s1
	s_cbranch_execnz .LBB113_61
.LBB113_45:                             ;   in Loop: Header=BB113_43 Depth=1
	s_or_b32 exec_lo, exec_lo, s43
	s_and_saveexec_b32 s43, s2
	s_cbranch_execnz .LBB113_62
.LBB113_46:                             ;   in Loop: Header=BB113_43 Depth=1
	s_or_b32 exec_lo, exec_lo, s43
	s_and_saveexec_b32 s43, s3
	s_cbranch_execnz .LBB113_63
.LBB113_47:                             ;   in Loop: Header=BB113_43 Depth=1
	s_or_b32 exec_lo, exec_lo, s43
	s_and_saveexec_b32 s43, s4
	s_cbranch_execnz .LBB113_64
.LBB113_48:                             ;   in Loop: Header=BB113_43 Depth=1
	s_or_b32 exec_lo, exec_lo, s43
	s_and_saveexec_b32 s43, s5
	s_cbranch_execnz .LBB113_65
.LBB113_49:                             ;   in Loop: Header=BB113_43 Depth=1
	s_or_b32 exec_lo, exec_lo, s43
	s_and_saveexec_b32 s43, s6
	s_cbranch_execnz .LBB113_66
.LBB113_50:                             ;   in Loop: Header=BB113_43 Depth=1
	s_or_b32 exec_lo, exec_lo, s43
	s_and_saveexec_b32 s43, s7
	s_cbranch_execnz .LBB113_67
.LBB113_51:                             ;   in Loop: Header=BB113_43 Depth=1
	s_or_b32 exec_lo, exec_lo, s43
	s_and_saveexec_b32 s43, s8
	s_cbranch_execnz .LBB113_68
.LBB113_52:                             ;   in Loop: Header=BB113_43 Depth=1
	s_or_b32 exec_lo, exec_lo, s43
	s_and_saveexec_b32 s43, s9
	s_cbranch_execnz .LBB113_69
.LBB113_53:                             ;   in Loop: Header=BB113_43 Depth=1
	s_or_b32 exec_lo, exec_lo, s43
	s_and_saveexec_b32 s43, s10
	s_cbranch_execnz .LBB113_70
.LBB113_54:                             ;   in Loop: Header=BB113_43 Depth=1
	s_or_b32 exec_lo, exec_lo, s43
	s_and_saveexec_b32 s43, s11
	s_cbranch_execnz .LBB113_71
.LBB113_55:                             ;   in Loop: Header=BB113_43 Depth=1
	s_or_b32 exec_lo, exec_lo, s43
	s_and_saveexec_b32 s43, s12
	s_cbranch_execnz .LBB113_72
.LBB113_56:                             ;   in Loop: Header=BB113_43 Depth=1
	s_or_b32 exec_lo, exec_lo, s43
	s_and_saveexec_b32 s43, s13
	s_cbranch_execnz .LBB113_73
.LBB113_57:                             ;   in Loop: Header=BB113_43 Depth=1
	s_or_b32 exec_lo, exec_lo, s43
	s_and_saveexec_b32 s43, s14
	s_cbranch_execnz .LBB113_74
.LBB113_58:                             ;   in Loop: Header=BB113_43 Depth=1
	s_or_b32 exec_lo, exec_lo, s43
	v_ashrrev_i32_e32 v13, 31, v12
	s_and_saveexec_b32 s43, s15
	s_cbranch_execnz .LBB113_75
.LBB113_59:                             ;   in Loop: Header=BB113_43 Depth=1
	s_or_b32 exec_lo, exec_lo, s43
	s_and_saveexec_b32 s15, vcc_lo
	s_cbranch_execz .LBB113_42
	s_branch .LBB113_76
.LBB113_60:                             ;   in Loop: Header=BB113_43 Depth=1
	v_mov_b32_e32 v2, s26
	ds_load_b32 v2, v2
	s_wait_dscnt 0x0
	v_add_nc_u32_e32 v12, v2, v12
	s_or_b32 exec_lo, exec_lo, s43
	s_and_saveexec_b32 s43, s1
	s_cbranch_execz .LBB113_45
.LBB113_61:                             ;   in Loop: Header=BB113_43 Depth=1
	v_mov_b32_e32 v2, s27
	ds_load_b32 v2, v2
	s_wait_dscnt 0x0
	v_add_nc_u32_e32 v12, v12, v2
	s_or_b32 exec_lo, exec_lo, s43
	s_and_saveexec_b32 s43, s2
	s_cbranch_execz .LBB113_46
.LBB113_62:                             ;   in Loop: Header=BB113_43 Depth=1
	v_mov_b32_e32 v2, s28
	ds_load_b32 v2, v2
	s_wait_dscnt 0x0
	v_add_nc_u32_e32 v12, v12, v2
	s_or_b32 exec_lo, exec_lo, s43
	s_and_saveexec_b32 s43, s3
	s_cbranch_execz .LBB113_47
.LBB113_63:                             ;   in Loop: Header=BB113_43 Depth=1
	v_mov_b32_e32 v2, s29
	ds_load_b32 v2, v2
	s_wait_dscnt 0x0
	v_add_nc_u32_e32 v12, v12, v2
	s_or_b32 exec_lo, exec_lo, s43
	s_and_saveexec_b32 s43, s4
	s_cbranch_execz .LBB113_48
.LBB113_64:                             ;   in Loop: Header=BB113_43 Depth=1
	v_mov_b32_e32 v2, s30
	ds_load_b32 v2, v2
	s_wait_dscnt 0x0
	v_add_nc_u32_e32 v12, v12, v2
	s_or_b32 exec_lo, exec_lo, s43
	s_and_saveexec_b32 s43, s5
	s_cbranch_execz .LBB113_49
.LBB113_65:                             ;   in Loop: Header=BB113_43 Depth=1
	v_mov_b32_e32 v2, s31
	ds_load_b32 v2, v2
	s_wait_dscnt 0x0
	v_add_nc_u32_e32 v12, v12, v2
	s_or_b32 exec_lo, exec_lo, s43
	s_and_saveexec_b32 s43, s6
	s_cbranch_execz .LBB113_50
.LBB113_66:                             ;   in Loop: Header=BB113_43 Depth=1
	v_mov_b32_e32 v2, s33
	ds_load_b32 v2, v2
	s_wait_dscnt 0x0
	v_add_nc_u32_e32 v12, v12, v2
	s_or_b32 exec_lo, exec_lo, s43
	s_and_saveexec_b32 s43, s7
	s_cbranch_execz .LBB113_51
.LBB113_67:                             ;   in Loop: Header=BB113_43 Depth=1
	v_mov_b32_e32 v2, s34
	ds_load_b32 v2, v2
	s_wait_dscnt 0x0
	v_add_nc_u32_e32 v12, v12, v2
	s_or_b32 exec_lo, exec_lo, s43
	s_and_saveexec_b32 s43, s8
	s_cbranch_execz .LBB113_52
.LBB113_68:                             ;   in Loop: Header=BB113_43 Depth=1
	v_mov_b32_e32 v2, s35
	ds_load_b32 v2, v2
	s_wait_dscnt 0x0
	v_add_nc_u32_e32 v12, v12, v2
	s_or_b32 exec_lo, exec_lo, s43
	s_and_saveexec_b32 s43, s9
	s_cbranch_execz .LBB113_53
.LBB113_69:                             ;   in Loop: Header=BB113_43 Depth=1
	v_mov_b32_e32 v2, s36
	ds_load_b32 v2, v2
	s_wait_dscnt 0x0
	v_add_nc_u32_e32 v12, v12, v2
	s_or_b32 exec_lo, exec_lo, s43
	s_and_saveexec_b32 s43, s10
	s_cbranch_execz .LBB113_54
.LBB113_70:                             ;   in Loop: Header=BB113_43 Depth=1
	v_mov_b32_e32 v2, s37
	ds_load_b32 v2, v2
	s_wait_dscnt 0x0
	v_add_nc_u32_e32 v12, v12, v2
	s_or_b32 exec_lo, exec_lo, s43
	s_and_saveexec_b32 s43, s11
	s_cbranch_execz .LBB113_55
.LBB113_71:                             ;   in Loop: Header=BB113_43 Depth=1
	v_mov_b32_e32 v2, s39
	ds_load_b32 v2, v2
	s_wait_dscnt 0x0
	v_add_nc_u32_e32 v12, v12, v2
	s_or_b32 exec_lo, exec_lo, s43
	s_and_saveexec_b32 s43, s12
	s_cbranch_execz .LBB113_56
.LBB113_72:                             ;   in Loop: Header=BB113_43 Depth=1
	v_mov_b32_e32 v2, s40
	ds_load_b32 v2, v2
	s_wait_dscnt 0x0
	v_add_nc_u32_e32 v12, v12, v2
	s_or_b32 exec_lo, exec_lo, s43
	s_and_saveexec_b32 s43, s13
	s_cbranch_execz .LBB113_57
.LBB113_73:                             ;   in Loop: Header=BB113_43 Depth=1
	v_mov_b32_e32 v2, s41
	ds_load_b32 v2, v2
	s_wait_dscnt 0x0
	v_add_nc_u32_e32 v12, v12, v2
	s_or_b32 exec_lo, exec_lo, s43
	s_and_saveexec_b32 s43, s14
	s_cbranch_execz .LBB113_58
.LBB113_74:                             ;   in Loop: Header=BB113_43 Depth=1
	v_mov_b32_e32 v2, s42
	ds_load_b32 v2, v2
	s_wait_dscnt 0x0
	v_add_nc_u32_e32 v12, v12, v2
	s_or_b32 exec_lo, exec_lo, s43
	s_delay_alu instid0(VALU_DEP_1)
	v_ashrrev_i32_e32 v13, 31, v12
	s_and_saveexec_b32 s43, s15
	s_cbranch_execz .LBB113_59
.LBB113_75:                             ;   in Loop: Header=BB113_43 Depth=1
	v_add3_u32 v2, v6, -1, v12
	v_add_nc_u32_e32 v15, v6, v12
	s_delay_alu instid0(VALU_DEP_2) | instskip(NEXT) | instid1(VALU_DEP_2)
	v_lshl_add_u32 v2, v2, 3, 0
	v_lshl_add_u32 v15, v15, 3, 0
	ds_store_b64 v2, v[8:9]
	ds_store_b64 v15, v[10:11] offset:65528
	s_or_b32 exec_lo, exec_lo, s43
	s_and_saveexec_b32 s15, vcc_lo
	s_cbranch_execz .LBB113_42
.LBB113_76:                             ;   in Loop: Header=BB113_43 Depth=1
	v_mov_b32_e32 v2, s38
	ds_store_b64 v2, v[12:13]
	s_branch .LBB113_42
.LBB113_77:
	s_or_b32 exec_lo, exec_lo, s19
	s_wait_kmcnt 0x0
	s_lshl_b64 s[0:1], s[22:23], 3
	v_mov_b32_e32 v1, 0
	s_add_nc_u64 s[4:5], s[24:25], s[0:1]
	s_mov_b32 s6, exec_lo
	s_load_b128 s[0:3], s[4:5], 0x0
	s_wait_kmcnt 0x0
	s_sub_nc_u64 s[4:5], s[2:3], s[0:1]
	s_delay_alu instid0(SALU_CYCLE_1)
	v_cmpx_gt_i64_e64 s[4:5], v[0:1]
	s_cbranch_execz .LBB113_87
; %bb.78:
	s_sub_nc_u64 s[8:9], s[0:1], s[2:3]
	s_and_b64 s[6:7], s[4:5], 7
	v_cmp_lt_u64_e64 s10, s[8:9], -7
	s_and_b64 s[2:3], s[4:5], -8
	s_mov_b32 s19, 0
	s_cmp_lg_u64 s[6:7], 0
	s_sub_nc_u64 s[0:1], s[0:1], s[18:19]
	s_cselect_b32 s11, -1, 0
	s_mov_b32 s12, 0
	s_branch .LBB113_80
.LBB113_79:                             ;   in Loop: Header=BB113_80 Depth=1
	v_add_nc_u64_e32 v[0:1], 0x400, v[0:1]
	s_wait_dscnt 0x1
	s_delay_alu instid0(VALU_DEP_2)
	v_lshl_add_u64 v[4:5], v[6:7], 3, s[16:17]
	s_wait_dscnt 0x0
	global_store_b64 v[4:5], v[2:3], off
	v_cmp_le_i64_e32 vcc_lo, s[4:5], v[0:1]
	s_or_b32 s12, vcc_lo, s12
	s_wait_xcnt 0x0
	s_and_not1_b32 exec_lo, exec_lo, s12
	s_cbranch_execz .LBB113_87
.LBB113_80:                             ; =>This Loop Header: Depth=1
                                        ;     Child Loop BB113_82 Depth 2
                                        ;     Child Loop BB113_86 Depth 2
	v_lshl_add_u32 v2, v0, 3, 0
	v_mov_b64_e32 v[6:7], s[0:1]
	s_and_not1_b32 vcc_lo, exec_lo, s10
	s_mov_b64 s[8:9], 0
	s_delay_alu instid0(VALU_DEP_2)
	v_add_nc_u32_e32 v3, 0x10000, v2
	ds_load_b64 v[4:5], v2
	ds_load_b64 v[2:3], v3
	s_cbranch_vccnz .LBB113_84
; %bb.81:                               ;   in Loop: Header=BB113_80 Depth=1
	v_mov_b64_e32 v[6:7], s[0:1]
	s_mov_b32 s13, 0
.LBB113_82:                             ;   Parent Loop BB113_80 Depth=1
                                        ; =>  This Inner Loop Header: Depth=2
	s_delay_alu instid0(SALU_CYCLE_1)
	v_dual_mov_b32 v20, s13 :: v_dual_mov_b32 v17, s19
	v_mov_b32_e32 v19, s19
	s_add_nc_u64 s[8:9], s[8:9], 8
	s_add_co_i32 s13, s13, 64
	ds_load_2addr_b64 v[8:11], v20 offset1:1
	ds_load_2addr_b64 v[12:15], v20 offset0:2 offset1:3
	s_cmp_eq_u64 s[2:3], s[8:9]
	s_wait_dscnt 0x1
	v_cmp_gt_i64_e32 vcc_lo, v[4:5], v[8:9]
	v_cndmask_b32_e64 v16, 0, 1, vcc_lo
	v_cmp_gt_i64_e32 vcc_lo, v[4:5], v[10:11]
	s_delay_alu instid0(VALU_DEP_2) | instskip(SKIP_4) | instid1(VALU_DEP_2)
	v_add_nc_u64_e32 v[10:11], v[6:7], v[16:17]
	ds_load_2addr_b64 v[6:9], v20 offset0:4 offset1:5
	v_cndmask_b32_e64 v18, 0, 1, vcc_lo
	s_wait_dscnt 0x1
	v_cmp_gt_i64_e32 vcc_lo, v[4:5], v[12:13]
	v_add_nc_u64_e32 v[10:11], v[10:11], v[18:19]
	v_cndmask_b32_e64 v16, 0, 1, vcc_lo
	v_cmp_gt_i64_e32 vcc_lo, v[4:5], v[14:15]
	s_delay_alu instid0(VALU_DEP_2)
	v_add_nc_u64_e32 v[14:15], v[10:11], v[16:17]
	ds_load_2addr_b64 v[10:13], v20 offset0:6 offset1:7
	v_cndmask_b32_e64 v18, 0, 1, vcc_lo
	s_wait_dscnt 0x1
	v_cmp_gt_i64_e32 vcc_lo, v[4:5], v[6:7]
	v_mov_b32_e32 v7, s19
	s_delay_alu instid0(VALU_DEP_3) | instskip(SKIP_3) | instid1(VALU_DEP_3)
	v_add_nc_u64_e32 v[14:15], v[14:15], v[18:19]
	v_cndmask_b32_e64 v16, 0, 1, vcc_lo
	v_cmp_gt_i64_e32 vcc_lo, v[4:5], v[8:9]
	v_mov_b32_e32 v9, s19
	v_add_nc_u64_e32 v[14:15], v[14:15], v[16:17]
	v_cndmask_b32_e64 v6, 0, 1, vcc_lo
	s_wait_dscnt 0x0
	v_cmp_gt_i64_e32 vcc_lo, v[4:5], v[10:11]
	v_mov_b32_e32 v11, s19
	s_delay_alu instid0(VALU_DEP_3) | instskip(SKIP_2) | instid1(VALU_DEP_2)
	v_add_nc_u64_e32 v[6:7], v[14:15], v[6:7]
	v_cndmask_b32_e64 v8, 0, 1, vcc_lo
	v_cmp_gt_i64_e32 vcc_lo, v[4:5], v[12:13]
	v_add_nc_u64_e32 v[6:7], v[6:7], v[8:9]
	v_cndmask_b32_e64 v10, 0, 1, vcc_lo
	s_delay_alu instid0(VALU_DEP_1)
	v_add_nc_u64_e32 v[6:7], v[6:7], v[10:11]
	s_cbranch_scc0 .LBB113_82
; %bb.83:                               ;   in Loop: Header=BB113_80 Depth=1
	s_mov_b64 s[8:9], s[2:3]
.LBB113_84:                             ;   in Loop: Header=BB113_80 Depth=1
	s_and_not1_b32 vcc_lo, exec_lo, s11
	s_cbranch_vccnz .LBB113_79
; %bb.85:                               ;   in Loop: Header=BB113_80 Depth=1
	s_lshl_b32 s8, s8, 3
	s_delay_alu instid0(SALU_CYCLE_1)
	s_add_co_i32 s13, s8, 0
	s_mov_b64 s[8:9], s[6:7]
.LBB113_86:                             ;   Parent Loop BB113_80 Depth=1
                                        ; =>  This Inner Loop Header: Depth=2
	v_dual_mov_b32 v8, s13 :: v_dual_mov_b32 v11, s19
	s_add_nc_u64 s[8:9], s[8:9], -1
	s_add_co_i32 s13, s13, 8
	s_cmp_lg_u64 s[8:9], 0
	ds_load_b64 v[8:9], v8
	s_wait_dscnt 0x0
	v_cmp_gt_i64_e32 vcc_lo, v[4:5], v[8:9]
	v_cndmask_b32_e64 v10, 0, 1, vcc_lo
	s_delay_alu instid0(VALU_DEP_1)
	v_add_nc_u64_e32 v[6:7], v[6:7], v[10:11]
	s_cbranch_scc1 .LBB113_86
	s_branch .LBB113_79
.LBB113_87:
	s_endpgm
	.section	.rodata,"a",@progbits
	.p2align	6, 0x0
	.amdhsa_kernel _ZN9rocsparseL41csrgemm_numeric_fill_block_per_row_kernelILj1024ELj64ELj8192ELj137ELj64ElldEEvT5_PKS1_S3_NS_24const_host_device_scalarIT6_EEPKT4_S3_PKS5_S9_S3_SB_S6_S9_S3_SB_S9_S3_PS5_21rocsparse_index_base_SD_SD_SD_bbb
		.amdhsa_group_segment_fixed_size 0
		.amdhsa_private_segment_fixed_size 0
		.amdhsa_kernarg_size 156
		.amdhsa_user_sgpr_count 2
		.amdhsa_user_sgpr_dispatch_ptr 0
		.amdhsa_user_sgpr_queue_ptr 0
		.amdhsa_user_sgpr_kernarg_segment_ptr 1
		.amdhsa_user_sgpr_dispatch_id 0
		.amdhsa_user_sgpr_kernarg_preload_length 0
		.amdhsa_user_sgpr_kernarg_preload_offset 0
		.amdhsa_user_sgpr_private_segment_size 0
		.amdhsa_wavefront_size32 1
		.amdhsa_uses_dynamic_stack 0
		.amdhsa_enable_private_segment 0
		.amdhsa_system_sgpr_workgroup_id_x 1
		.amdhsa_system_sgpr_workgroup_id_y 0
		.amdhsa_system_sgpr_workgroup_id_z 0
		.amdhsa_system_sgpr_workgroup_info 0
		.amdhsa_system_vgpr_workitem_id 0
		.amdhsa_next_free_vgpr 29
		.amdhsa_next_free_sgpr 44
		.amdhsa_named_barrier_count 0
		.amdhsa_reserve_vcc 1
		.amdhsa_float_round_mode_32 0
		.amdhsa_float_round_mode_16_64 0
		.amdhsa_float_denorm_mode_32 3
		.amdhsa_float_denorm_mode_16_64 3
		.amdhsa_fp16_overflow 0
		.amdhsa_memory_ordered 1
		.amdhsa_forward_progress 1
		.amdhsa_inst_pref_size 29
		.amdhsa_round_robin_scheduling 0
		.amdhsa_exception_fp_ieee_invalid_op 0
		.amdhsa_exception_fp_denorm_src 0
		.amdhsa_exception_fp_ieee_div_zero 0
		.amdhsa_exception_fp_ieee_overflow 0
		.amdhsa_exception_fp_ieee_underflow 0
		.amdhsa_exception_fp_ieee_inexact 0
		.amdhsa_exception_int_div_zero 0
	.end_amdhsa_kernel
	.section	.text._ZN9rocsparseL41csrgemm_numeric_fill_block_per_row_kernelILj1024ELj64ELj8192ELj137ELj64ElldEEvT5_PKS1_S3_NS_24const_host_device_scalarIT6_EEPKT4_S3_PKS5_S9_S3_SB_S6_S9_S3_SB_S9_S3_PS5_21rocsparse_index_base_SD_SD_SD_bbb,"axG",@progbits,_ZN9rocsparseL41csrgemm_numeric_fill_block_per_row_kernelILj1024ELj64ELj8192ELj137ELj64ElldEEvT5_PKS1_S3_NS_24const_host_device_scalarIT6_EEPKT4_S3_PKS5_S9_S3_SB_S6_S9_S3_SB_S9_S3_PS5_21rocsparse_index_base_SD_SD_SD_bbb,comdat
.Lfunc_end113:
	.size	_ZN9rocsparseL41csrgemm_numeric_fill_block_per_row_kernelILj1024ELj64ELj8192ELj137ELj64ElldEEvT5_PKS1_S3_NS_24const_host_device_scalarIT6_EEPKT4_S3_PKS5_S9_S3_SB_S6_S9_S3_SB_S9_S3_PS5_21rocsparse_index_base_SD_SD_SD_bbb, .Lfunc_end113-_ZN9rocsparseL41csrgemm_numeric_fill_block_per_row_kernelILj1024ELj64ELj8192ELj137ELj64ElldEEvT5_PKS1_S3_NS_24const_host_device_scalarIT6_EEPKT4_S3_PKS5_S9_S3_SB_S6_S9_S3_SB_S9_S3_PS5_21rocsparse_index_base_SD_SD_SD_bbb
                                        ; -- End function
	.set _ZN9rocsparseL41csrgemm_numeric_fill_block_per_row_kernelILj1024ELj64ELj8192ELj137ELj64ElldEEvT5_PKS1_S3_NS_24const_host_device_scalarIT6_EEPKT4_S3_PKS5_S9_S3_SB_S6_S9_S3_SB_S9_S3_PS5_21rocsparse_index_base_SD_SD_SD_bbb.num_vgpr, 29
	.set _ZN9rocsparseL41csrgemm_numeric_fill_block_per_row_kernelILj1024ELj64ELj8192ELj137ELj64ElldEEvT5_PKS1_S3_NS_24const_host_device_scalarIT6_EEPKT4_S3_PKS5_S9_S3_SB_S6_S9_S3_SB_S9_S3_PS5_21rocsparse_index_base_SD_SD_SD_bbb.num_agpr, 0
	.set _ZN9rocsparseL41csrgemm_numeric_fill_block_per_row_kernelILj1024ELj64ELj8192ELj137ELj64ElldEEvT5_PKS1_S3_NS_24const_host_device_scalarIT6_EEPKT4_S3_PKS5_S9_S3_SB_S6_S9_S3_SB_S9_S3_PS5_21rocsparse_index_base_SD_SD_SD_bbb.numbered_sgpr, 44
	.set _ZN9rocsparseL41csrgemm_numeric_fill_block_per_row_kernelILj1024ELj64ELj8192ELj137ELj64ElldEEvT5_PKS1_S3_NS_24const_host_device_scalarIT6_EEPKT4_S3_PKS5_S9_S3_SB_S6_S9_S3_SB_S9_S3_PS5_21rocsparse_index_base_SD_SD_SD_bbb.num_named_barrier, 0
	.set _ZN9rocsparseL41csrgemm_numeric_fill_block_per_row_kernelILj1024ELj64ELj8192ELj137ELj64ElldEEvT5_PKS1_S3_NS_24const_host_device_scalarIT6_EEPKT4_S3_PKS5_S9_S3_SB_S6_S9_S3_SB_S9_S3_PS5_21rocsparse_index_base_SD_SD_SD_bbb.private_seg_size, 0
	.set _ZN9rocsparseL41csrgemm_numeric_fill_block_per_row_kernelILj1024ELj64ELj8192ELj137ELj64ElldEEvT5_PKS1_S3_NS_24const_host_device_scalarIT6_EEPKT4_S3_PKS5_S9_S3_SB_S6_S9_S3_SB_S9_S3_PS5_21rocsparse_index_base_SD_SD_SD_bbb.uses_vcc, 1
	.set _ZN9rocsparseL41csrgemm_numeric_fill_block_per_row_kernelILj1024ELj64ELj8192ELj137ELj64ElldEEvT5_PKS1_S3_NS_24const_host_device_scalarIT6_EEPKT4_S3_PKS5_S9_S3_SB_S6_S9_S3_SB_S9_S3_PS5_21rocsparse_index_base_SD_SD_SD_bbb.uses_flat_scratch, 0
	.set _ZN9rocsparseL41csrgemm_numeric_fill_block_per_row_kernelILj1024ELj64ELj8192ELj137ELj64ElldEEvT5_PKS1_S3_NS_24const_host_device_scalarIT6_EEPKT4_S3_PKS5_S9_S3_SB_S6_S9_S3_SB_S9_S3_PS5_21rocsparse_index_base_SD_SD_SD_bbb.has_dyn_sized_stack, 0
	.set _ZN9rocsparseL41csrgemm_numeric_fill_block_per_row_kernelILj1024ELj64ELj8192ELj137ELj64ElldEEvT5_PKS1_S3_NS_24const_host_device_scalarIT6_EEPKT4_S3_PKS5_S9_S3_SB_S6_S9_S3_SB_S9_S3_PS5_21rocsparse_index_base_SD_SD_SD_bbb.has_recursion, 0
	.set _ZN9rocsparseL41csrgemm_numeric_fill_block_per_row_kernelILj1024ELj64ELj8192ELj137ELj64ElldEEvT5_PKS1_S3_NS_24const_host_device_scalarIT6_EEPKT4_S3_PKS5_S9_S3_SB_S6_S9_S3_SB_S9_S3_PS5_21rocsparse_index_base_SD_SD_SD_bbb.has_indirect_call, 0
	.section	.AMDGPU.csdata,"",@progbits
; Kernel info:
; codeLenInByte = 3604
; TotalNumSgprs: 46
; NumVgprs: 29
; ScratchSize: 0
; MemoryBound: 0
; FloatMode: 240
; IeeeMode: 1
; LDSByteSize: 0 bytes/workgroup (compile time only)
; SGPRBlocks: 0
; VGPRBlocks: 1
; NumSGPRsForWavesPerEU: 46
; NumVGPRsForWavesPerEU: 29
; NamedBarCnt: 0
; Occupancy: 16
; WaveLimiterHint : 1
; COMPUTE_PGM_RSRC2:SCRATCH_EN: 0
; COMPUTE_PGM_RSRC2:USER_SGPR: 2
; COMPUTE_PGM_RSRC2:TRAP_HANDLER: 0
; COMPUTE_PGM_RSRC2:TGID_X_EN: 1
; COMPUTE_PGM_RSRC2:TGID_Y_EN: 0
; COMPUTE_PGM_RSRC2:TGID_Z_EN: 0
; COMPUTE_PGM_RSRC2:TIDIG_COMP_CNT: 0
	.section	.text._ZN9rocsparseL41csrgemm_numeric_fill_block_per_row_kernelILj1024ELj64ELj16384ELj137ELj32ElldEEvT5_PKS1_S3_NS_24const_host_device_scalarIT6_EEPKT4_S3_PKS5_S9_S3_SB_S6_S9_S3_SB_S9_S3_PS5_21rocsparse_index_base_SD_SD_SD_bbb,"axG",@progbits,_ZN9rocsparseL41csrgemm_numeric_fill_block_per_row_kernelILj1024ELj64ELj16384ELj137ELj32ElldEEvT5_PKS1_S3_NS_24const_host_device_scalarIT6_EEPKT4_S3_PKS5_S9_S3_SB_S6_S9_S3_SB_S9_S3_PS5_21rocsparse_index_base_SD_SD_SD_bbb,comdat
	.globl	_ZN9rocsparseL41csrgemm_numeric_fill_block_per_row_kernelILj1024ELj64ELj16384ELj137ELj32ElldEEvT5_PKS1_S3_NS_24const_host_device_scalarIT6_EEPKT4_S3_PKS5_S9_S3_SB_S6_S9_S3_SB_S9_S3_PS5_21rocsparse_index_base_SD_SD_SD_bbb ; -- Begin function _ZN9rocsparseL41csrgemm_numeric_fill_block_per_row_kernelILj1024ELj64ELj16384ELj137ELj32ElldEEvT5_PKS1_S3_NS_24const_host_device_scalarIT6_EEPKT4_S3_PKS5_S9_S3_SB_S6_S9_S3_SB_S9_S3_PS5_21rocsparse_index_base_SD_SD_SD_bbb
	.p2align	8
	.type	_ZN9rocsparseL41csrgemm_numeric_fill_block_per_row_kernelILj1024ELj64ELj16384ELj137ELj32ElldEEvT5_PKS1_S3_NS_24const_host_device_scalarIT6_EEPKT4_S3_PKS5_S9_S3_SB_S6_S9_S3_SB_S9_S3_PS5_21rocsparse_index_base_SD_SD_SD_bbb,@function
_ZN9rocsparseL41csrgemm_numeric_fill_block_per_row_kernelILj1024ELj64ELj16384ELj137ELj32ElldEEvT5_PKS1_S3_NS_24const_host_device_scalarIT6_EEPKT4_S3_PKS5_S9_S3_SB_S6_S9_S3_SB_S9_S3_PS5_21rocsparse_index_base_SD_SD_SD_bbb: ; @_ZN9rocsparseL41csrgemm_numeric_fill_block_per_row_kernelILj1024ELj64ELj16384ELj137ELj32ElldEEvT5_PKS1_S3_NS_24const_host_device_scalarIT6_EEPKT4_S3_PKS5_S9_S3_SB_S6_S9_S3_SB_S9_S3_PS5_21rocsparse_index_base_SD_SD_SD_bbb
; %bb.0:
	s_clause 0x3
	s_load_b32 s6, s[0:1], 0x98
	s_load_b64 s[2:3], s[0:1], 0x18
	s_load_b128 s[44:47], s[0:1], 0x88
	s_load_b64 s[4:5], s[0:1], 0x50
	s_wait_kmcnt 0x0
	s_bitcmp1_b32 s6, 0
	s_cselect_b32 s19, -1, 0
	s_bitcmp1_b32 s6, 16
	s_cselect_b32 s7, -1, 0
	s_xor_b32 s8, s19, -1
	s_delay_alu instid0(SALU_CYCLE_1)
	s_or_b32 s10, s7, s8
	s_and_b32 s8, s19, exec_lo
	s_cselect_b32 s9, s3, 0
	s_cselect_b32 s8, s2, 0
	s_and_b32 vcc_lo, exec_lo, s10
	v_mov_b64_e32 v[4:5], s[8:9]
	s_cbranch_vccnz .LBB114_2
; %bb.1:
	v_mov_b32_e32 v1, 0
	flat_load_b64 v[4:5], v1, s[2:3]
.LBB114_2:
	s_wait_xcnt 0x0
	s_load_b64 s[2:3], s[0:1], 0x8
	s_bitcmp1_b32 s6, 8
	s_cselect_b32 s18, -1, 0
	s_delay_alu instid0(SALU_CYCLE_1) | instskip(NEXT) | instid1(SALU_CYCLE_1)
	s_xor_b32 s6, s18, -1
	s_or_b32 s8, s7, s6
	s_and_b32 s6, s18, exec_lo
	s_cselect_b32 s7, s5, 0
	s_cselect_b32 s6, s4, 0
	s_and_b32 vcc_lo, exec_lo, s8
	v_mov_b64_e32 v[2:3], s[6:7]
	s_cbranch_vccnz .LBB114_4
; %bb.3:
	v_mov_b32_e32 v1, 0
	flat_load_b64 v[2:3], v1, s[4:5]
.LBB114_4:
	s_clause 0x5
	s_load_b64 s[48:49], s[0:1], 0x0
	s_load_b64 s[16:17], s[0:1], 0x10
	;; [unrolled: 1-line block ×3, first 2 shown]
	s_load_b256 s[36:43], s[0:1], 0x58
	s_load_b128 s[12:15], s[0:1], 0x40
	s_load_b256 s[4:11], s[0:1], 0x20
	v_lshl_add_u32 v26, v0, 3, 0
	v_or_b32_e32 v27, 0xfffffc00, v0
	v_mov_b64_e32 v[6:7], 0
	s_wait_xcnt 0x0
	s_mov_b32 s0, 0
	s_delay_alu instid0(VALU_DEP_2)
	v_dual_mov_b32 v1, v26 :: v_dual_mov_b32 v10, v27
	s_wait_kmcnt 0x0
	v_mov_b64_e32 v[8:9], s[48:49]
.LBB114_5:                              ; =>This Inner Loop Header: Depth=1
	s_delay_alu instid0(VALU_DEP_2) | instskip(NEXT) | instid1(VALU_DEP_3)
	v_add_nc_u32_e32 v10, 0x400, v10
	v_add_nc_u32_e32 v11, 0x20000, v1
	ds_store_b64 v1, v[8:9]
	v_add_nc_u32_e32 v1, 0x2000, v1
	v_cmp_lt_u32_e32 vcc_lo, 0x3bff, v10
	ds_store_b64 v11, v[6:7]
	s_or_b32 s0, vcc_lo, s0
	s_delay_alu instid0(SALU_CYCLE_1)
	s_and_not1_b32 exec_lo, exec_lo, s0
	s_cbranch_execnz .LBB114_5
; %bb.6:
	s_or_b32 exec_lo, exec_lo, s0
	s_wait_loadcnt_dscnt 0x0
	s_barrier_signal -1
	s_barrier_wait -1
	s_load_b64 s[0:1], s[2:3], 0x0
	s_wait_xcnt 0x0
	s_bfe_u32 s2, ttmp6, 0x4000c
	s_and_b32 s3, ttmp6, 15
	s_add_co_i32 s2, s2, 1
	s_getreg_b32 s20, hwreg(HW_REG_IB_STS2, 6, 4)
	s_mul_i32 s2, ttmp9, s2
	s_delay_alu instid0(SALU_CYCLE_1)
	s_add_co_i32 s3, s3, s2
	s_wait_kmcnt 0x0
	s_lshl_b64 s[0:1], s[0:1], 3
	s_cmp_eq_u32 s20, 0
	s_add_nc_u64 s[0:1], s[16:17], s[0:1]
	s_cselect_b32 s2, ttmp9, s3
	s_and_b32 vcc_lo, exec_lo, s19
	s_load_b64 s[50:51], s[0:1], s2 offset:0x0 scale_offset
	s_wait_xcnt 0x0
	s_mov_b32 s1, 0
	s_cbranch_vccz .LBB114_26
; %bb.7:
	s_wait_kmcnt 0x0
	s_lshl_b64 s[2:3], s[50:51], 3
	v_dual_mov_b32 v9, 0 :: v_dual_lshrrev_b32 v8, 6, v0
	s_add_nc_u64 s[2:3], s[4:5], s[2:3]
	s_mov_b32 s0, s44
	s_load_b128 s[20:23], s[2:3], 0x0
	s_mov_b32 s16, exec_lo
	v_sub_nc_u64_e64 v[6:7], v[8:9], s[0:1]
	s_wait_kmcnt 0x0
	s_delay_alu instid0(VALU_DEP_1)
	v_add_nc_u64_e32 v[6:7], s[20:21], v[6:7]
	s_sub_nc_u64 s[2:3], s[22:23], s[0:1]
	s_delay_alu instid0(VALU_DEP_1) | instid1(SALU_CYCLE_1)
	v_cmpx_gt_i64_e64 s[2:3], v[6:7]
	s_cbranch_execz .LBB114_25
; %bb.8:
	v_and_b32_e32 v8, 63, v0
	s_mov_b32 s5, 0
	s_mov_b32 s4, s45
	;; [unrolled: 1-line block ×3, first 2 shown]
	s_delay_alu instid0(VALU_DEP_1)
	v_sub_nc_u64_e64 v[8:9], v[8:9], s[4:5]
	s_branch .LBB114_10
.LBB114_9:                              ;   in Loop: Header=BB114_10 Depth=1
	s_or_b32 exec_lo, exec_lo, s19
	v_add_nc_u64_e32 v[6:7], 16, v[6:7]
	s_delay_alu instid0(VALU_DEP_1) | instskip(SKIP_1) | instid1(SALU_CYCLE_1)
	v_cmp_le_i64_e32 vcc_lo, s[2:3], v[6:7]
	s_or_b32 s17, vcc_lo, s17
	s_and_not1_b32 exec_lo, exec_lo, s17
	s_cbranch_execz .LBB114_25
.LBB114_10:                             ; =>This Loop Header: Depth=1
                                        ;     Child Loop BB114_14 Depth 2
                                        ;       Child Loop BB114_17 Depth 3
	v_lshl_add_u64 v[10:11], v[6:7], 3, s[6:7]
	s_mov_b32 s19, exec_lo
	global_load_b64 v[10:11], v[10:11], off
	s_wait_loadcnt 0x0
	s_wait_xcnt 0x0
	v_sub_nc_u64_e64 v[10:11], v[10:11], s[0:1]
	s_delay_alu instid0(VALU_DEP_1)
	v_lshl_add_u64 v[10:11], v[10:11], 3, s[10:11]
	global_load_b128 v[12:15], v[10:11], off
	s_wait_loadcnt 0x0
	s_wait_xcnt 0x0
	v_sub_nc_u64_e64 v[10:11], v[14:15], s[4:5]
	v_add_nc_u64_e32 v[12:13], v[12:13], v[8:9]
	s_delay_alu instid0(VALU_DEP_1)
	v_cmpx_lt_i64_e64 v[12:13], v[10:11]
	s_cbranch_execz .LBB114_9
; %bb.11:                               ;   in Loop: Header=BB114_10 Depth=1
	v_lshl_add_u64 v[14:15], v[6:7], 3, s[8:9]
	s_mov_b32 s20, 0
	global_load_b64 v[14:15], v[14:15], off
	s_wait_loadcnt 0x0
	s_wait_xcnt 0x0
	v_mul_f64_e32 v[14:15], v[4:5], v[14:15]
	s_branch .LBB114_14
.LBB114_12:                             ;   in Loop: Header=BB114_14 Depth=2
	s_or_b32 exec_lo, exec_lo, s22
.LBB114_13:                             ;   in Loop: Header=BB114_14 Depth=2
	s_delay_alu instid0(SALU_CYCLE_1) | instskip(SKIP_3) | instid1(VALU_DEP_2)
	s_or_b32 exec_lo, exec_lo, s21
	s_wait_loadcnt 0x0
	v_dual_mul_f64 v[16:17], v[14:15], v[16:17] :: v_dual_lshlrev_b32 v1, 3, v18
	v_add_nc_u64_e32 v[12:13], 64, v[12:13]
	v_add3_u32 v1, 0, v1, 0x20000
	s_delay_alu instid0(VALU_DEP_2)
	v_cmp_ge_i64_e32 vcc_lo, v[12:13], v[10:11]
	s_or_b32 s20, vcc_lo, s20
	ds_add_f64 v1, v[16:17]
	s_and_not1_b32 exec_lo, exec_lo, s20
	s_cbranch_execz .LBB114_9
.LBB114_14:                             ;   Parent Loop BB114_10 Depth=1
                                        ; =>  This Loop Header: Depth=2
                                        ;       Child Loop BB114_17 Depth 3
	v_lshlrev_b64_e32 v[16:17], 3, v[12:13]
	s_mov_b32 s21, exec_lo
	s_delay_alu instid0(VALU_DEP_1)
	v_add_nc_u64_e32 v[18:19], s[12:13], v[16:17]
	v_add_nc_u64_e32 v[16:17], s[14:15], v[16:17]
	global_load_b64 v[18:19], v[18:19], off
	global_load_b64 v[16:17], v[16:17], off
	s_wait_loadcnt 0x1
	v_sub_nc_u64_e64 v[20:21], v[18:19], s[4:5]
	s_delay_alu instid0(VALU_DEP_1) | instskip(SKIP_1) | instid1(VALU_DEP_1)
	v_mul_lo_u32 v1, 0x89, v20
	s_wait_xcnt 0x1
	v_and_b32_e32 v18, 0x3fff, v1
	s_delay_alu instid0(VALU_DEP_1)
	v_lshl_add_u32 v1, v18, 3, 0
	ds_load_b64 v[24:25], v1
	s_wait_dscnt 0x0
	s_wait_xcnt 0x0
	v_cmpx_ne_u64_e64 v[24:25], v[20:21]
	s_cbranch_execz .LBB114_13
; %bb.15:                               ;   in Loop: Header=BB114_14 Depth=2
	s_mov_b32 s22, 0
                                        ; implicit-def: $sgpr23
                                        ; implicit-def: $sgpr24
	s_branch .LBB114_17
.LBB114_16:                             ;   in Loop: Header=BB114_17 Depth=3
	s_or_b32 exec_lo, exec_lo, s27
	s_delay_alu instid0(SALU_CYCLE_1) | instskip(NEXT) | instid1(SALU_CYCLE_1)
	s_and_b32 s25, exec_lo, s26
	s_or_b32 s22, s25, s22
	s_and_not1_b32 s23, s23, exec_lo
	s_and_b32 s25, s24, exec_lo
	s_delay_alu instid0(SALU_CYCLE_1)
	s_or_b32 s23, s23, s25
	s_and_not1_b32 exec_lo, exec_lo, s22
	s_cbranch_execz .LBB114_23
.LBB114_17:                             ;   Parent Loop BB114_10 Depth=1
                                        ;     Parent Loop BB114_14 Depth=2
                                        ; =>    This Inner Loop Header: Depth=3
	v_mov_b64_e32 v[22:23], v[18:19]
	s_mov_b32 s25, 0
	s_mov_b32 s26, exec_lo
                                        ; implicit-def: $vgpr18_vgpr19
	v_cmpx_ne_u64_e64 s[48:49], v[24:25]
	s_xor_b32 s26, exec_lo, s26
; %bb.18:                               ;   in Loop: Header=BB114_17 Depth=3
	s_delay_alu instid0(VALU_DEP_2) | instskip(SKIP_1) | instid1(VALU_DEP_1)
	v_add_nc_u32_e32 v1, 1, v22
	s_mov_b32 s25, exec_lo
	v_and_b32_e32 v18, 0x3fff, v1
                                        ; implicit-def: $vgpr1
; %bb.19:                               ;   in Loop: Header=BB114_17 Depth=3
	s_and_not1_saveexec_b32 s26, s26
	s_cbranch_execz .LBB114_21
; %bb.20:                               ;   in Loop: Header=BB114_17 Depth=3
	v_mov_b64_e32 v[18:19], s[48:49]
	s_and_not1_b32 s25, s25, exec_lo
	ds_cmpstore_rtn_b64 v[18:19], v1, v[20:21], v[18:19]
	s_wait_dscnt 0x0
	v_cmp_ne_u64_e32 vcc_lo, s[48:49], v[18:19]
	v_mov_b64_e32 v[18:19], v[22:23]
	s_and_b32 s27, vcc_lo, exec_lo
	s_delay_alu instid0(SALU_CYCLE_1)
	s_or_b32 s25, s25, s27
.LBB114_21:                             ;   in Loop: Header=BB114_17 Depth=3
	s_or_b32 exec_lo, exec_lo, s26
	s_mov_b32 s26, -1
	s_or_b32 s24, s24, exec_lo
                                        ; implicit-def: $vgpr1
                                        ; implicit-def: $vgpr24_vgpr25
	s_and_saveexec_b32 s27, s25
	s_cbranch_execz .LBB114_16
; %bb.22:                               ;   in Loop: Header=BB114_17 Depth=3
	v_lshl_add_u32 v1, v18, 3, 0
	s_and_not1_b32 s24, s24, exec_lo
	ds_load_b64 v[24:25], v1
	s_wait_dscnt 0x0
	v_cmp_eq_u64_e32 vcc_lo, v[24:25], v[20:21]
	s_or_not1_b32 s26, vcc_lo, exec_lo
	s_branch .LBB114_16
.LBB114_23:                             ;   in Loop: Header=BB114_14 Depth=2
	s_or_b32 exec_lo, exec_lo, s22
	s_and_saveexec_b32 s22, s23
	s_delay_alu instid0(SALU_CYCLE_1)
	s_xor_b32 s22, exec_lo, s22
	s_cbranch_execz .LBB114_12
; %bb.24:                               ;   in Loop: Header=BB114_14 Depth=2
	v_mov_b32_e32 v18, v22
	s_branch .LBB114_12
.LBB114_25:
	s_or_b32 exec_lo, exec_lo, s16
.LBB114_26:
	s_delay_alu instid0(SALU_CYCLE_1)
	s_and_not1_b32 vcc_lo, exec_lo, s18
	s_cbranch_vccnz .LBB114_43
; %bb.27:
	s_wait_kmcnt 0x0
	s_lshl_b64 s[0:1], s[50:51], 3
	v_mov_b32_e32 v1, 0
	s_add_nc_u64 s[0:1], s[36:37], s[0:1]
	s_load_b128 s[4:7], s[0:1], 0x0
	s_wait_xcnt 0x0
	s_mov_b32 s1, 0
	s_mov_b32 s0, s47
	s_delay_alu instid0(SALU_CYCLE_1) | instskip(SKIP_1) | instid1(VALU_DEP_1)
	v_sub_nc_u64_e64 v[4:5], v[0:1], s[0:1]
	s_wait_kmcnt 0x0
	v_add_nc_u64_e32 v[4:5], s[4:5], v[4:5]
	s_sub_nc_u64 s[2:3], s[6:7], s[0:1]
	s_mov_b32 s4, exec_lo
	s_delay_alu instid0(VALU_DEP_1)
	v_cmpx_gt_i64_e64 s[2:3], v[4:5]
	s_cbranch_execz .LBB114_42
; %bb.28:
	s_mov_b32 s5, s1
	s_branch .LBB114_31
.LBB114_29:                             ;   in Loop: Header=BB114_31 Depth=1
	s_or_b32 exec_lo, exec_lo, s7
.LBB114_30:                             ;   in Loop: Header=BB114_31 Depth=1
	s_delay_alu instid0(SALU_CYCLE_1) | instskip(SKIP_3) | instid1(VALU_DEP_2)
	s_or_b32 exec_lo, exec_lo, s6
	s_wait_loadcnt 0x0
	v_dual_mul_f64 v[6:7], v[2:3], v[6:7] :: v_dual_lshlrev_b32 v1, 3, v8
	v_add_nc_u64_e32 v[4:5], 0x400, v[4:5]
	v_add3_u32 v1, 0, v1, 0x20000
	s_delay_alu instid0(VALU_DEP_2)
	v_cmp_le_i64_e32 vcc_lo, s[2:3], v[4:5]
	s_or_b32 s5, vcc_lo, s5
	ds_add_f64 v1, v[6:7]
	s_and_not1_b32 exec_lo, exec_lo, s5
	s_cbranch_execz .LBB114_42
.LBB114_31:                             ; =>This Loop Header: Depth=1
                                        ;     Child Loop BB114_34 Depth 2
	v_lshlrev_b64_e32 v[6:7], 3, v[4:5]
	s_mov_b32 s6, exec_lo
	s_delay_alu instid0(VALU_DEP_1)
	v_add_nc_u64_e32 v[8:9], s[38:39], v[6:7]
	v_add_nc_u64_e32 v[6:7], s[40:41], v[6:7]
	global_load_b64 v[8:9], v[8:9], off
	global_load_b64 v[6:7], v[6:7], off
	s_wait_loadcnt 0x1
	v_sub_nc_u64_e64 v[10:11], v[8:9], s[0:1]
	s_delay_alu instid0(VALU_DEP_1) | instskip(NEXT) | instid1(VALU_DEP_1)
	v_mul_lo_u32 v1, 0x89, v10
	v_and_b32_e32 v8, 0x3fff, v1
	s_delay_alu instid0(VALU_DEP_1)
	v_lshl_add_u32 v1, v8, 3, 0
	ds_load_b64 v[14:15], v1
	s_wait_dscnt 0x0
	s_wait_xcnt 0x0
	v_cmpx_ne_u64_e64 v[14:15], v[10:11]
	s_cbranch_execz .LBB114_30
; %bb.32:                               ;   in Loop: Header=BB114_31 Depth=1
	s_mov_b32 s7, 0
                                        ; implicit-def: $sgpr8
                                        ; implicit-def: $sgpr9
	s_branch .LBB114_34
.LBB114_33:                             ;   in Loop: Header=BB114_34 Depth=2
	s_or_b32 exec_lo, exec_lo, s12
	s_delay_alu instid0(SALU_CYCLE_1) | instskip(NEXT) | instid1(SALU_CYCLE_1)
	s_and_b32 s10, exec_lo, s11
	s_or_b32 s7, s10, s7
	s_and_not1_b32 s8, s8, exec_lo
	s_and_b32 s10, s9, exec_lo
	s_delay_alu instid0(SALU_CYCLE_1)
	s_or_b32 s8, s8, s10
	s_and_not1_b32 exec_lo, exec_lo, s7
	s_cbranch_execz .LBB114_40
.LBB114_34:                             ;   Parent Loop BB114_31 Depth=1
                                        ; =>  This Inner Loop Header: Depth=2
	v_mov_b64_e32 v[12:13], v[8:9]
	s_mov_b32 s10, 0
	s_mov_b32 s11, exec_lo
                                        ; implicit-def: $vgpr8_vgpr9
	v_cmpx_ne_u64_e64 s[48:49], v[14:15]
	s_xor_b32 s11, exec_lo, s11
; %bb.35:                               ;   in Loop: Header=BB114_34 Depth=2
	s_delay_alu instid0(VALU_DEP_2) | instskip(SKIP_1) | instid1(VALU_DEP_1)
	v_add_nc_u32_e32 v1, 1, v12
	s_mov_b32 s10, exec_lo
	v_and_b32_e32 v8, 0x3fff, v1
                                        ; implicit-def: $vgpr1
; %bb.36:                               ;   in Loop: Header=BB114_34 Depth=2
	s_and_not1_saveexec_b32 s11, s11
	s_cbranch_execz .LBB114_38
; %bb.37:                               ;   in Loop: Header=BB114_34 Depth=2
	v_mov_b64_e32 v[8:9], s[48:49]
	s_and_not1_b32 s10, s10, exec_lo
	ds_cmpstore_rtn_b64 v[8:9], v1, v[10:11], v[8:9]
	s_wait_dscnt 0x0
	v_cmp_ne_u64_e32 vcc_lo, s[48:49], v[8:9]
	v_mov_b64_e32 v[8:9], v[12:13]
	s_and_b32 s12, vcc_lo, exec_lo
	s_delay_alu instid0(SALU_CYCLE_1)
	s_or_b32 s10, s10, s12
.LBB114_38:                             ;   in Loop: Header=BB114_34 Depth=2
	s_or_b32 exec_lo, exec_lo, s11
	s_mov_b32 s11, -1
	s_or_b32 s9, s9, exec_lo
                                        ; implicit-def: $vgpr1
                                        ; implicit-def: $vgpr14_vgpr15
	s_and_saveexec_b32 s12, s10
	s_cbranch_execz .LBB114_33
; %bb.39:                               ;   in Loop: Header=BB114_34 Depth=2
	v_lshl_add_u32 v1, v8, 3, 0
	s_and_not1_b32 s9, s9, exec_lo
	ds_load_b64 v[14:15], v1
	s_wait_dscnt 0x0
	v_cmp_eq_u64_e32 vcc_lo, v[14:15], v[10:11]
	s_or_not1_b32 s11, vcc_lo, exec_lo
	s_branch .LBB114_33
.LBB114_40:                             ;   in Loop: Header=BB114_31 Depth=1
	s_or_b32 exec_lo, exec_lo, s7
	s_and_saveexec_b32 s7, s8
	s_delay_alu instid0(SALU_CYCLE_1)
	s_xor_b32 s7, exec_lo, s7
	s_cbranch_execz .LBB114_29
; %bb.41:                               ;   in Loop: Header=BB114_31 Depth=1
	v_mov_b32_e32 v8, v12
	s_branch .LBB114_29
.LBB114_42:
	s_or_b32 exec_lo, exec_lo, s4
.LBB114_43:
	v_mbcnt_lo_u32_b32 v1, -1, 0
	v_lshrrev_b32_e32 v2, 2, v0
	v_mov_b64_e32 v[6:7], 0
	v_mov_b32_e32 v3, 0
	v_cmp_lt_u32_e64 s0, 31, v0
	v_xor_b32_e32 v1, 31, v1
	v_and_b32_e32 v2, 0xf8, v2
	v_cmp_lt_u32_e64 s1, 63, v0
	v_cmp_lt_u32_e64 s2, 0x5f, v0
	;; [unrolled: 1-line block ×3, first 2 shown]
	v_lshrrev_b32_e64 v4, v1, -1
	v_add3_u32 v1, 0x40000, 0, v2
	v_cmp_lt_u32_e64 s4, 0x9f, v0
	v_cmp_lt_u32_e64 s5, 0xbf, v0
	;; [unrolled: 1-line block ×27, first 2 shown]
	s_mov_b32 s33, 0
	s_add_co_i32 s36, 0, 0x40000
	s_add_co_i32 s37, 0, 0x40008
	;; [unrolled: 1-line block ×32, first 2 shown]
	s_wait_dscnt 0x0
	s_barrier_signal -1
	s_barrier_wait -1
	v_cmp_eq_u32_e32 vcc_lo, 0x3ff, v0
	s_branch .LBB114_45
.LBB114_44:                             ;   in Loop: Header=BB114_45 Depth=1
	s_or_b32 exec_lo, exec_lo, s31
	v_dual_mov_b32 v2, s74 :: v_dual_add_nc_u32 v27, 0x400, v27
	s_wait_dscnt 0x0
	s_barrier_signal -1
	s_barrier_wait -1
	ds_load_b64 v[8:9], v2
	v_cmp_lt_u32_e64 s31, 0x3bff, v27
	v_add_nc_u32_e32 v26, 0x2000, v26
	s_or_b32 s33, s31, s33
	s_wait_dscnt 0x0
	v_add_nc_u64_e32 v[6:7], v[8:9], v[6:7]
	s_and_not1_b32 exec_lo, exec_lo, s33
	s_cbranch_execz .LBB114_111
.LBB114_45:                             ; =>This Inner Loop Header: Depth=1
	ds_load_b64 v[8:9], v26
	v_add_nc_u32_e32 v2, 0x20000, v26
	ds_load_b64 v[10:11], v2
	s_wait_dscnt 0x0
	s_barrier_signal -1
	s_barrier_wait -1
	v_cmp_gt_i64_e64 s31, s[48:49], v[8:9]
	s_bcnt1_i32_b32 s75, s31
	s_delay_alu instid0(SALU_CYCLE_1) | instskip(NEXT) | instid1(VALU_DEP_1)
	v_dual_mov_b32 v2, s75 :: v_dual_bitop2_b32 v5, s31, v4 bitop3:0x40
	v_bcnt_u32_b32 v12, v5, 0
	ds_store_b64 v1, v[2:3]
	s_wait_dscnt 0x0
	s_barrier_signal -1
	s_barrier_wait -1
	s_and_saveexec_b32 s75, s0
	s_cbranch_execnz .LBB114_78
; %bb.46:                               ;   in Loop: Header=BB114_45 Depth=1
	s_or_b32 exec_lo, exec_lo, s75
	s_and_saveexec_b32 s75, s1
	s_cbranch_execnz .LBB114_79
.LBB114_47:                             ;   in Loop: Header=BB114_45 Depth=1
	s_or_b32 exec_lo, exec_lo, s75
	s_and_saveexec_b32 s75, s2
	s_cbranch_execnz .LBB114_80
.LBB114_48:                             ;   in Loop: Header=BB114_45 Depth=1
	s_or_b32 exec_lo, exec_lo, s75
	s_and_saveexec_b32 s75, s3
	s_cbranch_execnz .LBB114_81
.LBB114_49:                             ;   in Loop: Header=BB114_45 Depth=1
	s_or_b32 exec_lo, exec_lo, s75
	s_and_saveexec_b32 s75, s4
	s_cbranch_execnz .LBB114_82
.LBB114_50:                             ;   in Loop: Header=BB114_45 Depth=1
	s_or_b32 exec_lo, exec_lo, s75
	s_and_saveexec_b32 s75, s5
	s_cbranch_execnz .LBB114_83
.LBB114_51:                             ;   in Loop: Header=BB114_45 Depth=1
	s_or_b32 exec_lo, exec_lo, s75
	s_and_saveexec_b32 s75, s6
	s_cbranch_execnz .LBB114_84
.LBB114_52:                             ;   in Loop: Header=BB114_45 Depth=1
	s_or_b32 exec_lo, exec_lo, s75
	s_and_saveexec_b32 s75, s7
	s_cbranch_execnz .LBB114_85
.LBB114_53:                             ;   in Loop: Header=BB114_45 Depth=1
	s_or_b32 exec_lo, exec_lo, s75
	s_and_saveexec_b32 s75, s8
	s_cbranch_execnz .LBB114_86
.LBB114_54:                             ;   in Loop: Header=BB114_45 Depth=1
	s_or_b32 exec_lo, exec_lo, s75
	s_and_saveexec_b32 s75, s9
	s_cbranch_execnz .LBB114_87
.LBB114_55:                             ;   in Loop: Header=BB114_45 Depth=1
	s_or_b32 exec_lo, exec_lo, s75
	s_and_saveexec_b32 s75, s10
	s_cbranch_execnz .LBB114_88
.LBB114_56:                             ;   in Loop: Header=BB114_45 Depth=1
	s_or_b32 exec_lo, exec_lo, s75
	s_and_saveexec_b32 s75, s11
	s_cbranch_execnz .LBB114_89
.LBB114_57:                             ;   in Loop: Header=BB114_45 Depth=1
	s_or_b32 exec_lo, exec_lo, s75
	s_and_saveexec_b32 s75, s12
	s_cbranch_execnz .LBB114_90
.LBB114_58:                             ;   in Loop: Header=BB114_45 Depth=1
	s_or_b32 exec_lo, exec_lo, s75
	s_and_saveexec_b32 s75, s13
	s_cbranch_execnz .LBB114_91
.LBB114_59:                             ;   in Loop: Header=BB114_45 Depth=1
	s_or_b32 exec_lo, exec_lo, s75
	s_and_saveexec_b32 s75, s14
	s_cbranch_execnz .LBB114_92
.LBB114_60:                             ;   in Loop: Header=BB114_45 Depth=1
	s_or_b32 exec_lo, exec_lo, s75
	s_and_saveexec_b32 s75, s15
	s_cbranch_execnz .LBB114_93
.LBB114_61:                             ;   in Loop: Header=BB114_45 Depth=1
	s_or_b32 exec_lo, exec_lo, s75
	s_and_saveexec_b32 s75, s16
	s_cbranch_execnz .LBB114_94
.LBB114_62:                             ;   in Loop: Header=BB114_45 Depth=1
	s_or_b32 exec_lo, exec_lo, s75
	s_and_saveexec_b32 s75, s17
	s_cbranch_execnz .LBB114_95
.LBB114_63:                             ;   in Loop: Header=BB114_45 Depth=1
	s_or_b32 exec_lo, exec_lo, s75
	s_and_saveexec_b32 s75, s18
	s_cbranch_execnz .LBB114_96
.LBB114_64:                             ;   in Loop: Header=BB114_45 Depth=1
	s_or_b32 exec_lo, exec_lo, s75
	s_and_saveexec_b32 s75, s19
	s_cbranch_execnz .LBB114_97
.LBB114_65:                             ;   in Loop: Header=BB114_45 Depth=1
	s_or_b32 exec_lo, exec_lo, s75
	s_and_saveexec_b32 s75, s20
	s_cbranch_execnz .LBB114_98
.LBB114_66:                             ;   in Loop: Header=BB114_45 Depth=1
	s_or_b32 exec_lo, exec_lo, s75
	s_and_saveexec_b32 s75, s21
	s_cbranch_execnz .LBB114_99
.LBB114_67:                             ;   in Loop: Header=BB114_45 Depth=1
	s_or_b32 exec_lo, exec_lo, s75
	s_and_saveexec_b32 s75, s22
	s_cbranch_execnz .LBB114_100
.LBB114_68:                             ;   in Loop: Header=BB114_45 Depth=1
	s_or_b32 exec_lo, exec_lo, s75
	s_and_saveexec_b32 s75, s23
	s_cbranch_execnz .LBB114_101
.LBB114_69:                             ;   in Loop: Header=BB114_45 Depth=1
	s_or_b32 exec_lo, exec_lo, s75
	s_and_saveexec_b32 s75, s24
	s_cbranch_execnz .LBB114_102
.LBB114_70:                             ;   in Loop: Header=BB114_45 Depth=1
	s_or_b32 exec_lo, exec_lo, s75
	s_and_saveexec_b32 s75, s25
	s_cbranch_execnz .LBB114_103
.LBB114_71:                             ;   in Loop: Header=BB114_45 Depth=1
	s_or_b32 exec_lo, exec_lo, s75
	s_and_saveexec_b32 s75, s26
	s_cbranch_execnz .LBB114_104
.LBB114_72:                             ;   in Loop: Header=BB114_45 Depth=1
	s_or_b32 exec_lo, exec_lo, s75
	s_and_saveexec_b32 s75, s27
	s_cbranch_execnz .LBB114_105
.LBB114_73:                             ;   in Loop: Header=BB114_45 Depth=1
	s_or_b32 exec_lo, exec_lo, s75
	s_and_saveexec_b32 s75, s28
	s_cbranch_execnz .LBB114_106
.LBB114_74:                             ;   in Loop: Header=BB114_45 Depth=1
	s_or_b32 exec_lo, exec_lo, s75
	s_and_saveexec_b32 s75, s29
	s_cbranch_execnz .LBB114_107
.LBB114_75:                             ;   in Loop: Header=BB114_45 Depth=1
	s_or_b32 exec_lo, exec_lo, s75
	s_and_saveexec_b32 s75, s30
	s_cbranch_execnz .LBB114_108
.LBB114_76:                             ;   in Loop: Header=BB114_45 Depth=1
	s_or_b32 exec_lo, exec_lo, s75
	v_ashrrev_i32_e32 v13, 31, v12
	s_and_saveexec_b32 s75, s31
	s_cbranch_execnz .LBB114_109
.LBB114_77:                             ;   in Loop: Header=BB114_45 Depth=1
	s_or_b32 exec_lo, exec_lo, s75
	s_and_saveexec_b32 s31, vcc_lo
	s_cbranch_execz .LBB114_44
	s_branch .LBB114_110
.LBB114_78:                             ;   in Loop: Header=BB114_45 Depth=1
	v_mov_b32_e32 v2, s36
	ds_load_b32 v2, v2
	s_wait_dscnt 0x0
	v_add_nc_u32_e32 v12, v2, v12
	s_or_b32 exec_lo, exec_lo, s75
	s_and_saveexec_b32 s75, s1
	s_cbranch_execz .LBB114_47
.LBB114_79:                             ;   in Loop: Header=BB114_45 Depth=1
	v_mov_b32_e32 v2, s37
	ds_load_b32 v2, v2
	s_wait_dscnt 0x0
	v_add_nc_u32_e32 v12, v12, v2
	s_or_b32 exec_lo, exec_lo, s75
	s_and_saveexec_b32 s75, s2
	s_cbranch_execz .LBB114_48
.LBB114_80:                             ;   in Loop: Header=BB114_45 Depth=1
	v_mov_b32_e32 v2, s38
	ds_load_b32 v2, v2
	s_wait_dscnt 0x0
	v_add_nc_u32_e32 v12, v12, v2
	s_or_b32 exec_lo, exec_lo, s75
	s_and_saveexec_b32 s75, s3
	s_cbranch_execz .LBB114_49
.LBB114_81:                             ;   in Loop: Header=BB114_45 Depth=1
	v_mov_b32_e32 v2, s39
	ds_load_b32 v2, v2
	s_wait_dscnt 0x0
	v_add_nc_u32_e32 v12, v12, v2
	s_or_b32 exec_lo, exec_lo, s75
	s_and_saveexec_b32 s75, s4
	s_cbranch_execz .LBB114_50
.LBB114_82:                             ;   in Loop: Header=BB114_45 Depth=1
	v_mov_b32_e32 v2, s40
	ds_load_b32 v2, v2
	s_wait_dscnt 0x0
	v_add_nc_u32_e32 v12, v12, v2
	s_or_b32 exec_lo, exec_lo, s75
	s_and_saveexec_b32 s75, s5
	s_cbranch_execz .LBB114_51
.LBB114_83:                             ;   in Loop: Header=BB114_45 Depth=1
	v_mov_b32_e32 v2, s41
	ds_load_b32 v2, v2
	s_wait_dscnt 0x0
	v_add_nc_u32_e32 v12, v12, v2
	s_or_b32 exec_lo, exec_lo, s75
	s_and_saveexec_b32 s75, s6
	s_cbranch_execz .LBB114_52
.LBB114_84:                             ;   in Loop: Header=BB114_45 Depth=1
	v_mov_b32_e32 v2, s44
	ds_load_b32 v2, v2
	s_wait_dscnt 0x0
	v_add_nc_u32_e32 v12, v12, v2
	s_or_b32 exec_lo, exec_lo, s75
	s_and_saveexec_b32 s75, s7
	s_cbranch_execz .LBB114_53
.LBB114_85:                             ;   in Loop: Header=BB114_45 Depth=1
	v_mov_b32_e32 v2, s45
	ds_load_b32 v2, v2
	s_wait_dscnt 0x0
	v_add_nc_u32_e32 v12, v12, v2
	s_or_b32 exec_lo, exec_lo, s75
	s_and_saveexec_b32 s75, s8
	s_cbranch_execz .LBB114_54
.LBB114_86:                             ;   in Loop: Header=BB114_45 Depth=1
	v_mov_b32_e32 v2, s47
	ds_load_b32 v2, v2
	s_wait_dscnt 0x0
	v_add_nc_u32_e32 v12, v12, v2
	s_or_b32 exec_lo, exec_lo, s75
	s_and_saveexec_b32 s75, s9
	s_cbranch_execz .LBB114_55
.LBB114_87:                             ;   in Loop: Header=BB114_45 Depth=1
	v_mov_b32_e32 v2, s52
	ds_load_b32 v2, v2
	s_wait_dscnt 0x0
	v_add_nc_u32_e32 v12, v12, v2
	s_or_b32 exec_lo, exec_lo, s75
	s_and_saveexec_b32 s75, s10
	s_cbranch_execz .LBB114_56
.LBB114_88:                             ;   in Loop: Header=BB114_45 Depth=1
	v_mov_b32_e32 v2, s53
	ds_load_b32 v2, v2
	s_wait_dscnt 0x0
	v_add_nc_u32_e32 v12, v12, v2
	s_or_b32 exec_lo, exec_lo, s75
	s_and_saveexec_b32 s75, s11
	s_cbranch_execz .LBB114_57
.LBB114_89:                             ;   in Loop: Header=BB114_45 Depth=1
	v_mov_b32_e32 v2, s54
	ds_load_b32 v2, v2
	s_wait_dscnt 0x0
	v_add_nc_u32_e32 v12, v12, v2
	s_or_b32 exec_lo, exec_lo, s75
	s_and_saveexec_b32 s75, s12
	s_cbranch_execz .LBB114_58
.LBB114_90:                             ;   in Loop: Header=BB114_45 Depth=1
	v_mov_b32_e32 v2, s55
	ds_load_b32 v2, v2
	s_wait_dscnt 0x0
	v_add_nc_u32_e32 v12, v12, v2
	s_or_b32 exec_lo, exec_lo, s75
	s_and_saveexec_b32 s75, s13
	s_cbranch_execz .LBB114_59
.LBB114_91:                             ;   in Loop: Header=BB114_45 Depth=1
	v_mov_b32_e32 v2, s56
	ds_load_b32 v2, v2
	s_wait_dscnt 0x0
	v_add_nc_u32_e32 v12, v12, v2
	s_or_b32 exec_lo, exec_lo, s75
	s_and_saveexec_b32 s75, s14
	s_cbranch_execz .LBB114_60
.LBB114_92:                             ;   in Loop: Header=BB114_45 Depth=1
	v_mov_b32_e32 v2, s57
	ds_load_b32 v2, v2
	s_wait_dscnt 0x0
	v_add_nc_u32_e32 v12, v12, v2
	s_or_b32 exec_lo, exec_lo, s75
	s_and_saveexec_b32 s75, s15
	s_cbranch_execz .LBB114_61
.LBB114_93:                             ;   in Loop: Header=BB114_45 Depth=1
	v_mov_b32_e32 v2, s58
	ds_load_b32 v2, v2
	s_wait_dscnt 0x0
	v_add_nc_u32_e32 v12, v12, v2
	s_or_b32 exec_lo, exec_lo, s75
	s_and_saveexec_b32 s75, s16
	s_cbranch_execz .LBB114_62
.LBB114_94:                             ;   in Loop: Header=BB114_45 Depth=1
	v_mov_b32_e32 v2, s59
	ds_load_b32 v2, v2
	s_wait_dscnt 0x0
	v_add_nc_u32_e32 v12, v12, v2
	s_or_b32 exec_lo, exec_lo, s75
	s_and_saveexec_b32 s75, s17
	s_cbranch_execz .LBB114_63
.LBB114_95:                             ;   in Loop: Header=BB114_45 Depth=1
	v_mov_b32_e32 v2, s60
	ds_load_b32 v2, v2
	s_wait_dscnt 0x0
	v_add_nc_u32_e32 v12, v12, v2
	s_or_b32 exec_lo, exec_lo, s75
	s_and_saveexec_b32 s75, s18
	s_cbranch_execz .LBB114_64
.LBB114_96:                             ;   in Loop: Header=BB114_45 Depth=1
	v_mov_b32_e32 v2, s61
	ds_load_b32 v2, v2
	s_wait_dscnt 0x0
	v_add_nc_u32_e32 v12, v12, v2
	s_or_b32 exec_lo, exec_lo, s75
	s_and_saveexec_b32 s75, s19
	s_cbranch_execz .LBB114_65
.LBB114_97:                             ;   in Loop: Header=BB114_45 Depth=1
	v_mov_b32_e32 v2, s62
	ds_load_b32 v2, v2
	s_wait_dscnt 0x0
	v_add_nc_u32_e32 v12, v12, v2
	s_or_b32 exec_lo, exec_lo, s75
	s_and_saveexec_b32 s75, s20
	s_cbranch_execz .LBB114_66
.LBB114_98:                             ;   in Loop: Header=BB114_45 Depth=1
	v_mov_b32_e32 v2, s63
	ds_load_b32 v2, v2
	s_wait_dscnt 0x0
	v_add_nc_u32_e32 v12, v12, v2
	s_or_b32 exec_lo, exec_lo, s75
	s_and_saveexec_b32 s75, s21
	s_cbranch_execz .LBB114_67
.LBB114_99:                             ;   in Loop: Header=BB114_45 Depth=1
	v_mov_b32_e32 v2, s64
	ds_load_b32 v2, v2
	s_wait_dscnt 0x0
	v_add_nc_u32_e32 v12, v12, v2
	s_or_b32 exec_lo, exec_lo, s75
	s_and_saveexec_b32 s75, s22
	s_cbranch_execz .LBB114_68
.LBB114_100:                            ;   in Loop: Header=BB114_45 Depth=1
	v_mov_b32_e32 v2, s65
	ds_load_b32 v2, v2
	s_wait_dscnt 0x0
	v_add_nc_u32_e32 v12, v12, v2
	s_or_b32 exec_lo, exec_lo, s75
	s_and_saveexec_b32 s75, s23
	s_cbranch_execz .LBB114_69
.LBB114_101:                            ;   in Loop: Header=BB114_45 Depth=1
	v_mov_b32_e32 v2, s66
	ds_load_b32 v2, v2
	s_wait_dscnt 0x0
	v_add_nc_u32_e32 v12, v12, v2
	s_or_b32 exec_lo, exec_lo, s75
	s_and_saveexec_b32 s75, s24
	s_cbranch_execz .LBB114_70
.LBB114_102:                            ;   in Loop: Header=BB114_45 Depth=1
	v_mov_b32_e32 v2, s67
	ds_load_b32 v2, v2
	s_wait_dscnt 0x0
	v_add_nc_u32_e32 v12, v12, v2
	s_or_b32 exec_lo, exec_lo, s75
	s_and_saveexec_b32 s75, s25
	s_cbranch_execz .LBB114_71
.LBB114_103:                            ;   in Loop: Header=BB114_45 Depth=1
	v_mov_b32_e32 v2, s68
	ds_load_b32 v2, v2
	s_wait_dscnt 0x0
	v_add_nc_u32_e32 v12, v12, v2
	s_or_b32 exec_lo, exec_lo, s75
	s_and_saveexec_b32 s75, s26
	s_cbranch_execz .LBB114_72
.LBB114_104:                            ;   in Loop: Header=BB114_45 Depth=1
	v_mov_b32_e32 v2, s69
	ds_load_b32 v2, v2
	s_wait_dscnt 0x0
	v_add_nc_u32_e32 v12, v12, v2
	s_or_b32 exec_lo, exec_lo, s75
	s_and_saveexec_b32 s75, s27
	s_cbranch_execz .LBB114_73
.LBB114_105:                            ;   in Loop: Header=BB114_45 Depth=1
	v_mov_b32_e32 v2, s70
	ds_load_b32 v2, v2
	s_wait_dscnt 0x0
	v_add_nc_u32_e32 v12, v12, v2
	s_or_b32 exec_lo, exec_lo, s75
	s_and_saveexec_b32 s75, s28
	s_cbranch_execz .LBB114_74
.LBB114_106:                            ;   in Loop: Header=BB114_45 Depth=1
	v_mov_b32_e32 v2, s71
	ds_load_b32 v2, v2
	s_wait_dscnt 0x0
	v_add_nc_u32_e32 v12, v12, v2
	s_or_b32 exec_lo, exec_lo, s75
	s_and_saveexec_b32 s75, s29
	s_cbranch_execz .LBB114_75
.LBB114_107:                            ;   in Loop: Header=BB114_45 Depth=1
	v_mov_b32_e32 v2, s72
	ds_load_b32 v2, v2
	s_wait_dscnt 0x0
	v_add_nc_u32_e32 v12, v12, v2
	s_or_b32 exec_lo, exec_lo, s75
	s_and_saveexec_b32 s75, s30
	s_cbranch_execz .LBB114_76
.LBB114_108:                            ;   in Loop: Header=BB114_45 Depth=1
	v_mov_b32_e32 v2, s73
	ds_load_b32 v2, v2
	s_wait_dscnt 0x0
	v_add_nc_u32_e32 v12, v12, v2
	s_or_b32 exec_lo, exec_lo, s75
	s_delay_alu instid0(VALU_DEP_1)
	v_ashrrev_i32_e32 v13, 31, v12
	s_and_saveexec_b32 s75, s31
	s_cbranch_execz .LBB114_77
.LBB114_109:                            ;   in Loop: Header=BB114_45 Depth=1
	v_add3_u32 v2, v6, -1, v12
	s_delay_alu instid0(VALU_DEP_1) | instskip(NEXT) | instid1(VALU_DEP_1)
	v_lshl_add_u32 v2, v2, 3, 0
	v_add_nc_u32_e32 v5, 0x20000, v2
	ds_store_b64 v2, v[8:9]
	ds_store_b64 v5, v[10:11]
	s_or_b32 exec_lo, exec_lo, s75
	s_and_saveexec_b32 s31, vcc_lo
	s_cbranch_execz .LBB114_44
.LBB114_110:                            ;   in Loop: Header=BB114_45 Depth=1
	v_mov_b32_e32 v2, s74
	ds_store_b64 v2, v[12:13]
	s_branch .LBB114_44
.LBB114_111:
	s_or_b32 exec_lo, exec_lo, s33
	s_wait_kmcnt 0x0
	s_lshl_b64 s[0:1], s[50:51], 3
	v_mov_b32_e32 v1, 0
	s_add_nc_u64 s[4:5], s[42:43], s[0:1]
	s_mov_b32 s6, exec_lo
	s_load_b128 s[0:3], s[4:5], 0x0
	s_wait_kmcnt 0x0
	s_sub_nc_u64 s[4:5], s[2:3], s[0:1]
	s_delay_alu instid0(SALU_CYCLE_1)
	v_cmpx_gt_i64_e64 s[4:5], v[0:1]
	s_cbranch_execz .LBB114_121
; %bb.112:
	s_sub_nc_u64 s[8:9], s[0:1], s[2:3]
	s_and_b64 s[6:7], s[4:5], 7
	v_cmp_lt_u64_e64 s10, s[8:9], -7
	s_and_b64 s[2:3], s[4:5], -8
	s_mov_b32 s47, 0
	s_cmp_lg_u64 s[6:7], 0
	s_sub_nc_u64 s[0:1], s[0:1], s[46:47]
	s_cselect_b32 s11, -1, 0
	s_mov_b32 s12, 0
	s_branch .LBB114_114
.LBB114_113:                            ;   in Loop: Header=BB114_114 Depth=1
	v_add_nc_u64_e32 v[0:1], 0x400, v[0:1]
	s_wait_dscnt 0x1
	s_delay_alu instid0(VALU_DEP_2)
	v_lshl_add_u64 v[4:5], v[6:7], 3, s[34:35]
	s_wait_dscnt 0x0
	global_store_b64 v[4:5], v[2:3], off
	v_cmp_le_i64_e32 vcc_lo, s[4:5], v[0:1]
	s_or_b32 s12, vcc_lo, s12
	s_wait_xcnt 0x0
	s_and_not1_b32 exec_lo, exec_lo, s12
	s_cbranch_execz .LBB114_121
.LBB114_114:                            ; =>This Loop Header: Depth=1
                                        ;     Child Loop BB114_116 Depth 2
                                        ;     Child Loop BB114_120 Depth 2
	v_lshl_add_u32 v2, v0, 3, 0
	v_mov_b64_e32 v[6:7], s[0:1]
	s_and_not1_b32 vcc_lo, exec_lo, s10
	s_mov_b64 s[8:9], 0
	s_delay_alu instid0(VALU_DEP_2)
	v_add_nc_u32_e32 v3, 0x20000, v2
	ds_load_b64 v[4:5], v2
	ds_load_b64 v[2:3], v3
	s_cbranch_vccnz .LBB114_118
; %bb.115:                              ;   in Loop: Header=BB114_114 Depth=1
	v_mov_b64_e32 v[6:7], s[0:1]
	s_mov_b32 s13, 0
.LBB114_116:                            ;   Parent Loop BB114_114 Depth=1
                                        ; =>  This Inner Loop Header: Depth=2
	s_delay_alu instid0(SALU_CYCLE_1)
	v_dual_mov_b32 v20, s13 :: v_dual_mov_b32 v17, s47
	v_mov_b32_e32 v19, s47
	s_add_nc_u64 s[8:9], s[8:9], 8
	s_add_co_i32 s13, s13, 64
	ds_load_2addr_b64 v[8:11], v20 offset1:1
	ds_load_2addr_b64 v[12:15], v20 offset0:2 offset1:3
	s_cmp_eq_u64 s[2:3], s[8:9]
	s_wait_dscnt 0x1
	v_cmp_gt_i64_e32 vcc_lo, v[4:5], v[8:9]
	v_cndmask_b32_e64 v16, 0, 1, vcc_lo
	v_cmp_gt_i64_e32 vcc_lo, v[4:5], v[10:11]
	s_delay_alu instid0(VALU_DEP_2) | instskip(SKIP_4) | instid1(VALU_DEP_2)
	v_add_nc_u64_e32 v[10:11], v[6:7], v[16:17]
	ds_load_2addr_b64 v[6:9], v20 offset0:4 offset1:5
	v_cndmask_b32_e64 v18, 0, 1, vcc_lo
	s_wait_dscnt 0x1
	v_cmp_gt_i64_e32 vcc_lo, v[4:5], v[12:13]
	v_add_nc_u64_e32 v[10:11], v[10:11], v[18:19]
	v_cndmask_b32_e64 v16, 0, 1, vcc_lo
	v_cmp_gt_i64_e32 vcc_lo, v[4:5], v[14:15]
	s_delay_alu instid0(VALU_DEP_2)
	v_add_nc_u64_e32 v[14:15], v[10:11], v[16:17]
	ds_load_2addr_b64 v[10:13], v20 offset0:6 offset1:7
	v_cndmask_b32_e64 v18, 0, 1, vcc_lo
	s_wait_dscnt 0x1
	v_cmp_gt_i64_e32 vcc_lo, v[4:5], v[6:7]
	v_mov_b32_e32 v7, s47
	s_delay_alu instid0(VALU_DEP_3) | instskip(SKIP_3) | instid1(VALU_DEP_3)
	v_add_nc_u64_e32 v[14:15], v[14:15], v[18:19]
	v_cndmask_b32_e64 v16, 0, 1, vcc_lo
	v_cmp_gt_i64_e32 vcc_lo, v[4:5], v[8:9]
	v_mov_b32_e32 v9, s47
	v_add_nc_u64_e32 v[14:15], v[14:15], v[16:17]
	v_cndmask_b32_e64 v6, 0, 1, vcc_lo
	s_wait_dscnt 0x0
	v_cmp_gt_i64_e32 vcc_lo, v[4:5], v[10:11]
	v_mov_b32_e32 v11, s47
	s_delay_alu instid0(VALU_DEP_3) | instskip(SKIP_2) | instid1(VALU_DEP_2)
	v_add_nc_u64_e32 v[6:7], v[14:15], v[6:7]
	v_cndmask_b32_e64 v8, 0, 1, vcc_lo
	v_cmp_gt_i64_e32 vcc_lo, v[4:5], v[12:13]
	v_add_nc_u64_e32 v[6:7], v[6:7], v[8:9]
	v_cndmask_b32_e64 v10, 0, 1, vcc_lo
	s_delay_alu instid0(VALU_DEP_1)
	v_add_nc_u64_e32 v[6:7], v[6:7], v[10:11]
	s_cbranch_scc0 .LBB114_116
; %bb.117:                              ;   in Loop: Header=BB114_114 Depth=1
	s_mov_b64 s[8:9], s[2:3]
.LBB114_118:                            ;   in Loop: Header=BB114_114 Depth=1
	s_and_not1_b32 vcc_lo, exec_lo, s11
	s_cbranch_vccnz .LBB114_113
; %bb.119:                              ;   in Loop: Header=BB114_114 Depth=1
	s_lshl_b32 s8, s8, 3
	s_delay_alu instid0(SALU_CYCLE_1)
	s_add_co_i32 s13, s8, 0
	s_mov_b64 s[8:9], s[6:7]
.LBB114_120:                            ;   Parent Loop BB114_114 Depth=1
                                        ; =>  This Inner Loop Header: Depth=2
	v_dual_mov_b32 v8, s13 :: v_dual_mov_b32 v11, s47
	s_add_nc_u64 s[8:9], s[8:9], -1
	s_add_co_i32 s13, s13, 8
	s_cmp_lg_u64 s[8:9], 0
	ds_load_b64 v[8:9], v8
	s_wait_dscnt 0x0
	v_cmp_gt_i64_e32 vcc_lo, v[4:5], v[8:9]
	v_cndmask_b32_e64 v10, 0, 1, vcc_lo
	s_delay_alu instid0(VALU_DEP_1)
	v_add_nc_u64_e32 v[6:7], v[6:7], v[10:11]
	s_cbranch_scc1 .LBB114_120
	s_branch .LBB114_113
.LBB114_121:
	s_endpgm
	.section	.rodata,"a",@progbits
	.p2align	6, 0x0
	.amdhsa_kernel _ZN9rocsparseL41csrgemm_numeric_fill_block_per_row_kernelILj1024ELj64ELj16384ELj137ELj32ElldEEvT5_PKS1_S3_NS_24const_host_device_scalarIT6_EEPKT4_S3_PKS5_S9_S3_SB_S6_S9_S3_SB_S9_S3_PS5_21rocsparse_index_base_SD_SD_SD_bbb
		.amdhsa_group_segment_fixed_size 0
		.amdhsa_private_segment_fixed_size 0
		.amdhsa_kernarg_size 156
		.amdhsa_user_sgpr_count 2
		.amdhsa_user_sgpr_dispatch_ptr 0
		.amdhsa_user_sgpr_queue_ptr 0
		.amdhsa_user_sgpr_kernarg_segment_ptr 1
		.amdhsa_user_sgpr_dispatch_id 0
		.amdhsa_user_sgpr_kernarg_preload_length 0
		.amdhsa_user_sgpr_kernarg_preload_offset 0
		.amdhsa_user_sgpr_private_segment_size 0
		.amdhsa_wavefront_size32 1
		.amdhsa_uses_dynamic_stack 0
		.amdhsa_enable_private_segment 0
		.amdhsa_system_sgpr_workgroup_id_x 1
		.amdhsa_system_sgpr_workgroup_id_y 0
		.amdhsa_system_sgpr_workgroup_id_z 0
		.amdhsa_system_sgpr_workgroup_info 0
		.amdhsa_system_vgpr_workitem_id 0
		.amdhsa_next_free_vgpr 28
		.amdhsa_next_free_sgpr 76
		.amdhsa_named_barrier_count 0
		.amdhsa_reserve_vcc 1
		.amdhsa_float_round_mode_32 0
		.amdhsa_float_round_mode_16_64 0
		.amdhsa_float_denorm_mode_32 3
		.amdhsa_float_denorm_mode_16_64 3
		.amdhsa_fp16_overflow 0
		.amdhsa_memory_ordered 1
		.amdhsa_forward_progress 1
		.amdhsa_inst_pref_size 36
		.amdhsa_round_robin_scheduling 0
		.amdhsa_exception_fp_ieee_invalid_op 0
		.amdhsa_exception_fp_denorm_src 0
		.amdhsa_exception_fp_ieee_div_zero 0
		.amdhsa_exception_fp_ieee_overflow 0
		.amdhsa_exception_fp_ieee_underflow 0
		.amdhsa_exception_fp_ieee_inexact 0
		.amdhsa_exception_int_div_zero 0
	.end_amdhsa_kernel
	.section	.text._ZN9rocsparseL41csrgemm_numeric_fill_block_per_row_kernelILj1024ELj64ELj16384ELj137ELj32ElldEEvT5_PKS1_S3_NS_24const_host_device_scalarIT6_EEPKT4_S3_PKS5_S9_S3_SB_S6_S9_S3_SB_S9_S3_PS5_21rocsparse_index_base_SD_SD_SD_bbb,"axG",@progbits,_ZN9rocsparseL41csrgemm_numeric_fill_block_per_row_kernelILj1024ELj64ELj16384ELj137ELj32ElldEEvT5_PKS1_S3_NS_24const_host_device_scalarIT6_EEPKT4_S3_PKS5_S9_S3_SB_S6_S9_S3_SB_S9_S3_PS5_21rocsparse_index_base_SD_SD_SD_bbb,comdat
.Lfunc_end114:
	.size	_ZN9rocsparseL41csrgemm_numeric_fill_block_per_row_kernelILj1024ELj64ELj16384ELj137ELj32ElldEEvT5_PKS1_S3_NS_24const_host_device_scalarIT6_EEPKT4_S3_PKS5_S9_S3_SB_S6_S9_S3_SB_S9_S3_PS5_21rocsparse_index_base_SD_SD_SD_bbb, .Lfunc_end114-_ZN9rocsparseL41csrgemm_numeric_fill_block_per_row_kernelILj1024ELj64ELj16384ELj137ELj32ElldEEvT5_PKS1_S3_NS_24const_host_device_scalarIT6_EEPKT4_S3_PKS5_S9_S3_SB_S6_S9_S3_SB_S9_S3_PS5_21rocsparse_index_base_SD_SD_SD_bbb
                                        ; -- End function
	.set _ZN9rocsparseL41csrgemm_numeric_fill_block_per_row_kernelILj1024ELj64ELj16384ELj137ELj32ElldEEvT5_PKS1_S3_NS_24const_host_device_scalarIT6_EEPKT4_S3_PKS5_S9_S3_SB_S6_S9_S3_SB_S9_S3_PS5_21rocsparse_index_base_SD_SD_SD_bbb.num_vgpr, 28
	.set _ZN9rocsparseL41csrgemm_numeric_fill_block_per_row_kernelILj1024ELj64ELj16384ELj137ELj32ElldEEvT5_PKS1_S3_NS_24const_host_device_scalarIT6_EEPKT4_S3_PKS5_S9_S3_SB_S6_S9_S3_SB_S9_S3_PS5_21rocsparse_index_base_SD_SD_SD_bbb.num_agpr, 0
	.set _ZN9rocsparseL41csrgemm_numeric_fill_block_per_row_kernelILj1024ELj64ELj16384ELj137ELj32ElldEEvT5_PKS1_S3_NS_24const_host_device_scalarIT6_EEPKT4_S3_PKS5_S9_S3_SB_S6_S9_S3_SB_S9_S3_PS5_21rocsparse_index_base_SD_SD_SD_bbb.numbered_sgpr, 76
	.set _ZN9rocsparseL41csrgemm_numeric_fill_block_per_row_kernelILj1024ELj64ELj16384ELj137ELj32ElldEEvT5_PKS1_S3_NS_24const_host_device_scalarIT6_EEPKT4_S3_PKS5_S9_S3_SB_S6_S9_S3_SB_S9_S3_PS5_21rocsparse_index_base_SD_SD_SD_bbb.num_named_barrier, 0
	.set _ZN9rocsparseL41csrgemm_numeric_fill_block_per_row_kernelILj1024ELj64ELj16384ELj137ELj32ElldEEvT5_PKS1_S3_NS_24const_host_device_scalarIT6_EEPKT4_S3_PKS5_S9_S3_SB_S6_S9_S3_SB_S9_S3_PS5_21rocsparse_index_base_SD_SD_SD_bbb.private_seg_size, 0
	.set _ZN9rocsparseL41csrgemm_numeric_fill_block_per_row_kernelILj1024ELj64ELj16384ELj137ELj32ElldEEvT5_PKS1_S3_NS_24const_host_device_scalarIT6_EEPKT4_S3_PKS5_S9_S3_SB_S6_S9_S3_SB_S9_S3_PS5_21rocsparse_index_base_SD_SD_SD_bbb.uses_vcc, 1
	.set _ZN9rocsparseL41csrgemm_numeric_fill_block_per_row_kernelILj1024ELj64ELj16384ELj137ELj32ElldEEvT5_PKS1_S3_NS_24const_host_device_scalarIT6_EEPKT4_S3_PKS5_S9_S3_SB_S6_S9_S3_SB_S9_S3_PS5_21rocsparse_index_base_SD_SD_SD_bbb.uses_flat_scratch, 0
	.set _ZN9rocsparseL41csrgemm_numeric_fill_block_per_row_kernelILj1024ELj64ELj16384ELj137ELj32ElldEEvT5_PKS1_S3_NS_24const_host_device_scalarIT6_EEPKT4_S3_PKS5_S9_S3_SB_S6_S9_S3_SB_S9_S3_PS5_21rocsparse_index_base_SD_SD_SD_bbb.has_dyn_sized_stack, 0
	.set _ZN9rocsparseL41csrgemm_numeric_fill_block_per_row_kernelILj1024ELj64ELj16384ELj137ELj32ElldEEvT5_PKS1_S3_NS_24const_host_device_scalarIT6_EEPKT4_S3_PKS5_S9_S3_SB_S6_S9_S3_SB_S9_S3_PS5_21rocsparse_index_base_SD_SD_SD_bbb.has_recursion, 0
	.set _ZN9rocsparseL41csrgemm_numeric_fill_block_per_row_kernelILj1024ELj64ELj16384ELj137ELj32ElldEEvT5_PKS1_S3_NS_24const_host_device_scalarIT6_EEPKT4_S3_PKS5_S9_S3_SB_S6_S9_S3_SB_S9_S3_PS5_21rocsparse_index_base_SD_SD_SD_bbb.has_indirect_call, 0
	.section	.AMDGPU.csdata,"",@progbits
; Kernel info:
; codeLenInByte = 4568
; TotalNumSgprs: 78
; NumVgprs: 28
; ScratchSize: 0
; MemoryBound: 0
; FloatMode: 240
; IeeeMode: 1
; LDSByteSize: 0 bytes/workgroup (compile time only)
; SGPRBlocks: 0
; VGPRBlocks: 1
; NumSGPRsForWavesPerEU: 78
; NumVGPRsForWavesPerEU: 28
; NamedBarCnt: 0
; Occupancy: 16
; WaveLimiterHint : 1
; COMPUTE_PGM_RSRC2:SCRATCH_EN: 0
; COMPUTE_PGM_RSRC2:USER_SGPR: 2
; COMPUTE_PGM_RSRC2:TRAP_HANDLER: 0
; COMPUTE_PGM_RSRC2:TGID_X_EN: 1
; COMPUTE_PGM_RSRC2:TGID_Y_EN: 0
; COMPUTE_PGM_RSRC2:TGID_Z_EN: 0
; COMPUTE_PGM_RSRC2:TIDIG_COMP_CNT: 0
	.section	.text._ZN9rocsparseL41csrgemm_numeric_fill_block_per_row_kernelILj1024ELj64ELj16384ELj137ELj64ElldEEvT5_PKS1_S3_NS_24const_host_device_scalarIT6_EEPKT4_S3_PKS5_S9_S3_SB_S6_S9_S3_SB_S9_S3_PS5_21rocsparse_index_base_SD_SD_SD_bbb,"axG",@progbits,_ZN9rocsparseL41csrgemm_numeric_fill_block_per_row_kernelILj1024ELj64ELj16384ELj137ELj64ElldEEvT5_PKS1_S3_NS_24const_host_device_scalarIT6_EEPKT4_S3_PKS5_S9_S3_SB_S6_S9_S3_SB_S9_S3_PS5_21rocsparse_index_base_SD_SD_SD_bbb,comdat
	.globl	_ZN9rocsparseL41csrgemm_numeric_fill_block_per_row_kernelILj1024ELj64ELj16384ELj137ELj64ElldEEvT5_PKS1_S3_NS_24const_host_device_scalarIT6_EEPKT4_S3_PKS5_S9_S3_SB_S6_S9_S3_SB_S9_S3_PS5_21rocsparse_index_base_SD_SD_SD_bbb ; -- Begin function _ZN9rocsparseL41csrgemm_numeric_fill_block_per_row_kernelILj1024ELj64ELj16384ELj137ELj64ElldEEvT5_PKS1_S3_NS_24const_host_device_scalarIT6_EEPKT4_S3_PKS5_S9_S3_SB_S6_S9_S3_SB_S9_S3_PS5_21rocsparse_index_base_SD_SD_SD_bbb
	.p2align	8
	.type	_ZN9rocsparseL41csrgemm_numeric_fill_block_per_row_kernelILj1024ELj64ELj16384ELj137ELj64ElldEEvT5_PKS1_S3_NS_24const_host_device_scalarIT6_EEPKT4_S3_PKS5_S9_S3_SB_S6_S9_S3_SB_S9_S3_PS5_21rocsparse_index_base_SD_SD_SD_bbb,@function
_ZN9rocsparseL41csrgemm_numeric_fill_block_per_row_kernelILj1024ELj64ELj16384ELj137ELj64ElldEEvT5_PKS1_S3_NS_24const_host_device_scalarIT6_EEPKT4_S3_PKS5_S9_S3_SB_S6_S9_S3_SB_S9_S3_PS5_21rocsparse_index_base_SD_SD_SD_bbb: ; @_ZN9rocsparseL41csrgemm_numeric_fill_block_per_row_kernelILj1024ELj64ELj16384ELj137ELj64ElldEEvT5_PKS1_S3_NS_24const_host_device_scalarIT6_EEPKT4_S3_PKS5_S9_S3_SB_S6_S9_S3_SB_S9_S3_PS5_21rocsparse_index_base_SD_SD_SD_bbb
; %bb.0:
	s_clause 0x3
	s_load_b32 s6, s[0:1], 0x98
	s_load_b64 s[2:3], s[0:1], 0x18
	s_load_b128 s[20:23], s[0:1], 0x88
	s_load_b64 s[4:5], s[0:1], 0x50
	s_wait_kmcnt 0x0
	s_bitcmp1_b32 s6, 0
	s_cselect_b32 s36, -1, 0
	s_bitcmp1_b32 s6, 16
	s_cselect_b32 s7, -1, 0
	s_xor_b32 s8, s36, -1
	s_delay_alu instid0(SALU_CYCLE_1)
	s_or_b32 s10, s7, s8
	s_and_b32 s8, s36, exec_lo
	s_cselect_b32 s9, s3, 0
	s_cselect_b32 s8, s2, 0
	s_and_b32 vcc_lo, exec_lo, s10
	v_mov_b64_e32 v[6:7], s[8:9]
	s_cbranch_vccnz .LBB115_2
; %bb.1:
	v_mov_b32_e32 v1, 0
	flat_load_b64 v[6:7], v1, s[2:3]
.LBB115_2:
	s_wait_xcnt 0x0
	s_load_b64 s[2:3], s[0:1], 0x8
	s_bitcmp1_b32 s6, 8
	s_cselect_b32 s33, -1, 0
	s_delay_alu instid0(SALU_CYCLE_1) | instskip(NEXT) | instid1(SALU_CYCLE_1)
	s_xor_b32 s6, s33, -1
	s_or_b32 s8, s7, s6
	s_and_b32 s6, s33, exec_lo
	s_cselect_b32 s7, s5, 0
	s_cselect_b32 s6, s4, 0
	s_and_b32 vcc_lo, exec_lo, s8
	v_mov_b64_e32 v[2:3], s[6:7]
	s_cbranch_vccnz .LBB115_4
; %bb.3:
	v_mov_b32_e32 v1, 0
	flat_load_b64 v[2:3], v1, s[4:5]
.LBB115_4:
	s_clause 0x5
	s_load_b64 s[30:31], s[0:1], 0x0
	s_load_b64 s[34:35], s[0:1], 0x10
	;; [unrolled: 1-line block ×3, first 2 shown]
	s_load_b256 s[12:19], s[0:1], 0x58
	s_load_b128 s[24:27], s[0:1], 0x40
	s_load_b256 s[4:11], s[0:1], 0x20
	v_lshl_add_u32 v28, v0, 3, 0
	v_or_b32_e32 v29, 0xfffffc00, v0
	v_mov_b64_e32 v[4:5], 0
	s_wait_xcnt 0x0
	s_mov_b32 s0, 0
	s_delay_alu instid0(VALU_DEP_2)
	v_dual_mov_b32 v1, v28 :: v_dual_mov_b32 v10, v29
	s_wait_kmcnt 0x0
	v_mov_b64_e32 v[8:9], s[30:31]
.LBB115_5:                              ; =>This Inner Loop Header: Depth=1
	s_delay_alu instid0(VALU_DEP_2) | instskip(NEXT) | instid1(VALU_DEP_3)
	v_add_nc_u32_e32 v10, 0x400, v10
	v_add_nc_u32_e32 v11, 0x20000, v1
	ds_store_b64 v1, v[8:9]
	v_add_nc_u32_e32 v1, 0x2000, v1
	v_cmp_lt_u32_e32 vcc_lo, 0x3bff, v10
	ds_store_b64 v11, v[4:5]
	s_or_b32 s0, vcc_lo, s0
	s_delay_alu instid0(SALU_CYCLE_1)
	s_and_not1_b32 exec_lo, exec_lo, s0
	s_cbranch_execnz .LBB115_5
; %bb.6:
	s_or_b32 exec_lo, exec_lo, s0
	s_wait_loadcnt_dscnt 0x0
	s_barrier_signal -1
	s_barrier_wait -1
	s_load_b64 s[0:1], s[2:3], 0x0
	s_wait_xcnt 0x0
	s_bfe_u32 s2, ttmp6, 0x4000c
	s_and_b32 s3, ttmp6, 15
	s_add_co_i32 s2, s2, 1
	s_getreg_b32 s37, hwreg(HW_REG_IB_STS2, 6, 4)
	s_mul_i32 s2, ttmp9, s2
	v_lshrrev_b32_e32 v4, 6, v0
	s_add_co_i32 s3, s3, s2
	s_wait_kmcnt 0x0
	s_lshl_b64 s[0:1], s[0:1], 3
	s_cmp_eq_u32 s37, 0
	s_add_nc_u64 s[0:1], s[34:35], s[0:1]
	s_cselect_b32 s2, ttmp9, s3
	s_and_b32 vcc_lo, exec_lo, s36
	s_load_b64 s[34:35], s[0:1], s2 offset:0x0 scale_offset
	s_wait_xcnt 0x0
	s_mov_b32 s1, 0
	s_cbranch_vccz .LBB115_26
; %bb.7:
	s_wait_kmcnt 0x0
	s_lshl_b64 s[2:3], s[34:35], 3
	v_mov_b32_e32 v5, 0
	s_add_nc_u64 s[2:3], s[4:5], s[2:3]
	s_mov_b32 s0, s20
	s_load_b128 s[36:39], s[2:3], 0x0
	s_mov_b32 s20, exec_lo
	v_sub_nc_u64_e64 v[8:9], v[4:5], s[0:1]
	s_wait_kmcnt 0x0
	s_delay_alu instid0(VALU_DEP_1)
	v_add_nc_u64_e32 v[8:9], s[36:37], v[8:9]
	s_sub_nc_u64 s[2:3], s[38:39], s[0:1]
	s_delay_alu instid0(VALU_DEP_1) | instid1(SALU_CYCLE_1)
	v_cmpx_gt_i64_e64 s[2:3], v[8:9]
	s_cbranch_execz .LBB115_25
; %bb.8:
	v_dual_mov_b32 v11, v5 :: v_dual_bitop2_b32 v10, 63, v0 bitop3:0x40
	s_mov_b32 s5, 0
	s_mov_b32 s4, s21
	;; [unrolled: 1-line block ×3, first 2 shown]
	s_delay_alu instid0(VALU_DEP_1)
	v_sub_nc_u64_e64 v[10:11], v[10:11], s[4:5]
	s_branch .LBB115_10
.LBB115_9:                              ;   in Loop: Header=BB115_10 Depth=1
	s_or_b32 exec_lo, exec_lo, s36
	v_add_nc_u64_e32 v[8:9], 16, v[8:9]
	s_delay_alu instid0(VALU_DEP_1) | instskip(SKIP_1) | instid1(SALU_CYCLE_1)
	v_cmp_le_i64_e32 vcc_lo, s[2:3], v[8:9]
	s_or_b32 s21, vcc_lo, s21
	s_and_not1_b32 exec_lo, exec_lo, s21
	s_cbranch_execz .LBB115_25
.LBB115_10:                             ; =>This Loop Header: Depth=1
                                        ;     Child Loop BB115_14 Depth 2
                                        ;       Child Loop BB115_17 Depth 3
	v_lshl_add_u64 v[12:13], v[8:9], 3, s[6:7]
	s_mov_b32 s36, exec_lo
	global_load_b64 v[12:13], v[12:13], off
	s_wait_loadcnt 0x0
	s_wait_xcnt 0x0
	v_sub_nc_u64_e64 v[12:13], v[12:13], s[0:1]
	s_delay_alu instid0(VALU_DEP_1)
	v_lshl_add_u64 v[12:13], v[12:13], 3, s[10:11]
	global_load_b128 v[14:17], v[12:13], off
	s_wait_loadcnt 0x0
	s_wait_xcnt 0x0
	v_sub_nc_u64_e64 v[12:13], v[16:17], s[4:5]
	v_add_nc_u64_e32 v[14:15], v[14:15], v[10:11]
	s_delay_alu instid0(VALU_DEP_1)
	v_cmpx_lt_i64_e64 v[14:15], v[12:13]
	s_cbranch_execz .LBB115_9
; %bb.11:                               ;   in Loop: Header=BB115_10 Depth=1
	v_lshl_add_u64 v[16:17], v[8:9], 3, s[8:9]
	s_mov_b32 s37, 0
	global_load_b64 v[16:17], v[16:17], off
	s_wait_loadcnt 0x0
	s_wait_xcnt 0x0
	v_mul_f64_e32 v[16:17], v[6:7], v[16:17]
	s_branch .LBB115_14
.LBB115_12:                             ;   in Loop: Header=BB115_14 Depth=2
	s_or_b32 exec_lo, exec_lo, s39
.LBB115_13:                             ;   in Loop: Header=BB115_14 Depth=2
	s_delay_alu instid0(SALU_CYCLE_1) | instskip(SKIP_3) | instid1(VALU_DEP_2)
	s_or_b32 exec_lo, exec_lo, s38
	s_wait_loadcnt 0x0
	v_dual_mul_f64 v[18:19], v[16:17], v[18:19] :: v_dual_lshlrev_b32 v1, 3, v20
	v_add_nc_u64_e32 v[14:15], 64, v[14:15]
	v_add3_u32 v1, 0, v1, 0x20000
	s_delay_alu instid0(VALU_DEP_2)
	v_cmp_ge_i64_e32 vcc_lo, v[14:15], v[12:13]
	s_or_b32 s37, vcc_lo, s37
	ds_add_f64 v1, v[18:19]
	s_and_not1_b32 exec_lo, exec_lo, s37
	s_cbranch_execz .LBB115_9
.LBB115_14:                             ;   Parent Loop BB115_10 Depth=1
                                        ; =>  This Loop Header: Depth=2
                                        ;       Child Loop BB115_17 Depth 3
	v_lshlrev_b64_e32 v[18:19], 3, v[14:15]
	s_mov_b32 s38, exec_lo
	s_delay_alu instid0(VALU_DEP_1)
	v_add_nc_u64_e32 v[20:21], s[24:25], v[18:19]
	v_add_nc_u64_e32 v[18:19], s[26:27], v[18:19]
	global_load_b64 v[20:21], v[20:21], off
	global_load_b64 v[18:19], v[18:19], off
	s_wait_loadcnt 0x1
	v_sub_nc_u64_e64 v[22:23], v[20:21], s[4:5]
	s_delay_alu instid0(VALU_DEP_1) | instskip(SKIP_1) | instid1(VALU_DEP_1)
	v_mul_lo_u32 v1, 0x89, v22
	s_wait_xcnt 0x1
	v_and_b32_e32 v20, 0x3fff, v1
	s_delay_alu instid0(VALU_DEP_1)
	v_lshl_add_u32 v1, v20, 3, 0
	ds_load_b64 v[26:27], v1
	s_wait_dscnt 0x0
	s_wait_xcnt 0x0
	v_cmpx_ne_u64_e64 v[26:27], v[22:23]
	s_cbranch_execz .LBB115_13
; %bb.15:                               ;   in Loop: Header=BB115_14 Depth=2
	s_mov_b32 s39, 0
                                        ; implicit-def: $sgpr40
                                        ; implicit-def: $sgpr41
	s_branch .LBB115_17
.LBB115_16:                             ;   in Loop: Header=BB115_17 Depth=3
	s_or_b32 exec_lo, exec_lo, s44
	s_delay_alu instid0(SALU_CYCLE_1) | instskip(NEXT) | instid1(SALU_CYCLE_1)
	s_and_b32 s42, exec_lo, s43
	s_or_b32 s39, s42, s39
	s_and_not1_b32 s40, s40, exec_lo
	s_and_b32 s42, s41, exec_lo
	s_delay_alu instid0(SALU_CYCLE_1)
	s_or_b32 s40, s40, s42
	s_and_not1_b32 exec_lo, exec_lo, s39
	s_cbranch_execz .LBB115_23
.LBB115_17:                             ;   Parent Loop BB115_10 Depth=1
                                        ;     Parent Loop BB115_14 Depth=2
                                        ; =>    This Inner Loop Header: Depth=3
	v_mov_b64_e32 v[24:25], v[20:21]
	s_mov_b32 s42, 0
	s_mov_b32 s43, exec_lo
                                        ; implicit-def: $vgpr20_vgpr21
	v_cmpx_ne_u64_e64 s[30:31], v[26:27]
	s_xor_b32 s43, exec_lo, s43
; %bb.18:                               ;   in Loop: Header=BB115_17 Depth=3
	s_delay_alu instid0(VALU_DEP_2) | instskip(SKIP_1) | instid1(VALU_DEP_1)
	v_add_nc_u32_e32 v1, 1, v24
	s_mov_b32 s42, exec_lo
	v_and_b32_e32 v20, 0x3fff, v1
                                        ; implicit-def: $vgpr1
; %bb.19:                               ;   in Loop: Header=BB115_17 Depth=3
	s_and_not1_saveexec_b32 s43, s43
	s_cbranch_execz .LBB115_21
; %bb.20:                               ;   in Loop: Header=BB115_17 Depth=3
	v_mov_b64_e32 v[20:21], s[30:31]
	s_and_not1_b32 s42, s42, exec_lo
	ds_cmpstore_rtn_b64 v[20:21], v1, v[22:23], v[20:21]
	s_wait_dscnt 0x0
	v_cmp_ne_u64_e32 vcc_lo, s[30:31], v[20:21]
	v_mov_b64_e32 v[20:21], v[24:25]
	s_and_b32 s44, vcc_lo, exec_lo
	s_delay_alu instid0(SALU_CYCLE_1)
	s_or_b32 s42, s42, s44
.LBB115_21:                             ;   in Loop: Header=BB115_17 Depth=3
	s_or_b32 exec_lo, exec_lo, s43
	s_mov_b32 s43, -1
	s_or_b32 s41, s41, exec_lo
                                        ; implicit-def: $vgpr1
                                        ; implicit-def: $vgpr26_vgpr27
	s_and_saveexec_b32 s44, s42
	s_cbranch_execz .LBB115_16
; %bb.22:                               ;   in Loop: Header=BB115_17 Depth=3
	v_lshl_add_u32 v1, v20, 3, 0
	s_and_not1_b32 s41, s41, exec_lo
	ds_load_b64 v[26:27], v1
	s_wait_dscnt 0x0
	v_cmp_eq_u64_e32 vcc_lo, v[26:27], v[22:23]
	s_or_not1_b32 s43, vcc_lo, exec_lo
	s_branch .LBB115_16
.LBB115_23:                             ;   in Loop: Header=BB115_14 Depth=2
	s_or_b32 exec_lo, exec_lo, s39
	s_and_saveexec_b32 s39, s40
	s_delay_alu instid0(SALU_CYCLE_1)
	s_xor_b32 s39, exec_lo, s39
	s_cbranch_execz .LBB115_12
; %bb.24:                               ;   in Loop: Header=BB115_14 Depth=2
	v_mov_b32_e32 v20, v24
	s_branch .LBB115_12
.LBB115_25:
	s_or_b32 exec_lo, exec_lo, s20
.LBB115_26:
	s_delay_alu instid0(SALU_CYCLE_1)
	s_and_not1_b32 vcc_lo, exec_lo, s33
	s_cbranch_vccnz .LBB115_43
; %bb.27:
	s_wait_kmcnt 0x0
	s_lshl_b64 s[0:1], s[34:35], 3
	v_mov_b32_e32 v1, 0
	s_add_nc_u64 s[0:1], s[12:13], s[0:1]
	s_load_b128 s[4:7], s[0:1], 0x0
	s_wait_xcnt 0x0
	s_mov_b32 s1, 0
	s_mov_b32 s0, s23
	s_delay_alu instid0(SALU_CYCLE_1) | instskip(SKIP_1) | instid1(VALU_DEP_1)
	v_sub_nc_u64_e64 v[6:7], v[0:1], s[0:1]
	s_wait_kmcnt 0x0
	v_add_nc_u64_e32 v[6:7], s[4:5], v[6:7]
	s_sub_nc_u64 s[2:3], s[6:7], s[0:1]
	s_mov_b32 s4, exec_lo
	s_delay_alu instid0(VALU_DEP_1)
	v_cmpx_gt_i64_e64 s[2:3], v[6:7]
	s_cbranch_execz .LBB115_42
; %bb.28:
	s_mov_b32 s5, s1
	s_branch .LBB115_31
.LBB115_29:                             ;   in Loop: Header=BB115_31 Depth=1
	s_or_b32 exec_lo, exec_lo, s7
.LBB115_30:                             ;   in Loop: Header=BB115_31 Depth=1
	s_delay_alu instid0(SALU_CYCLE_1) | instskip(SKIP_3) | instid1(VALU_DEP_2)
	s_or_b32 exec_lo, exec_lo, s6
	s_wait_loadcnt 0x0
	v_dual_mul_f64 v[8:9], v[2:3], v[8:9] :: v_dual_lshlrev_b32 v1, 3, v10
	v_add_nc_u64_e32 v[6:7], 0x400, v[6:7]
	v_add3_u32 v1, 0, v1, 0x20000
	s_delay_alu instid0(VALU_DEP_2)
	v_cmp_le_i64_e32 vcc_lo, s[2:3], v[6:7]
	s_or_b32 s5, vcc_lo, s5
	ds_add_f64 v1, v[8:9]
	s_and_not1_b32 exec_lo, exec_lo, s5
	s_cbranch_execz .LBB115_42
.LBB115_31:                             ; =>This Loop Header: Depth=1
                                        ;     Child Loop BB115_34 Depth 2
	v_lshlrev_b64_e32 v[8:9], 3, v[6:7]
	s_mov_b32 s6, exec_lo
	s_delay_alu instid0(VALU_DEP_1)
	v_add_nc_u64_e32 v[10:11], s[14:15], v[8:9]
	v_add_nc_u64_e32 v[8:9], s[16:17], v[8:9]
	global_load_b64 v[10:11], v[10:11], off
	global_load_b64 v[8:9], v[8:9], off
	s_wait_loadcnt 0x1
	v_sub_nc_u64_e64 v[12:13], v[10:11], s[0:1]
	s_delay_alu instid0(VALU_DEP_1) | instskip(NEXT) | instid1(VALU_DEP_1)
	v_mul_lo_u32 v1, 0x89, v12
	v_and_b32_e32 v10, 0x3fff, v1
	s_delay_alu instid0(VALU_DEP_1)
	v_lshl_add_u32 v1, v10, 3, 0
	ds_load_b64 v[16:17], v1
	s_wait_dscnt 0x0
	s_wait_xcnt 0x0
	v_cmpx_ne_u64_e64 v[16:17], v[12:13]
	s_cbranch_execz .LBB115_30
; %bb.32:                               ;   in Loop: Header=BB115_31 Depth=1
	s_mov_b32 s7, 0
                                        ; implicit-def: $sgpr8
                                        ; implicit-def: $sgpr9
	s_branch .LBB115_34
.LBB115_33:                             ;   in Loop: Header=BB115_34 Depth=2
	s_or_b32 exec_lo, exec_lo, s12
	s_delay_alu instid0(SALU_CYCLE_1) | instskip(NEXT) | instid1(SALU_CYCLE_1)
	s_and_b32 s10, exec_lo, s11
	s_or_b32 s7, s10, s7
	s_and_not1_b32 s8, s8, exec_lo
	s_and_b32 s10, s9, exec_lo
	s_delay_alu instid0(SALU_CYCLE_1)
	s_or_b32 s8, s8, s10
	s_and_not1_b32 exec_lo, exec_lo, s7
	s_cbranch_execz .LBB115_40
.LBB115_34:                             ;   Parent Loop BB115_31 Depth=1
                                        ; =>  This Inner Loop Header: Depth=2
	v_mov_b64_e32 v[14:15], v[10:11]
	s_mov_b32 s10, 0
	s_mov_b32 s11, exec_lo
                                        ; implicit-def: $vgpr10_vgpr11
	v_cmpx_ne_u64_e64 s[30:31], v[16:17]
	s_xor_b32 s11, exec_lo, s11
; %bb.35:                               ;   in Loop: Header=BB115_34 Depth=2
	s_delay_alu instid0(VALU_DEP_2) | instskip(SKIP_1) | instid1(VALU_DEP_1)
	v_add_nc_u32_e32 v1, 1, v14
	s_mov_b32 s10, exec_lo
	v_and_b32_e32 v10, 0x3fff, v1
                                        ; implicit-def: $vgpr1
; %bb.36:                               ;   in Loop: Header=BB115_34 Depth=2
	s_and_not1_saveexec_b32 s11, s11
	s_cbranch_execz .LBB115_38
; %bb.37:                               ;   in Loop: Header=BB115_34 Depth=2
	v_mov_b64_e32 v[10:11], s[30:31]
	s_and_not1_b32 s10, s10, exec_lo
	ds_cmpstore_rtn_b64 v[10:11], v1, v[12:13], v[10:11]
	s_wait_dscnt 0x0
	v_cmp_ne_u64_e32 vcc_lo, s[30:31], v[10:11]
	v_mov_b64_e32 v[10:11], v[14:15]
	s_and_b32 s12, vcc_lo, exec_lo
	s_delay_alu instid0(SALU_CYCLE_1)
	s_or_b32 s10, s10, s12
.LBB115_38:                             ;   in Loop: Header=BB115_34 Depth=2
	s_or_b32 exec_lo, exec_lo, s11
	s_mov_b32 s11, -1
	s_or_b32 s9, s9, exec_lo
                                        ; implicit-def: $vgpr1
                                        ; implicit-def: $vgpr16_vgpr17
	s_and_saveexec_b32 s12, s10
	s_cbranch_execz .LBB115_33
; %bb.39:                               ;   in Loop: Header=BB115_34 Depth=2
	v_lshl_add_u32 v1, v10, 3, 0
	s_and_not1_b32 s9, s9, exec_lo
	ds_load_b64 v[16:17], v1
	s_wait_dscnt 0x0
	v_cmp_eq_u64_e32 vcc_lo, v[16:17], v[12:13]
	s_or_not1_b32 s11, vcc_lo, exec_lo
	s_branch .LBB115_33
.LBB115_40:                             ;   in Loop: Header=BB115_31 Depth=1
	s_or_b32 exec_lo, exec_lo, s7
	s_and_saveexec_b32 s7, s8
	s_delay_alu instid0(SALU_CYCLE_1)
	s_xor_b32 s7, exec_lo, s7
	s_cbranch_execz .LBB115_29
; %bb.41:                               ;   in Loop: Header=BB115_31 Depth=1
	v_mov_b32_e32 v10, v14
	s_branch .LBB115_29
.LBB115_42:
	s_or_b32 exec_lo, exec_lo, s4
.LBB115_43:
	v_mbcnt_lo_u32_b32 v1, -1, 0
	v_lshlrev_b32_e32 v2, 3, v4
	v_mov_b64_e32 v[6:7], 0
	s_add_co_i32 s38, 0, 0x40078
	s_delay_alu instid0(SALU_CYCLE_1)
	v_dual_mov_b32 v3, 0 :: v_dual_mov_b32 v5, s38
	v_xor_b32_e32 v4, 31, v1
	v_add3_u32 v1, 0x40000, 0, v2
	v_cmp_lt_u32_e64 s0, 63, v0
	v_cmp_lt_u32_e64 s1, 0x7f, v0
	;; [unrolled: 1-line block ×3, first 2 shown]
	v_lshrrev_b32_e64 v4, v4, -1
	v_cmp_lt_u32_e64 s3, 0xff, v0
	v_cmp_lt_u32_e64 s4, 0x13f, v0
	;; [unrolled: 1-line block ×12, first 2 shown]
	s_mov_b32 s16, 0
	s_add_co_i32 s17, 0, 0x40000
	s_add_co_i32 s20, 0, 0x40008
	;; [unrolled: 1-line block ×15, first 2 shown]
	s_wait_dscnt 0x0
	s_barrier_signal -1
	s_barrier_wait -1
	v_cmp_eq_u32_e32 vcc_lo, 0x3ff, v0
	s_branch .LBB115_45
.LBB115_44:                             ;   in Loop: Header=BB115_45 Depth=1
	s_or_b32 exec_lo, exec_lo, s15
	s_wait_dscnt 0x0
	s_barrier_signal -1
	s_barrier_wait -1
	ds_load_b64 v[8:9], v5
	v_add_nc_u32_e32 v29, 0x400, v29
	v_add_nc_u32_e32 v28, 0x2000, v28
	s_delay_alu instid0(VALU_DEP_2)
	v_cmp_lt_u32_e64 s15, 0x3bff, v29
	s_or_b32 s16, s15, s16
	s_wait_dscnt 0x0
	v_add_nc_u64_e32 v[6:7], v[8:9], v[6:7]
	s_and_not1_b32 exec_lo, exec_lo, s16
	s_cbranch_execz .LBB115_79
.LBB115_45:                             ; =>This Inner Loop Header: Depth=1
	ds_load_b64 v[8:9], v28
	v_add_nc_u32_e32 v2, 0x20000, v28
	ds_load_b64 v[10:11], v2
	s_wait_dscnt 0x0
	s_barrier_signal -1
	s_barrier_wait -1
	v_cmp_gt_i64_e64 s15, s[30:31], v[8:9]
	s_bcnt1_i32_b32 s43, s15
	s_delay_alu instid0(SALU_CYCLE_1) | instskip(NEXT) | instid1(VALU_DEP_1)
	v_dual_mov_b32 v2, s43 :: v_dual_bitop2_b32 v12, s15, v4 bitop3:0x40
	v_bcnt_u32_b32 v12, v12, 0
	ds_store_b64 v1, v[2:3]
	s_wait_dscnt 0x0
	s_barrier_signal -1
	s_barrier_wait -1
	s_and_saveexec_b32 s43, s0
	s_cbranch_execnz .LBB115_62
; %bb.46:                               ;   in Loop: Header=BB115_45 Depth=1
	s_or_b32 exec_lo, exec_lo, s43
	s_and_saveexec_b32 s43, s1
	s_cbranch_execnz .LBB115_63
.LBB115_47:                             ;   in Loop: Header=BB115_45 Depth=1
	s_or_b32 exec_lo, exec_lo, s43
	s_and_saveexec_b32 s43, s2
	s_cbranch_execnz .LBB115_64
.LBB115_48:                             ;   in Loop: Header=BB115_45 Depth=1
	s_or_b32 exec_lo, exec_lo, s43
	s_and_saveexec_b32 s43, s3
	s_cbranch_execnz .LBB115_65
.LBB115_49:                             ;   in Loop: Header=BB115_45 Depth=1
	s_or_b32 exec_lo, exec_lo, s43
	s_and_saveexec_b32 s43, s4
	s_cbranch_execnz .LBB115_66
.LBB115_50:                             ;   in Loop: Header=BB115_45 Depth=1
	s_or_b32 exec_lo, exec_lo, s43
	s_and_saveexec_b32 s43, s5
	s_cbranch_execnz .LBB115_67
.LBB115_51:                             ;   in Loop: Header=BB115_45 Depth=1
	s_or_b32 exec_lo, exec_lo, s43
	s_and_saveexec_b32 s43, s6
	s_cbranch_execnz .LBB115_68
.LBB115_52:                             ;   in Loop: Header=BB115_45 Depth=1
	s_or_b32 exec_lo, exec_lo, s43
	s_and_saveexec_b32 s43, s7
	s_cbranch_execnz .LBB115_69
.LBB115_53:                             ;   in Loop: Header=BB115_45 Depth=1
	s_or_b32 exec_lo, exec_lo, s43
	s_and_saveexec_b32 s43, s8
	s_cbranch_execnz .LBB115_70
.LBB115_54:                             ;   in Loop: Header=BB115_45 Depth=1
	s_or_b32 exec_lo, exec_lo, s43
	s_and_saveexec_b32 s43, s9
	s_cbranch_execnz .LBB115_71
.LBB115_55:                             ;   in Loop: Header=BB115_45 Depth=1
	s_or_b32 exec_lo, exec_lo, s43
	s_and_saveexec_b32 s43, s10
	s_cbranch_execnz .LBB115_72
.LBB115_56:                             ;   in Loop: Header=BB115_45 Depth=1
	s_or_b32 exec_lo, exec_lo, s43
	s_and_saveexec_b32 s43, s11
	s_cbranch_execnz .LBB115_73
.LBB115_57:                             ;   in Loop: Header=BB115_45 Depth=1
	s_or_b32 exec_lo, exec_lo, s43
	s_and_saveexec_b32 s43, s12
	s_cbranch_execnz .LBB115_74
.LBB115_58:                             ;   in Loop: Header=BB115_45 Depth=1
	s_or_b32 exec_lo, exec_lo, s43
	s_and_saveexec_b32 s43, s13
	s_cbranch_execnz .LBB115_75
.LBB115_59:                             ;   in Loop: Header=BB115_45 Depth=1
	s_or_b32 exec_lo, exec_lo, s43
	s_and_saveexec_b32 s43, s14
	s_cbranch_execnz .LBB115_76
.LBB115_60:                             ;   in Loop: Header=BB115_45 Depth=1
	s_or_b32 exec_lo, exec_lo, s43
	v_ashrrev_i32_e32 v13, 31, v12
	s_and_saveexec_b32 s43, s15
	s_cbranch_execnz .LBB115_77
.LBB115_61:                             ;   in Loop: Header=BB115_45 Depth=1
	s_or_b32 exec_lo, exec_lo, s43
	s_and_saveexec_b32 s15, vcc_lo
	s_cbranch_execz .LBB115_44
	s_branch .LBB115_78
.LBB115_62:                             ;   in Loop: Header=BB115_45 Depth=1
	v_mov_b32_e32 v2, s17
	ds_load_b32 v2, v2
	s_wait_dscnt 0x0
	v_add_nc_u32_e32 v12, v2, v12
	s_or_b32 exec_lo, exec_lo, s43
	s_and_saveexec_b32 s43, s1
	s_cbranch_execz .LBB115_47
.LBB115_63:                             ;   in Loop: Header=BB115_45 Depth=1
	v_mov_b32_e32 v2, s20
	ds_load_b32 v2, v2
	s_wait_dscnt 0x0
	v_add_nc_u32_e32 v12, v12, v2
	s_or_b32 exec_lo, exec_lo, s43
	s_and_saveexec_b32 s43, s2
	s_cbranch_execz .LBB115_48
.LBB115_64:                             ;   in Loop: Header=BB115_45 Depth=1
	v_mov_b32_e32 v2, s21
	ds_load_b32 v2, v2
	s_wait_dscnt 0x0
	v_add_nc_u32_e32 v12, v12, v2
	s_or_b32 exec_lo, exec_lo, s43
	s_and_saveexec_b32 s43, s3
	s_cbranch_execz .LBB115_49
.LBB115_65:                             ;   in Loop: Header=BB115_45 Depth=1
	v_mov_b32_e32 v2, s23
	ds_load_b32 v2, v2
	s_wait_dscnt 0x0
	v_add_nc_u32_e32 v12, v12, v2
	s_or_b32 exec_lo, exec_lo, s43
	s_and_saveexec_b32 s43, s4
	s_cbranch_execz .LBB115_50
.LBB115_66:                             ;   in Loop: Header=BB115_45 Depth=1
	v_mov_b32_e32 v2, s24
	ds_load_b32 v2, v2
	s_wait_dscnt 0x0
	v_add_nc_u32_e32 v12, v12, v2
	s_or_b32 exec_lo, exec_lo, s43
	s_and_saveexec_b32 s43, s5
	s_cbranch_execz .LBB115_51
.LBB115_67:                             ;   in Loop: Header=BB115_45 Depth=1
	v_mov_b32_e32 v2, s25
	ds_load_b32 v2, v2
	s_wait_dscnt 0x0
	v_add_nc_u32_e32 v12, v12, v2
	s_or_b32 exec_lo, exec_lo, s43
	s_and_saveexec_b32 s43, s6
	s_cbranch_execz .LBB115_52
.LBB115_68:                             ;   in Loop: Header=BB115_45 Depth=1
	v_mov_b32_e32 v2, s26
	ds_load_b32 v2, v2
	s_wait_dscnt 0x0
	v_add_nc_u32_e32 v12, v12, v2
	s_or_b32 exec_lo, exec_lo, s43
	s_and_saveexec_b32 s43, s7
	s_cbranch_execz .LBB115_53
.LBB115_69:                             ;   in Loop: Header=BB115_45 Depth=1
	v_mov_b32_e32 v2, s27
	ds_load_b32 v2, v2
	s_wait_dscnt 0x0
	v_add_nc_u32_e32 v12, v12, v2
	s_or_b32 exec_lo, exec_lo, s43
	s_and_saveexec_b32 s43, s8
	s_cbranch_execz .LBB115_54
.LBB115_70:                             ;   in Loop: Header=BB115_45 Depth=1
	v_mov_b32_e32 v2, s33
	ds_load_b32 v2, v2
	s_wait_dscnt 0x0
	v_add_nc_u32_e32 v12, v12, v2
	s_or_b32 exec_lo, exec_lo, s43
	s_and_saveexec_b32 s43, s9
	s_cbranch_execz .LBB115_55
.LBB115_71:                             ;   in Loop: Header=BB115_45 Depth=1
	v_mov_b32_e32 v2, s36
	ds_load_b32 v2, v2
	s_wait_dscnt 0x0
	v_add_nc_u32_e32 v12, v12, v2
	s_or_b32 exec_lo, exec_lo, s43
	s_and_saveexec_b32 s43, s10
	s_cbranch_execz .LBB115_56
.LBB115_72:                             ;   in Loop: Header=BB115_45 Depth=1
	v_mov_b32_e32 v2, s37
	ds_load_b32 v2, v2
	s_wait_dscnt 0x0
	v_add_nc_u32_e32 v12, v12, v2
	s_or_b32 exec_lo, exec_lo, s43
	s_and_saveexec_b32 s43, s11
	s_cbranch_execz .LBB115_57
.LBB115_73:                             ;   in Loop: Header=BB115_45 Depth=1
	v_mov_b32_e32 v2, s39
	ds_load_b32 v2, v2
	s_wait_dscnt 0x0
	v_add_nc_u32_e32 v12, v12, v2
	s_or_b32 exec_lo, exec_lo, s43
	s_and_saveexec_b32 s43, s12
	s_cbranch_execz .LBB115_58
.LBB115_74:                             ;   in Loop: Header=BB115_45 Depth=1
	v_mov_b32_e32 v2, s40
	ds_load_b32 v2, v2
	s_wait_dscnt 0x0
	v_add_nc_u32_e32 v12, v12, v2
	s_or_b32 exec_lo, exec_lo, s43
	s_and_saveexec_b32 s43, s13
	s_cbranch_execz .LBB115_59
.LBB115_75:                             ;   in Loop: Header=BB115_45 Depth=1
	v_mov_b32_e32 v2, s41
	ds_load_b32 v2, v2
	s_wait_dscnt 0x0
	v_add_nc_u32_e32 v12, v12, v2
	s_or_b32 exec_lo, exec_lo, s43
	s_and_saveexec_b32 s43, s14
	s_cbranch_execz .LBB115_60
.LBB115_76:                             ;   in Loop: Header=BB115_45 Depth=1
	v_mov_b32_e32 v2, s42
	ds_load_b32 v2, v2
	s_wait_dscnt 0x0
	v_add_nc_u32_e32 v12, v12, v2
	s_or_b32 exec_lo, exec_lo, s43
	s_delay_alu instid0(VALU_DEP_1)
	v_ashrrev_i32_e32 v13, 31, v12
	s_and_saveexec_b32 s43, s15
	s_cbranch_execz .LBB115_61
.LBB115_77:                             ;   in Loop: Header=BB115_45 Depth=1
	v_add3_u32 v2, v6, -1, v12
	s_delay_alu instid0(VALU_DEP_1) | instskip(NEXT) | instid1(VALU_DEP_1)
	v_lshl_add_u32 v2, v2, 3, 0
	v_add_nc_u32_e32 v14, 0x20000, v2
	ds_store_b64 v2, v[8:9]
	ds_store_b64 v14, v[10:11]
	s_or_b32 exec_lo, exec_lo, s43
	s_and_saveexec_b32 s15, vcc_lo
	s_cbranch_execz .LBB115_44
.LBB115_78:                             ;   in Loop: Header=BB115_45 Depth=1
	v_mov_b32_e32 v2, s38
	ds_store_b64 v2, v[12:13]
	s_branch .LBB115_44
.LBB115_79:
	s_or_b32 exec_lo, exec_lo, s16
	s_wait_kmcnt 0x0
	s_lshl_b64 s[0:1], s[34:35], 3
	v_mov_b32_e32 v1, 0
	s_add_nc_u64 s[4:5], s[18:19], s[0:1]
	s_mov_b32 s6, exec_lo
	s_load_b128 s[0:3], s[4:5], 0x0
	s_wait_kmcnt 0x0
	s_sub_nc_u64 s[4:5], s[2:3], s[0:1]
	s_delay_alu instid0(SALU_CYCLE_1)
	v_cmpx_gt_i64_e64 s[4:5], v[0:1]
	s_cbranch_execz .LBB115_89
; %bb.80:
	s_sub_nc_u64 s[8:9], s[0:1], s[2:3]
	s_and_b64 s[6:7], s[4:5], 7
	v_cmp_lt_u64_e64 s10, s[8:9], -7
	s_and_b64 s[2:3], s[4:5], -8
	s_mov_b32 s23, 0
	s_cmp_lg_u64 s[6:7], 0
	s_sub_nc_u64 s[0:1], s[0:1], s[22:23]
	s_cselect_b32 s11, -1, 0
	s_mov_b32 s12, 0
	s_branch .LBB115_82
.LBB115_81:                             ;   in Loop: Header=BB115_82 Depth=1
	v_add_nc_u64_e32 v[0:1], 0x400, v[0:1]
	s_wait_dscnt 0x1
	s_delay_alu instid0(VALU_DEP_2)
	v_lshl_add_u64 v[4:5], v[6:7], 3, s[28:29]
	s_wait_dscnt 0x0
	global_store_b64 v[4:5], v[2:3], off
	v_cmp_le_i64_e32 vcc_lo, s[4:5], v[0:1]
	s_or_b32 s12, vcc_lo, s12
	s_wait_xcnt 0x0
	s_and_not1_b32 exec_lo, exec_lo, s12
	s_cbranch_execz .LBB115_89
.LBB115_82:                             ; =>This Loop Header: Depth=1
                                        ;     Child Loop BB115_84 Depth 2
                                        ;     Child Loop BB115_88 Depth 2
	v_lshl_add_u32 v2, v0, 3, 0
	v_mov_b64_e32 v[6:7], s[0:1]
	s_and_not1_b32 vcc_lo, exec_lo, s10
	s_mov_b64 s[8:9], 0
	s_delay_alu instid0(VALU_DEP_2)
	v_add_nc_u32_e32 v3, 0x20000, v2
	ds_load_b64 v[4:5], v2
	ds_load_b64 v[2:3], v3
	s_cbranch_vccnz .LBB115_86
; %bb.83:                               ;   in Loop: Header=BB115_82 Depth=1
	v_mov_b64_e32 v[6:7], s[0:1]
	s_mov_b32 s13, 0
.LBB115_84:                             ;   Parent Loop BB115_82 Depth=1
                                        ; =>  This Inner Loop Header: Depth=2
	s_delay_alu instid0(SALU_CYCLE_1)
	v_dual_mov_b32 v20, s13 :: v_dual_mov_b32 v17, s23
	v_mov_b32_e32 v19, s23
	s_add_nc_u64 s[8:9], s[8:9], 8
	s_add_co_i32 s13, s13, 64
	ds_load_2addr_b64 v[8:11], v20 offset1:1
	ds_load_2addr_b64 v[12:15], v20 offset0:2 offset1:3
	s_cmp_eq_u64 s[2:3], s[8:9]
	s_wait_dscnt 0x1
	v_cmp_gt_i64_e32 vcc_lo, v[4:5], v[8:9]
	v_cndmask_b32_e64 v16, 0, 1, vcc_lo
	v_cmp_gt_i64_e32 vcc_lo, v[4:5], v[10:11]
	s_delay_alu instid0(VALU_DEP_2) | instskip(SKIP_4) | instid1(VALU_DEP_2)
	v_add_nc_u64_e32 v[10:11], v[6:7], v[16:17]
	ds_load_2addr_b64 v[6:9], v20 offset0:4 offset1:5
	v_cndmask_b32_e64 v18, 0, 1, vcc_lo
	s_wait_dscnt 0x1
	v_cmp_gt_i64_e32 vcc_lo, v[4:5], v[12:13]
	v_add_nc_u64_e32 v[10:11], v[10:11], v[18:19]
	v_cndmask_b32_e64 v16, 0, 1, vcc_lo
	v_cmp_gt_i64_e32 vcc_lo, v[4:5], v[14:15]
	s_delay_alu instid0(VALU_DEP_2)
	v_add_nc_u64_e32 v[14:15], v[10:11], v[16:17]
	ds_load_2addr_b64 v[10:13], v20 offset0:6 offset1:7
	v_cndmask_b32_e64 v18, 0, 1, vcc_lo
	s_wait_dscnt 0x1
	v_cmp_gt_i64_e32 vcc_lo, v[4:5], v[6:7]
	v_mov_b32_e32 v7, s23
	s_delay_alu instid0(VALU_DEP_3) | instskip(SKIP_3) | instid1(VALU_DEP_3)
	v_add_nc_u64_e32 v[14:15], v[14:15], v[18:19]
	v_cndmask_b32_e64 v16, 0, 1, vcc_lo
	v_cmp_gt_i64_e32 vcc_lo, v[4:5], v[8:9]
	v_mov_b32_e32 v9, s23
	v_add_nc_u64_e32 v[14:15], v[14:15], v[16:17]
	v_cndmask_b32_e64 v6, 0, 1, vcc_lo
	s_wait_dscnt 0x0
	v_cmp_gt_i64_e32 vcc_lo, v[4:5], v[10:11]
	v_mov_b32_e32 v11, s23
	s_delay_alu instid0(VALU_DEP_3) | instskip(SKIP_2) | instid1(VALU_DEP_2)
	v_add_nc_u64_e32 v[6:7], v[14:15], v[6:7]
	v_cndmask_b32_e64 v8, 0, 1, vcc_lo
	v_cmp_gt_i64_e32 vcc_lo, v[4:5], v[12:13]
	v_add_nc_u64_e32 v[6:7], v[6:7], v[8:9]
	v_cndmask_b32_e64 v10, 0, 1, vcc_lo
	s_delay_alu instid0(VALU_DEP_1)
	v_add_nc_u64_e32 v[6:7], v[6:7], v[10:11]
	s_cbranch_scc0 .LBB115_84
; %bb.85:                               ;   in Loop: Header=BB115_82 Depth=1
	s_mov_b64 s[8:9], s[2:3]
.LBB115_86:                             ;   in Loop: Header=BB115_82 Depth=1
	s_and_not1_b32 vcc_lo, exec_lo, s11
	s_cbranch_vccnz .LBB115_81
; %bb.87:                               ;   in Loop: Header=BB115_82 Depth=1
	s_lshl_b32 s8, s8, 3
	s_delay_alu instid0(SALU_CYCLE_1)
	s_add_co_i32 s13, s8, 0
	s_mov_b64 s[8:9], s[6:7]
.LBB115_88:                             ;   Parent Loop BB115_82 Depth=1
                                        ; =>  This Inner Loop Header: Depth=2
	v_dual_mov_b32 v8, s13 :: v_dual_mov_b32 v11, s23
	s_add_nc_u64 s[8:9], s[8:9], -1
	s_add_co_i32 s13, s13, 8
	s_cmp_lg_u64 s[8:9], 0
	ds_load_b64 v[8:9], v8
	s_wait_dscnt 0x0
	v_cmp_gt_i64_e32 vcc_lo, v[4:5], v[8:9]
	v_cndmask_b32_e64 v10, 0, 1, vcc_lo
	s_delay_alu instid0(VALU_DEP_1)
	v_add_nc_u64_e32 v[6:7], v[6:7], v[10:11]
	s_cbranch_scc1 .LBB115_88
	s_branch .LBB115_81
.LBB115_89:
	s_endpgm
	.section	.rodata,"a",@progbits
	.p2align	6, 0x0
	.amdhsa_kernel _ZN9rocsparseL41csrgemm_numeric_fill_block_per_row_kernelILj1024ELj64ELj16384ELj137ELj64ElldEEvT5_PKS1_S3_NS_24const_host_device_scalarIT6_EEPKT4_S3_PKS5_S9_S3_SB_S6_S9_S3_SB_S9_S3_PS5_21rocsparse_index_base_SD_SD_SD_bbb
		.amdhsa_group_segment_fixed_size 0
		.amdhsa_private_segment_fixed_size 0
		.amdhsa_kernarg_size 156
		.amdhsa_user_sgpr_count 2
		.amdhsa_user_sgpr_dispatch_ptr 0
		.amdhsa_user_sgpr_queue_ptr 0
		.amdhsa_user_sgpr_kernarg_segment_ptr 1
		.amdhsa_user_sgpr_dispatch_id 0
		.amdhsa_user_sgpr_kernarg_preload_length 0
		.amdhsa_user_sgpr_kernarg_preload_offset 0
		.amdhsa_user_sgpr_private_segment_size 0
		.amdhsa_wavefront_size32 1
		.amdhsa_uses_dynamic_stack 0
		.amdhsa_enable_private_segment 0
		.amdhsa_system_sgpr_workgroup_id_x 1
		.amdhsa_system_sgpr_workgroup_id_y 0
		.amdhsa_system_sgpr_workgroup_id_z 0
		.amdhsa_system_sgpr_workgroup_info 0
		.amdhsa_system_vgpr_workitem_id 0
		.amdhsa_next_free_vgpr 30
		.amdhsa_next_free_sgpr 45
		.amdhsa_named_barrier_count 0
		.amdhsa_reserve_vcc 1
		.amdhsa_float_round_mode_32 0
		.amdhsa_float_round_mode_16_64 0
		.amdhsa_float_denorm_mode_32 3
		.amdhsa_float_denorm_mode_16_64 3
		.amdhsa_fp16_overflow 0
		.amdhsa_memory_ordered 1
		.amdhsa_forward_progress 1
		.amdhsa_inst_pref_size 28
		.amdhsa_round_robin_scheduling 0
		.amdhsa_exception_fp_ieee_invalid_op 0
		.amdhsa_exception_fp_denorm_src 0
		.amdhsa_exception_fp_ieee_div_zero 0
		.amdhsa_exception_fp_ieee_overflow 0
		.amdhsa_exception_fp_ieee_underflow 0
		.amdhsa_exception_fp_ieee_inexact 0
		.amdhsa_exception_int_div_zero 0
	.end_amdhsa_kernel
	.section	.text._ZN9rocsparseL41csrgemm_numeric_fill_block_per_row_kernelILj1024ELj64ELj16384ELj137ELj64ElldEEvT5_PKS1_S3_NS_24const_host_device_scalarIT6_EEPKT4_S3_PKS5_S9_S3_SB_S6_S9_S3_SB_S9_S3_PS5_21rocsparse_index_base_SD_SD_SD_bbb,"axG",@progbits,_ZN9rocsparseL41csrgemm_numeric_fill_block_per_row_kernelILj1024ELj64ELj16384ELj137ELj64ElldEEvT5_PKS1_S3_NS_24const_host_device_scalarIT6_EEPKT4_S3_PKS5_S9_S3_SB_S6_S9_S3_SB_S9_S3_PS5_21rocsparse_index_base_SD_SD_SD_bbb,comdat
.Lfunc_end115:
	.size	_ZN9rocsparseL41csrgemm_numeric_fill_block_per_row_kernelILj1024ELj64ELj16384ELj137ELj64ElldEEvT5_PKS1_S3_NS_24const_host_device_scalarIT6_EEPKT4_S3_PKS5_S9_S3_SB_S6_S9_S3_SB_S9_S3_PS5_21rocsparse_index_base_SD_SD_SD_bbb, .Lfunc_end115-_ZN9rocsparseL41csrgemm_numeric_fill_block_per_row_kernelILj1024ELj64ELj16384ELj137ELj64ElldEEvT5_PKS1_S3_NS_24const_host_device_scalarIT6_EEPKT4_S3_PKS5_S9_S3_SB_S6_S9_S3_SB_S9_S3_PS5_21rocsparse_index_base_SD_SD_SD_bbb
                                        ; -- End function
	.set _ZN9rocsparseL41csrgemm_numeric_fill_block_per_row_kernelILj1024ELj64ELj16384ELj137ELj64ElldEEvT5_PKS1_S3_NS_24const_host_device_scalarIT6_EEPKT4_S3_PKS5_S9_S3_SB_S6_S9_S3_SB_S9_S3_PS5_21rocsparse_index_base_SD_SD_SD_bbb.num_vgpr, 30
	.set _ZN9rocsparseL41csrgemm_numeric_fill_block_per_row_kernelILj1024ELj64ELj16384ELj137ELj64ElldEEvT5_PKS1_S3_NS_24const_host_device_scalarIT6_EEPKT4_S3_PKS5_S9_S3_SB_S6_S9_S3_SB_S9_S3_PS5_21rocsparse_index_base_SD_SD_SD_bbb.num_agpr, 0
	.set _ZN9rocsparseL41csrgemm_numeric_fill_block_per_row_kernelILj1024ELj64ELj16384ELj137ELj64ElldEEvT5_PKS1_S3_NS_24const_host_device_scalarIT6_EEPKT4_S3_PKS5_S9_S3_SB_S6_S9_S3_SB_S9_S3_PS5_21rocsparse_index_base_SD_SD_SD_bbb.numbered_sgpr, 45
	.set _ZN9rocsparseL41csrgemm_numeric_fill_block_per_row_kernelILj1024ELj64ELj16384ELj137ELj64ElldEEvT5_PKS1_S3_NS_24const_host_device_scalarIT6_EEPKT4_S3_PKS5_S9_S3_SB_S6_S9_S3_SB_S9_S3_PS5_21rocsparse_index_base_SD_SD_SD_bbb.num_named_barrier, 0
	.set _ZN9rocsparseL41csrgemm_numeric_fill_block_per_row_kernelILj1024ELj64ELj16384ELj137ELj64ElldEEvT5_PKS1_S3_NS_24const_host_device_scalarIT6_EEPKT4_S3_PKS5_S9_S3_SB_S6_S9_S3_SB_S9_S3_PS5_21rocsparse_index_base_SD_SD_SD_bbb.private_seg_size, 0
	.set _ZN9rocsparseL41csrgemm_numeric_fill_block_per_row_kernelILj1024ELj64ELj16384ELj137ELj64ElldEEvT5_PKS1_S3_NS_24const_host_device_scalarIT6_EEPKT4_S3_PKS5_S9_S3_SB_S6_S9_S3_SB_S9_S3_PS5_21rocsparse_index_base_SD_SD_SD_bbb.uses_vcc, 1
	.set _ZN9rocsparseL41csrgemm_numeric_fill_block_per_row_kernelILj1024ELj64ELj16384ELj137ELj64ElldEEvT5_PKS1_S3_NS_24const_host_device_scalarIT6_EEPKT4_S3_PKS5_S9_S3_SB_S6_S9_S3_SB_S9_S3_PS5_21rocsparse_index_base_SD_SD_SD_bbb.uses_flat_scratch, 0
	.set _ZN9rocsparseL41csrgemm_numeric_fill_block_per_row_kernelILj1024ELj64ELj16384ELj137ELj64ElldEEvT5_PKS1_S3_NS_24const_host_device_scalarIT6_EEPKT4_S3_PKS5_S9_S3_SB_S6_S9_S3_SB_S9_S3_PS5_21rocsparse_index_base_SD_SD_SD_bbb.has_dyn_sized_stack, 0
	.set _ZN9rocsparseL41csrgemm_numeric_fill_block_per_row_kernelILj1024ELj64ELj16384ELj137ELj64ElldEEvT5_PKS1_S3_NS_24const_host_device_scalarIT6_EEPKT4_S3_PKS5_S9_S3_SB_S6_S9_S3_SB_S9_S3_PS5_21rocsparse_index_base_SD_SD_SD_bbb.has_recursion, 0
	.set _ZN9rocsparseL41csrgemm_numeric_fill_block_per_row_kernelILj1024ELj64ELj16384ELj137ELj64ElldEEvT5_PKS1_S3_NS_24const_host_device_scalarIT6_EEPKT4_S3_PKS5_S9_S3_SB_S6_S9_S3_SB_S9_S3_PS5_21rocsparse_index_base_SD_SD_SD_bbb.has_indirect_call, 0
	.section	.AMDGPU.csdata,"",@progbits
; Kernel info:
; codeLenInByte = 3556
; TotalNumSgprs: 47
; NumVgprs: 30
; ScratchSize: 0
; MemoryBound: 0
; FloatMode: 240
; IeeeMode: 1
; LDSByteSize: 0 bytes/workgroup (compile time only)
; SGPRBlocks: 0
; VGPRBlocks: 1
; NumSGPRsForWavesPerEU: 47
; NumVGPRsForWavesPerEU: 30
; NamedBarCnt: 0
; Occupancy: 16
; WaveLimiterHint : 1
; COMPUTE_PGM_RSRC2:SCRATCH_EN: 0
; COMPUTE_PGM_RSRC2:USER_SGPR: 2
; COMPUTE_PGM_RSRC2:TRAP_HANDLER: 0
; COMPUTE_PGM_RSRC2:TGID_X_EN: 1
; COMPUTE_PGM_RSRC2:TGID_Y_EN: 0
; COMPUTE_PGM_RSRC2:TGID_Z_EN: 0
; COMPUTE_PGM_RSRC2:TIDIG_COMP_CNT: 0
	.section	.text._ZN9rocsparseL41csrgemm_numeric_fill_block_per_row_kernelILj1024ELj64ELj32768ELj137ELj32ElldEEvT5_PKS1_S3_NS_24const_host_device_scalarIT6_EEPKT4_S3_PKS5_S9_S3_SB_S6_S9_S3_SB_S9_S3_PS5_21rocsparse_index_base_SD_SD_SD_bbb,"axG",@progbits,_ZN9rocsparseL41csrgemm_numeric_fill_block_per_row_kernelILj1024ELj64ELj32768ELj137ELj32ElldEEvT5_PKS1_S3_NS_24const_host_device_scalarIT6_EEPKT4_S3_PKS5_S9_S3_SB_S6_S9_S3_SB_S9_S3_PS5_21rocsparse_index_base_SD_SD_SD_bbb,comdat
	.globl	_ZN9rocsparseL41csrgemm_numeric_fill_block_per_row_kernelILj1024ELj64ELj32768ELj137ELj32ElldEEvT5_PKS1_S3_NS_24const_host_device_scalarIT6_EEPKT4_S3_PKS5_S9_S3_SB_S6_S9_S3_SB_S9_S3_PS5_21rocsparse_index_base_SD_SD_SD_bbb ; -- Begin function _ZN9rocsparseL41csrgemm_numeric_fill_block_per_row_kernelILj1024ELj64ELj32768ELj137ELj32ElldEEvT5_PKS1_S3_NS_24const_host_device_scalarIT6_EEPKT4_S3_PKS5_S9_S3_SB_S6_S9_S3_SB_S9_S3_PS5_21rocsparse_index_base_SD_SD_SD_bbb
	.p2align	8
	.type	_ZN9rocsparseL41csrgemm_numeric_fill_block_per_row_kernelILj1024ELj64ELj32768ELj137ELj32ElldEEvT5_PKS1_S3_NS_24const_host_device_scalarIT6_EEPKT4_S3_PKS5_S9_S3_SB_S6_S9_S3_SB_S9_S3_PS5_21rocsparse_index_base_SD_SD_SD_bbb,@function
_ZN9rocsparseL41csrgemm_numeric_fill_block_per_row_kernelILj1024ELj64ELj32768ELj137ELj32ElldEEvT5_PKS1_S3_NS_24const_host_device_scalarIT6_EEPKT4_S3_PKS5_S9_S3_SB_S6_S9_S3_SB_S9_S3_PS5_21rocsparse_index_base_SD_SD_SD_bbb: ; @_ZN9rocsparseL41csrgemm_numeric_fill_block_per_row_kernelILj1024ELj64ELj32768ELj137ELj32ElldEEvT5_PKS1_S3_NS_24const_host_device_scalarIT6_EEPKT4_S3_PKS5_S9_S3_SB_S6_S9_S3_SB_S9_S3_PS5_21rocsparse_index_base_SD_SD_SD_bbb
; %bb.0:
	s_clause 0x3
	s_load_b32 s6, s[0:1], 0x98
	s_load_b64 s[2:3], s[0:1], 0x18
	s_load_b128 s[44:47], s[0:1], 0x88
	s_load_b64 s[4:5], s[0:1], 0x50
	s_wait_kmcnt 0x0
	s_bitcmp1_b32 s6, 0
	s_cselect_b32 s19, -1, 0
	s_bitcmp1_b32 s6, 16
	s_cselect_b32 s7, -1, 0
	s_xor_b32 s8, s19, -1
	s_delay_alu instid0(SALU_CYCLE_1)
	s_or_b32 s10, s7, s8
	s_and_b32 s8, s19, exec_lo
	s_cselect_b32 s9, s3, 0
	s_cselect_b32 s8, s2, 0
	s_and_b32 vcc_lo, exec_lo, s10
	v_mov_b64_e32 v[4:5], s[8:9]
	s_cbranch_vccnz .LBB116_2
; %bb.1:
	v_mov_b32_e32 v1, 0
	flat_load_b64 v[4:5], v1, s[2:3]
.LBB116_2:
	s_wait_xcnt 0x0
	s_load_b64 s[2:3], s[0:1], 0x8
	s_bitcmp1_b32 s6, 8
	s_cselect_b32 s18, -1, 0
	s_delay_alu instid0(SALU_CYCLE_1) | instskip(NEXT) | instid1(SALU_CYCLE_1)
	s_xor_b32 s6, s18, -1
	s_or_b32 s8, s7, s6
	s_and_b32 s6, s18, exec_lo
	s_cselect_b32 s7, s5, 0
	s_cselect_b32 s6, s4, 0
	s_and_b32 vcc_lo, exec_lo, s8
	v_mov_b64_e32 v[2:3], s[6:7]
	s_cbranch_vccnz .LBB116_4
; %bb.3:
	v_mov_b32_e32 v1, 0
	flat_load_b64 v[2:3], v1, s[4:5]
.LBB116_4:
	s_clause 0x5
	s_load_b64 s[48:49], s[0:1], 0x0
	s_load_b64 s[16:17], s[0:1], 0x10
	;; [unrolled: 1-line block ×3, first 2 shown]
	s_load_b256 s[36:43], s[0:1], 0x58
	s_load_b128 s[12:15], s[0:1], 0x40
	s_load_b256 s[4:11], s[0:1], 0x20
	v_lshl_add_u32 v26, v0, 3, 0
	v_or_b32_e32 v27, 0xfffffc00, v0
	v_mov_b64_e32 v[6:7], 0
	s_wait_xcnt 0x0
	s_mov_b32 s0, 0
	s_delay_alu instid0(VALU_DEP_2)
	v_dual_mov_b32 v1, v26 :: v_dual_mov_b32 v10, v27
	s_wait_kmcnt 0x0
	v_mov_b64_e32 v[8:9], s[48:49]
.LBB116_5:                              ; =>This Inner Loop Header: Depth=1
	s_delay_alu instid0(VALU_DEP_2) | instskip(NEXT) | instid1(VALU_DEP_3)
	v_add_nc_u32_e32 v10, 0x400, v10
	v_add_nc_u32_e32 v11, 0x40000, v1
	ds_store_b64 v1, v[8:9]
	v_add_nc_u32_e32 v1, 0x2000, v1
	v_cmp_lt_u32_e32 vcc_lo, 0x7bff, v10
	ds_store_b64 v11, v[6:7]
	s_or_b32 s0, vcc_lo, s0
	s_delay_alu instid0(SALU_CYCLE_1)
	s_and_not1_b32 exec_lo, exec_lo, s0
	s_cbranch_execnz .LBB116_5
; %bb.6:
	s_or_b32 exec_lo, exec_lo, s0
	s_wait_loadcnt_dscnt 0x0
	s_barrier_signal -1
	s_barrier_wait -1
	s_load_b64 s[0:1], s[2:3], 0x0
	s_wait_xcnt 0x0
	s_bfe_u32 s2, ttmp6, 0x4000c
	s_and_b32 s3, ttmp6, 15
	s_add_co_i32 s2, s2, 1
	s_getreg_b32 s20, hwreg(HW_REG_IB_STS2, 6, 4)
	s_mul_i32 s2, ttmp9, s2
	s_delay_alu instid0(SALU_CYCLE_1)
	s_add_co_i32 s3, s3, s2
	s_wait_kmcnt 0x0
	s_lshl_b64 s[0:1], s[0:1], 3
	s_cmp_eq_u32 s20, 0
	s_add_nc_u64 s[0:1], s[16:17], s[0:1]
	s_cselect_b32 s2, ttmp9, s3
	s_and_b32 vcc_lo, exec_lo, s19
	s_load_b64 s[50:51], s[0:1], s2 offset:0x0 scale_offset
	s_wait_xcnt 0x0
	s_mov_b32 s1, 0
	s_cbranch_vccz .LBB116_26
; %bb.7:
	s_wait_kmcnt 0x0
	s_lshl_b64 s[2:3], s[50:51], 3
	v_dual_mov_b32 v9, 0 :: v_dual_lshrrev_b32 v8, 6, v0
	s_add_nc_u64 s[2:3], s[4:5], s[2:3]
	s_mov_b32 s0, s44
	s_load_b128 s[20:23], s[2:3], 0x0
	s_mov_b32 s16, exec_lo
	v_sub_nc_u64_e64 v[6:7], v[8:9], s[0:1]
	s_wait_kmcnt 0x0
	s_delay_alu instid0(VALU_DEP_1)
	v_add_nc_u64_e32 v[6:7], s[20:21], v[6:7]
	s_sub_nc_u64 s[2:3], s[22:23], s[0:1]
	s_delay_alu instid0(VALU_DEP_1) | instid1(SALU_CYCLE_1)
	v_cmpx_gt_i64_e64 s[2:3], v[6:7]
	s_cbranch_execz .LBB116_25
; %bb.8:
	v_and_b32_e32 v8, 63, v0
	s_mov_b32 s5, 0
	s_mov_b32 s4, s45
	;; [unrolled: 1-line block ×3, first 2 shown]
	s_delay_alu instid0(VALU_DEP_1)
	v_sub_nc_u64_e64 v[8:9], v[8:9], s[4:5]
	s_branch .LBB116_10
.LBB116_9:                              ;   in Loop: Header=BB116_10 Depth=1
	s_or_b32 exec_lo, exec_lo, s19
	v_add_nc_u64_e32 v[6:7], 16, v[6:7]
	s_delay_alu instid0(VALU_DEP_1) | instskip(SKIP_1) | instid1(SALU_CYCLE_1)
	v_cmp_le_i64_e32 vcc_lo, s[2:3], v[6:7]
	s_or_b32 s17, vcc_lo, s17
	s_and_not1_b32 exec_lo, exec_lo, s17
	s_cbranch_execz .LBB116_25
.LBB116_10:                             ; =>This Loop Header: Depth=1
                                        ;     Child Loop BB116_14 Depth 2
                                        ;       Child Loop BB116_17 Depth 3
	v_lshl_add_u64 v[10:11], v[6:7], 3, s[6:7]
	s_mov_b32 s19, exec_lo
	global_load_b64 v[10:11], v[10:11], off
	s_wait_loadcnt 0x0
	s_wait_xcnt 0x0
	v_sub_nc_u64_e64 v[10:11], v[10:11], s[0:1]
	s_delay_alu instid0(VALU_DEP_1)
	v_lshl_add_u64 v[10:11], v[10:11], 3, s[10:11]
	global_load_b128 v[12:15], v[10:11], off
	s_wait_loadcnt 0x0
	s_wait_xcnt 0x0
	v_sub_nc_u64_e64 v[10:11], v[14:15], s[4:5]
	v_add_nc_u64_e32 v[12:13], v[12:13], v[8:9]
	s_delay_alu instid0(VALU_DEP_1)
	v_cmpx_lt_i64_e64 v[12:13], v[10:11]
	s_cbranch_execz .LBB116_9
; %bb.11:                               ;   in Loop: Header=BB116_10 Depth=1
	v_lshl_add_u64 v[14:15], v[6:7], 3, s[8:9]
	s_mov_b32 s20, 0
	global_load_b64 v[14:15], v[14:15], off
	s_wait_loadcnt 0x0
	s_wait_xcnt 0x0
	v_mul_f64_e32 v[14:15], v[4:5], v[14:15]
	s_branch .LBB116_14
.LBB116_12:                             ;   in Loop: Header=BB116_14 Depth=2
	s_or_b32 exec_lo, exec_lo, s22
.LBB116_13:                             ;   in Loop: Header=BB116_14 Depth=2
	s_delay_alu instid0(SALU_CYCLE_1) | instskip(SKIP_3) | instid1(VALU_DEP_2)
	s_or_b32 exec_lo, exec_lo, s21
	s_wait_loadcnt 0x0
	v_dual_mul_f64 v[16:17], v[14:15], v[16:17] :: v_dual_lshlrev_b32 v1, 3, v18
	v_add_nc_u64_e32 v[12:13], 64, v[12:13]
	v_add3_u32 v1, 0, v1, 0x40000
	s_delay_alu instid0(VALU_DEP_2)
	v_cmp_ge_i64_e32 vcc_lo, v[12:13], v[10:11]
	s_or_b32 s20, vcc_lo, s20
	ds_add_f64 v1, v[16:17]
	s_and_not1_b32 exec_lo, exec_lo, s20
	s_cbranch_execz .LBB116_9
.LBB116_14:                             ;   Parent Loop BB116_10 Depth=1
                                        ; =>  This Loop Header: Depth=2
                                        ;       Child Loop BB116_17 Depth 3
	v_lshlrev_b64_e32 v[16:17], 3, v[12:13]
	s_mov_b32 s21, exec_lo
	s_delay_alu instid0(VALU_DEP_1)
	v_add_nc_u64_e32 v[18:19], s[12:13], v[16:17]
	v_add_nc_u64_e32 v[16:17], s[14:15], v[16:17]
	global_load_b64 v[18:19], v[18:19], off
	global_load_b64 v[16:17], v[16:17], off
	s_wait_loadcnt 0x1
	v_sub_nc_u64_e64 v[20:21], v[18:19], s[4:5]
	s_delay_alu instid0(VALU_DEP_1) | instskip(SKIP_1) | instid1(VALU_DEP_1)
	v_mul_lo_u32 v1, 0x89, v20
	s_wait_xcnt 0x1
	v_and_b32_e32 v18, 0x7fff, v1
	s_delay_alu instid0(VALU_DEP_1)
	v_lshl_add_u32 v1, v18, 3, 0
	ds_load_b64 v[24:25], v1
	s_wait_dscnt 0x0
	s_wait_xcnt 0x0
	v_cmpx_ne_u64_e64 v[24:25], v[20:21]
	s_cbranch_execz .LBB116_13
; %bb.15:                               ;   in Loop: Header=BB116_14 Depth=2
	s_mov_b32 s22, 0
                                        ; implicit-def: $sgpr23
                                        ; implicit-def: $sgpr24
	s_branch .LBB116_17
.LBB116_16:                             ;   in Loop: Header=BB116_17 Depth=3
	s_or_b32 exec_lo, exec_lo, s27
	s_delay_alu instid0(SALU_CYCLE_1) | instskip(NEXT) | instid1(SALU_CYCLE_1)
	s_and_b32 s25, exec_lo, s26
	s_or_b32 s22, s25, s22
	s_and_not1_b32 s23, s23, exec_lo
	s_and_b32 s25, s24, exec_lo
	s_delay_alu instid0(SALU_CYCLE_1)
	s_or_b32 s23, s23, s25
	s_and_not1_b32 exec_lo, exec_lo, s22
	s_cbranch_execz .LBB116_23
.LBB116_17:                             ;   Parent Loop BB116_10 Depth=1
                                        ;     Parent Loop BB116_14 Depth=2
                                        ; =>    This Inner Loop Header: Depth=3
	v_mov_b64_e32 v[22:23], v[18:19]
	s_mov_b32 s25, 0
	s_mov_b32 s26, exec_lo
                                        ; implicit-def: $vgpr18_vgpr19
	v_cmpx_ne_u64_e64 s[48:49], v[24:25]
	s_xor_b32 s26, exec_lo, s26
; %bb.18:                               ;   in Loop: Header=BB116_17 Depth=3
	s_delay_alu instid0(VALU_DEP_2) | instskip(SKIP_1) | instid1(VALU_DEP_1)
	v_add_nc_u32_e32 v1, 1, v22
	s_mov_b32 s25, exec_lo
	v_and_b32_e32 v18, 0x7fff, v1
                                        ; implicit-def: $vgpr1
; %bb.19:                               ;   in Loop: Header=BB116_17 Depth=3
	s_and_not1_saveexec_b32 s26, s26
	s_cbranch_execz .LBB116_21
; %bb.20:                               ;   in Loop: Header=BB116_17 Depth=3
	v_mov_b64_e32 v[18:19], s[48:49]
	s_and_not1_b32 s25, s25, exec_lo
	ds_cmpstore_rtn_b64 v[18:19], v1, v[20:21], v[18:19]
	s_wait_dscnt 0x0
	v_cmp_ne_u64_e32 vcc_lo, s[48:49], v[18:19]
	v_mov_b64_e32 v[18:19], v[22:23]
	s_and_b32 s27, vcc_lo, exec_lo
	s_delay_alu instid0(SALU_CYCLE_1)
	s_or_b32 s25, s25, s27
.LBB116_21:                             ;   in Loop: Header=BB116_17 Depth=3
	s_or_b32 exec_lo, exec_lo, s26
	s_mov_b32 s26, -1
	s_or_b32 s24, s24, exec_lo
                                        ; implicit-def: $vgpr1
                                        ; implicit-def: $vgpr24_vgpr25
	s_and_saveexec_b32 s27, s25
	s_cbranch_execz .LBB116_16
; %bb.22:                               ;   in Loop: Header=BB116_17 Depth=3
	v_lshl_add_u32 v1, v18, 3, 0
	s_and_not1_b32 s24, s24, exec_lo
	ds_load_b64 v[24:25], v1
	s_wait_dscnt 0x0
	v_cmp_eq_u64_e32 vcc_lo, v[24:25], v[20:21]
	s_or_not1_b32 s26, vcc_lo, exec_lo
	s_branch .LBB116_16
.LBB116_23:                             ;   in Loop: Header=BB116_14 Depth=2
	s_or_b32 exec_lo, exec_lo, s22
	s_and_saveexec_b32 s22, s23
	s_delay_alu instid0(SALU_CYCLE_1)
	s_xor_b32 s22, exec_lo, s22
	s_cbranch_execz .LBB116_12
; %bb.24:                               ;   in Loop: Header=BB116_14 Depth=2
	v_mov_b32_e32 v18, v22
	s_branch .LBB116_12
.LBB116_25:
	s_or_b32 exec_lo, exec_lo, s16
.LBB116_26:
	s_delay_alu instid0(SALU_CYCLE_1)
	s_and_not1_b32 vcc_lo, exec_lo, s18
	s_cbranch_vccnz .LBB116_43
; %bb.27:
	s_wait_kmcnt 0x0
	s_lshl_b64 s[0:1], s[50:51], 3
	v_mov_b32_e32 v1, 0
	s_add_nc_u64 s[0:1], s[36:37], s[0:1]
	s_load_b128 s[4:7], s[0:1], 0x0
	s_wait_xcnt 0x0
	s_mov_b32 s1, 0
	s_mov_b32 s0, s47
	s_delay_alu instid0(SALU_CYCLE_1) | instskip(SKIP_1) | instid1(VALU_DEP_1)
	v_sub_nc_u64_e64 v[4:5], v[0:1], s[0:1]
	s_wait_kmcnt 0x0
	v_add_nc_u64_e32 v[4:5], s[4:5], v[4:5]
	s_sub_nc_u64 s[2:3], s[6:7], s[0:1]
	s_mov_b32 s4, exec_lo
	s_delay_alu instid0(VALU_DEP_1)
	v_cmpx_gt_i64_e64 s[2:3], v[4:5]
	s_cbranch_execz .LBB116_42
; %bb.28:
	s_mov_b32 s5, s1
	s_branch .LBB116_31
.LBB116_29:                             ;   in Loop: Header=BB116_31 Depth=1
	s_or_b32 exec_lo, exec_lo, s7
.LBB116_30:                             ;   in Loop: Header=BB116_31 Depth=1
	s_delay_alu instid0(SALU_CYCLE_1) | instskip(SKIP_3) | instid1(VALU_DEP_2)
	s_or_b32 exec_lo, exec_lo, s6
	s_wait_loadcnt 0x0
	v_dual_mul_f64 v[6:7], v[2:3], v[6:7] :: v_dual_lshlrev_b32 v1, 3, v8
	v_add_nc_u64_e32 v[4:5], 0x400, v[4:5]
	v_add3_u32 v1, 0, v1, 0x40000
	s_delay_alu instid0(VALU_DEP_2)
	v_cmp_le_i64_e32 vcc_lo, s[2:3], v[4:5]
	s_or_b32 s5, vcc_lo, s5
	ds_add_f64 v1, v[6:7]
	s_and_not1_b32 exec_lo, exec_lo, s5
	s_cbranch_execz .LBB116_42
.LBB116_31:                             ; =>This Loop Header: Depth=1
                                        ;     Child Loop BB116_34 Depth 2
	v_lshlrev_b64_e32 v[6:7], 3, v[4:5]
	s_mov_b32 s6, exec_lo
	s_delay_alu instid0(VALU_DEP_1)
	v_add_nc_u64_e32 v[8:9], s[38:39], v[6:7]
	v_add_nc_u64_e32 v[6:7], s[40:41], v[6:7]
	global_load_b64 v[8:9], v[8:9], off
	global_load_b64 v[6:7], v[6:7], off
	s_wait_loadcnt 0x1
	v_sub_nc_u64_e64 v[10:11], v[8:9], s[0:1]
	s_delay_alu instid0(VALU_DEP_1) | instskip(NEXT) | instid1(VALU_DEP_1)
	v_mul_lo_u32 v1, 0x89, v10
	v_and_b32_e32 v8, 0x7fff, v1
	s_delay_alu instid0(VALU_DEP_1)
	v_lshl_add_u32 v1, v8, 3, 0
	ds_load_b64 v[14:15], v1
	s_wait_dscnt 0x0
	s_wait_xcnt 0x0
	v_cmpx_ne_u64_e64 v[14:15], v[10:11]
	s_cbranch_execz .LBB116_30
; %bb.32:                               ;   in Loop: Header=BB116_31 Depth=1
	s_mov_b32 s7, 0
                                        ; implicit-def: $sgpr8
                                        ; implicit-def: $sgpr9
	s_branch .LBB116_34
.LBB116_33:                             ;   in Loop: Header=BB116_34 Depth=2
	s_or_b32 exec_lo, exec_lo, s12
	s_delay_alu instid0(SALU_CYCLE_1) | instskip(NEXT) | instid1(SALU_CYCLE_1)
	s_and_b32 s10, exec_lo, s11
	s_or_b32 s7, s10, s7
	s_and_not1_b32 s8, s8, exec_lo
	s_and_b32 s10, s9, exec_lo
	s_delay_alu instid0(SALU_CYCLE_1)
	s_or_b32 s8, s8, s10
	s_and_not1_b32 exec_lo, exec_lo, s7
	s_cbranch_execz .LBB116_40
.LBB116_34:                             ;   Parent Loop BB116_31 Depth=1
                                        ; =>  This Inner Loop Header: Depth=2
	v_mov_b64_e32 v[12:13], v[8:9]
	s_mov_b32 s10, 0
	s_mov_b32 s11, exec_lo
                                        ; implicit-def: $vgpr8_vgpr9
	v_cmpx_ne_u64_e64 s[48:49], v[14:15]
	s_xor_b32 s11, exec_lo, s11
; %bb.35:                               ;   in Loop: Header=BB116_34 Depth=2
	s_delay_alu instid0(VALU_DEP_2) | instskip(SKIP_1) | instid1(VALU_DEP_1)
	v_add_nc_u32_e32 v1, 1, v12
	s_mov_b32 s10, exec_lo
	v_and_b32_e32 v8, 0x7fff, v1
                                        ; implicit-def: $vgpr1
; %bb.36:                               ;   in Loop: Header=BB116_34 Depth=2
	s_and_not1_saveexec_b32 s11, s11
	s_cbranch_execz .LBB116_38
; %bb.37:                               ;   in Loop: Header=BB116_34 Depth=2
	v_mov_b64_e32 v[8:9], s[48:49]
	s_and_not1_b32 s10, s10, exec_lo
	ds_cmpstore_rtn_b64 v[8:9], v1, v[10:11], v[8:9]
	s_wait_dscnt 0x0
	v_cmp_ne_u64_e32 vcc_lo, s[48:49], v[8:9]
	v_mov_b64_e32 v[8:9], v[12:13]
	s_and_b32 s12, vcc_lo, exec_lo
	s_delay_alu instid0(SALU_CYCLE_1)
	s_or_b32 s10, s10, s12
.LBB116_38:                             ;   in Loop: Header=BB116_34 Depth=2
	s_or_b32 exec_lo, exec_lo, s11
	s_mov_b32 s11, -1
	s_or_b32 s9, s9, exec_lo
                                        ; implicit-def: $vgpr1
                                        ; implicit-def: $vgpr14_vgpr15
	s_and_saveexec_b32 s12, s10
	s_cbranch_execz .LBB116_33
; %bb.39:                               ;   in Loop: Header=BB116_34 Depth=2
	v_lshl_add_u32 v1, v8, 3, 0
	s_and_not1_b32 s9, s9, exec_lo
	ds_load_b64 v[14:15], v1
	s_wait_dscnt 0x0
	v_cmp_eq_u64_e32 vcc_lo, v[14:15], v[10:11]
	s_or_not1_b32 s11, vcc_lo, exec_lo
	s_branch .LBB116_33
.LBB116_40:                             ;   in Loop: Header=BB116_31 Depth=1
	s_or_b32 exec_lo, exec_lo, s7
	s_and_saveexec_b32 s7, s8
	s_delay_alu instid0(SALU_CYCLE_1)
	s_xor_b32 s7, exec_lo, s7
	s_cbranch_execz .LBB116_29
; %bb.41:                               ;   in Loop: Header=BB116_31 Depth=1
	v_mov_b32_e32 v8, v12
	s_branch .LBB116_29
.LBB116_42:
	s_or_b32 exec_lo, exec_lo, s4
.LBB116_43:
	v_mbcnt_lo_u32_b32 v1, -1, 0
	v_lshrrev_b32_e32 v2, 2, v0
	v_mov_b64_e32 v[6:7], 0
	v_mov_b32_e32 v3, 0
	v_cmp_lt_u32_e64 s0, 31, v0
	v_xor_b32_e32 v1, 31, v1
	v_and_b32_e32 v2, 0xf8, v2
	v_cmp_lt_u32_e64 s1, 63, v0
	v_cmp_lt_u32_e64 s2, 0x5f, v0
	;; [unrolled: 1-line block ×3, first 2 shown]
	v_lshrrev_b32_e64 v4, v1, -1
	v_add3_u32 v1, 0x80000, 0, v2
	v_cmp_lt_u32_e64 s4, 0x9f, v0
	v_cmp_lt_u32_e64 s5, 0xbf, v0
	;; [unrolled: 1-line block ×27, first 2 shown]
	s_mov_b32 s33, 0
	s_add_co_i32 s36, 0, 0x80000
	s_add_co_i32 s37, 0, 0x80008
	;; [unrolled: 1-line block ×32, first 2 shown]
	s_wait_dscnt 0x0
	s_barrier_signal -1
	s_barrier_wait -1
	v_cmp_eq_u32_e32 vcc_lo, 0x3ff, v0
	s_branch .LBB116_45
.LBB116_44:                             ;   in Loop: Header=BB116_45 Depth=1
	s_or_b32 exec_lo, exec_lo, s31
	v_dual_mov_b32 v2, s74 :: v_dual_add_nc_u32 v27, 0x400, v27
	s_wait_dscnt 0x0
	s_barrier_signal -1
	s_barrier_wait -1
	ds_load_b64 v[8:9], v2
	v_cmp_lt_u32_e64 s31, 0x7bff, v27
	v_add_nc_u32_e32 v26, 0x2000, v26
	s_or_b32 s33, s31, s33
	s_wait_dscnt 0x0
	v_add_nc_u64_e32 v[6:7], v[8:9], v[6:7]
	s_and_not1_b32 exec_lo, exec_lo, s33
	s_cbranch_execz .LBB116_111
.LBB116_45:                             ; =>This Inner Loop Header: Depth=1
	ds_load_b64 v[8:9], v26
	v_add_nc_u32_e32 v2, 0x40000, v26
	ds_load_b64 v[10:11], v2
	s_wait_dscnt 0x0
	s_barrier_signal -1
	s_barrier_wait -1
	v_cmp_gt_i64_e64 s31, s[48:49], v[8:9]
	s_bcnt1_i32_b32 s75, s31
	s_delay_alu instid0(SALU_CYCLE_1) | instskip(NEXT) | instid1(VALU_DEP_1)
	v_dual_mov_b32 v2, s75 :: v_dual_bitop2_b32 v5, s31, v4 bitop3:0x40
	v_bcnt_u32_b32 v12, v5, 0
	ds_store_b64 v1, v[2:3]
	s_wait_dscnt 0x0
	s_barrier_signal -1
	s_barrier_wait -1
	s_and_saveexec_b32 s75, s0
	s_cbranch_execnz .LBB116_78
; %bb.46:                               ;   in Loop: Header=BB116_45 Depth=1
	s_or_b32 exec_lo, exec_lo, s75
	s_and_saveexec_b32 s75, s1
	s_cbranch_execnz .LBB116_79
.LBB116_47:                             ;   in Loop: Header=BB116_45 Depth=1
	s_or_b32 exec_lo, exec_lo, s75
	s_and_saveexec_b32 s75, s2
	s_cbranch_execnz .LBB116_80
.LBB116_48:                             ;   in Loop: Header=BB116_45 Depth=1
	s_or_b32 exec_lo, exec_lo, s75
	s_and_saveexec_b32 s75, s3
	s_cbranch_execnz .LBB116_81
.LBB116_49:                             ;   in Loop: Header=BB116_45 Depth=1
	s_or_b32 exec_lo, exec_lo, s75
	s_and_saveexec_b32 s75, s4
	s_cbranch_execnz .LBB116_82
.LBB116_50:                             ;   in Loop: Header=BB116_45 Depth=1
	s_or_b32 exec_lo, exec_lo, s75
	s_and_saveexec_b32 s75, s5
	s_cbranch_execnz .LBB116_83
.LBB116_51:                             ;   in Loop: Header=BB116_45 Depth=1
	s_or_b32 exec_lo, exec_lo, s75
	s_and_saveexec_b32 s75, s6
	s_cbranch_execnz .LBB116_84
.LBB116_52:                             ;   in Loop: Header=BB116_45 Depth=1
	s_or_b32 exec_lo, exec_lo, s75
	s_and_saveexec_b32 s75, s7
	s_cbranch_execnz .LBB116_85
.LBB116_53:                             ;   in Loop: Header=BB116_45 Depth=1
	s_or_b32 exec_lo, exec_lo, s75
	s_and_saveexec_b32 s75, s8
	s_cbranch_execnz .LBB116_86
.LBB116_54:                             ;   in Loop: Header=BB116_45 Depth=1
	s_or_b32 exec_lo, exec_lo, s75
	s_and_saveexec_b32 s75, s9
	s_cbranch_execnz .LBB116_87
.LBB116_55:                             ;   in Loop: Header=BB116_45 Depth=1
	s_or_b32 exec_lo, exec_lo, s75
	s_and_saveexec_b32 s75, s10
	s_cbranch_execnz .LBB116_88
.LBB116_56:                             ;   in Loop: Header=BB116_45 Depth=1
	s_or_b32 exec_lo, exec_lo, s75
	s_and_saveexec_b32 s75, s11
	s_cbranch_execnz .LBB116_89
.LBB116_57:                             ;   in Loop: Header=BB116_45 Depth=1
	s_or_b32 exec_lo, exec_lo, s75
	s_and_saveexec_b32 s75, s12
	s_cbranch_execnz .LBB116_90
.LBB116_58:                             ;   in Loop: Header=BB116_45 Depth=1
	s_or_b32 exec_lo, exec_lo, s75
	s_and_saveexec_b32 s75, s13
	s_cbranch_execnz .LBB116_91
.LBB116_59:                             ;   in Loop: Header=BB116_45 Depth=1
	s_or_b32 exec_lo, exec_lo, s75
	s_and_saveexec_b32 s75, s14
	s_cbranch_execnz .LBB116_92
.LBB116_60:                             ;   in Loop: Header=BB116_45 Depth=1
	s_or_b32 exec_lo, exec_lo, s75
	s_and_saveexec_b32 s75, s15
	s_cbranch_execnz .LBB116_93
.LBB116_61:                             ;   in Loop: Header=BB116_45 Depth=1
	s_or_b32 exec_lo, exec_lo, s75
	s_and_saveexec_b32 s75, s16
	s_cbranch_execnz .LBB116_94
.LBB116_62:                             ;   in Loop: Header=BB116_45 Depth=1
	s_or_b32 exec_lo, exec_lo, s75
	s_and_saveexec_b32 s75, s17
	s_cbranch_execnz .LBB116_95
.LBB116_63:                             ;   in Loop: Header=BB116_45 Depth=1
	s_or_b32 exec_lo, exec_lo, s75
	s_and_saveexec_b32 s75, s18
	s_cbranch_execnz .LBB116_96
.LBB116_64:                             ;   in Loop: Header=BB116_45 Depth=1
	s_or_b32 exec_lo, exec_lo, s75
	s_and_saveexec_b32 s75, s19
	s_cbranch_execnz .LBB116_97
.LBB116_65:                             ;   in Loop: Header=BB116_45 Depth=1
	s_or_b32 exec_lo, exec_lo, s75
	s_and_saveexec_b32 s75, s20
	s_cbranch_execnz .LBB116_98
.LBB116_66:                             ;   in Loop: Header=BB116_45 Depth=1
	s_or_b32 exec_lo, exec_lo, s75
	s_and_saveexec_b32 s75, s21
	s_cbranch_execnz .LBB116_99
.LBB116_67:                             ;   in Loop: Header=BB116_45 Depth=1
	s_or_b32 exec_lo, exec_lo, s75
	s_and_saveexec_b32 s75, s22
	s_cbranch_execnz .LBB116_100
.LBB116_68:                             ;   in Loop: Header=BB116_45 Depth=1
	s_or_b32 exec_lo, exec_lo, s75
	s_and_saveexec_b32 s75, s23
	s_cbranch_execnz .LBB116_101
.LBB116_69:                             ;   in Loop: Header=BB116_45 Depth=1
	s_or_b32 exec_lo, exec_lo, s75
	s_and_saveexec_b32 s75, s24
	s_cbranch_execnz .LBB116_102
.LBB116_70:                             ;   in Loop: Header=BB116_45 Depth=1
	s_or_b32 exec_lo, exec_lo, s75
	s_and_saveexec_b32 s75, s25
	s_cbranch_execnz .LBB116_103
.LBB116_71:                             ;   in Loop: Header=BB116_45 Depth=1
	s_or_b32 exec_lo, exec_lo, s75
	s_and_saveexec_b32 s75, s26
	s_cbranch_execnz .LBB116_104
.LBB116_72:                             ;   in Loop: Header=BB116_45 Depth=1
	s_or_b32 exec_lo, exec_lo, s75
	s_and_saveexec_b32 s75, s27
	s_cbranch_execnz .LBB116_105
.LBB116_73:                             ;   in Loop: Header=BB116_45 Depth=1
	s_or_b32 exec_lo, exec_lo, s75
	s_and_saveexec_b32 s75, s28
	s_cbranch_execnz .LBB116_106
.LBB116_74:                             ;   in Loop: Header=BB116_45 Depth=1
	s_or_b32 exec_lo, exec_lo, s75
	s_and_saveexec_b32 s75, s29
	s_cbranch_execnz .LBB116_107
.LBB116_75:                             ;   in Loop: Header=BB116_45 Depth=1
	s_or_b32 exec_lo, exec_lo, s75
	s_and_saveexec_b32 s75, s30
	s_cbranch_execnz .LBB116_108
.LBB116_76:                             ;   in Loop: Header=BB116_45 Depth=1
	s_or_b32 exec_lo, exec_lo, s75
	v_ashrrev_i32_e32 v13, 31, v12
	s_and_saveexec_b32 s75, s31
	s_cbranch_execnz .LBB116_109
.LBB116_77:                             ;   in Loop: Header=BB116_45 Depth=1
	s_or_b32 exec_lo, exec_lo, s75
	s_and_saveexec_b32 s31, vcc_lo
	s_cbranch_execz .LBB116_44
	s_branch .LBB116_110
.LBB116_78:                             ;   in Loop: Header=BB116_45 Depth=1
	v_mov_b32_e32 v2, s36
	ds_load_b32 v2, v2
	s_wait_dscnt 0x0
	v_add_nc_u32_e32 v12, v2, v12
	s_or_b32 exec_lo, exec_lo, s75
	s_and_saveexec_b32 s75, s1
	s_cbranch_execz .LBB116_47
.LBB116_79:                             ;   in Loop: Header=BB116_45 Depth=1
	v_mov_b32_e32 v2, s37
	ds_load_b32 v2, v2
	s_wait_dscnt 0x0
	v_add_nc_u32_e32 v12, v12, v2
	s_or_b32 exec_lo, exec_lo, s75
	s_and_saveexec_b32 s75, s2
	s_cbranch_execz .LBB116_48
.LBB116_80:                             ;   in Loop: Header=BB116_45 Depth=1
	v_mov_b32_e32 v2, s38
	ds_load_b32 v2, v2
	s_wait_dscnt 0x0
	v_add_nc_u32_e32 v12, v12, v2
	s_or_b32 exec_lo, exec_lo, s75
	s_and_saveexec_b32 s75, s3
	s_cbranch_execz .LBB116_49
.LBB116_81:                             ;   in Loop: Header=BB116_45 Depth=1
	v_mov_b32_e32 v2, s39
	ds_load_b32 v2, v2
	s_wait_dscnt 0x0
	v_add_nc_u32_e32 v12, v12, v2
	s_or_b32 exec_lo, exec_lo, s75
	s_and_saveexec_b32 s75, s4
	s_cbranch_execz .LBB116_50
.LBB116_82:                             ;   in Loop: Header=BB116_45 Depth=1
	v_mov_b32_e32 v2, s40
	ds_load_b32 v2, v2
	s_wait_dscnt 0x0
	v_add_nc_u32_e32 v12, v12, v2
	s_or_b32 exec_lo, exec_lo, s75
	s_and_saveexec_b32 s75, s5
	s_cbranch_execz .LBB116_51
.LBB116_83:                             ;   in Loop: Header=BB116_45 Depth=1
	v_mov_b32_e32 v2, s41
	ds_load_b32 v2, v2
	s_wait_dscnt 0x0
	v_add_nc_u32_e32 v12, v12, v2
	s_or_b32 exec_lo, exec_lo, s75
	s_and_saveexec_b32 s75, s6
	s_cbranch_execz .LBB116_52
.LBB116_84:                             ;   in Loop: Header=BB116_45 Depth=1
	v_mov_b32_e32 v2, s44
	ds_load_b32 v2, v2
	s_wait_dscnt 0x0
	v_add_nc_u32_e32 v12, v12, v2
	s_or_b32 exec_lo, exec_lo, s75
	s_and_saveexec_b32 s75, s7
	s_cbranch_execz .LBB116_53
.LBB116_85:                             ;   in Loop: Header=BB116_45 Depth=1
	v_mov_b32_e32 v2, s45
	ds_load_b32 v2, v2
	s_wait_dscnt 0x0
	v_add_nc_u32_e32 v12, v12, v2
	s_or_b32 exec_lo, exec_lo, s75
	s_and_saveexec_b32 s75, s8
	s_cbranch_execz .LBB116_54
.LBB116_86:                             ;   in Loop: Header=BB116_45 Depth=1
	v_mov_b32_e32 v2, s47
	ds_load_b32 v2, v2
	s_wait_dscnt 0x0
	v_add_nc_u32_e32 v12, v12, v2
	s_or_b32 exec_lo, exec_lo, s75
	s_and_saveexec_b32 s75, s9
	s_cbranch_execz .LBB116_55
.LBB116_87:                             ;   in Loop: Header=BB116_45 Depth=1
	v_mov_b32_e32 v2, s52
	ds_load_b32 v2, v2
	s_wait_dscnt 0x0
	v_add_nc_u32_e32 v12, v12, v2
	s_or_b32 exec_lo, exec_lo, s75
	s_and_saveexec_b32 s75, s10
	s_cbranch_execz .LBB116_56
.LBB116_88:                             ;   in Loop: Header=BB116_45 Depth=1
	v_mov_b32_e32 v2, s53
	ds_load_b32 v2, v2
	s_wait_dscnt 0x0
	v_add_nc_u32_e32 v12, v12, v2
	s_or_b32 exec_lo, exec_lo, s75
	s_and_saveexec_b32 s75, s11
	s_cbranch_execz .LBB116_57
.LBB116_89:                             ;   in Loop: Header=BB116_45 Depth=1
	v_mov_b32_e32 v2, s54
	ds_load_b32 v2, v2
	s_wait_dscnt 0x0
	v_add_nc_u32_e32 v12, v12, v2
	s_or_b32 exec_lo, exec_lo, s75
	s_and_saveexec_b32 s75, s12
	s_cbranch_execz .LBB116_58
.LBB116_90:                             ;   in Loop: Header=BB116_45 Depth=1
	v_mov_b32_e32 v2, s55
	ds_load_b32 v2, v2
	s_wait_dscnt 0x0
	v_add_nc_u32_e32 v12, v12, v2
	s_or_b32 exec_lo, exec_lo, s75
	s_and_saveexec_b32 s75, s13
	s_cbranch_execz .LBB116_59
.LBB116_91:                             ;   in Loop: Header=BB116_45 Depth=1
	v_mov_b32_e32 v2, s56
	ds_load_b32 v2, v2
	s_wait_dscnt 0x0
	v_add_nc_u32_e32 v12, v12, v2
	s_or_b32 exec_lo, exec_lo, s75
	s_and_saveexec_b32 s75, s14
	s_cbranch_execz .LBB116_60
.LBB116_92:                             ;   in Loop: Header=BB116_45 Depth=1
	v_mov_b32_e32 v2, s57
	ds_load_b32 v2, v2
	s_wait_dscnt 0x0
	v_add_nc_u32_e32 v12, v12, v2
	s_or_b32 exec_lo, exec_lo, s75
	s_and_saveexec_b32 s75, s15
	s_cbranch_execz .LBB116_61
.LBB116_93:                             ;   in Loop: Header=BB116_45 Depth=1
	v_mov_b32_e32 v2, s58
	ds_load_b32 v2, v2
	s_wait_dscnt 0x0
	v_add_nc_u32_e32 v12, v12, v2
	s_or_b32 exec_lo, exec_lo, s75
	s_and_saveexec_b32 s75, s16
	s_cbranch_execz .LBB116_62
.LBB116_94:                             ;   in Loop: Header=BB116_45 Depth=1
	v_mov_b32_e32 v2, s59
	ds_load_b32 v2, v2
	s_wait_dscnt 0x0
	v_add_nc_u32_e32 v12, v12, v2
	s_or_b32 exec_lo, exec_lo, s75
	s_and_saveexec_b32 s75, s17
	s_cbranch_execz .LBB116_63
.LBB116_95:                             ;   in Loop: Header=BB116_45 Depth=1
	v_mov_b32_e32 v2, s60
	ds_load_b32 v2, v2
	s_wait_dscnt 0x0
	v_add_nc_u32_e32 v12, v12, v2
	s_or_b32 exec_lo, exec_lo, s75
	s_and_saveexec_b32 s75, s18
	s_cbranch_execz .LBB116_64
.LBB116_96:                             ;   in Loop: Header=BB116_45 Depth=1
	v_mov_b32_e32 v2, s61
	ds_load_b32 v2, v2
	s_wait_dscnt 0x0
	v_add_nc_u32_e32 v12, v12, v2
	s_or_b32 exec_lo, exec_lo, s75
	s_and_saveexec_b32 s75, s19
	s_cbranch_execz .LBB116_65
.LBB116_97:                             ;   in Loop: Header=BB116_45 Depth=1
	v_mov_b32_e32 v2, s62
	ds_load_b32 v2, v2
	s_wait_dscnt 0x0
	v_add_nc_u32_e32 v12, v12, v2
	s_or_b32 exec_lo, exec_lo, s75
	s_and_saveexec_b32 s75, s20
	s_cbranch_execz .LBB116_66
.LBB116_98:                             ;   in Loop: Header=BB116_45 Depth=1
	v_mov_b32_e32 v2, s63
	ds_load_b32 v2, v2
	s_wait_dscnt 0x0
	v_add_nc_u32_e32 v12, v12, v2
	s_or_b32 exec_lo, exec_lo, s75
	s_and_saveexec_b32 s75, s21
	s_cbranch_execz .LBB116_67
.LBB116_99:                             ;   in Loop: Header=BB116_45 Depth=1
	v_mov_b32_e32 v2, s64
	ds_load_b32 v2, v2
	s_wait_dscnt 0x0
	v_add_nc_u32_e32 v12, v12, v2
	s_or_b32 exec_lo, exec_lo, s75
	s_and_saveexec_b32 s75, s22
	s_cbranch_execz .LBB116_68
.LBB116_100:                            ;   in Loop: Header=BB116_45 Depth=1
	v_mov_b32_e32 v2, s65
	ds_load_b32 v2, v2
	s_wait_dscnt 0x0
	v_add_nc_u32_e32 v12, v12, v2
	s_or_b32 exec_lo, exec_lo, s75
	s_and_saveexec_b32 s75, s23
	s_cbranch_execz .LBB116_69
.LBB116_101:                            ;   in Loop: Header=BB116_45 Depth=1
	v_mov_b32_e32 v2, s66
	ds_load_b32 v2, v2
	s_wait_dscnt 0x0
	v_add_nc_u32_e32 v12, v12, v2
	s_or_b32 exec_lo, exec_lo, s75
	s_and_saveexec_b32 s75, s24
	s_cbranch_execz .LBB116_70
.LBB116_102:                            ;   in Loop: Header=BB116_45 Depth=1
	v_mov_b32_e32 v2, s67
	ds_load_b32 v2, v2
	s_wait_dscnt 0x0
	v_add_nc_u32_e32 v12, v12, v2
	s_or_b32 exec_lo, exec_lo, s75
	s_and_saveexec_b32 s75, s25
	s_cbranch_execz .LBB116_71
.LBB116_103:                            ;   in Loop: Header=BB116_45 Depth=1
	v_mov_b32_e32 v2, s68
	ds_load_b32 v2, v2
	s_wait_dscnt 0x0
	v_add_nc_u32_e32 v12, v12, v2
	s_or_b32 exec_lo, exec_lo, s75
	s_and_saveexec_b32 s75, s26
	s_cbranch_execz .LBB116_72
.LBB116_104:                            ;   in Loop: Header=BB116_45 Depth=1
	v_mov_b32_e32 v2, s69
	ds_load_b32 v2, v2
	s_wait_dscnt 0x0
	v_add_nc_u32_e32 v12, v12, v2
	s_or_b32 exec_lo, exec_lo, s75
	s_and_saveexec_b32 s75, s27
	s_cbranch_execz .LBB116_73
.LBB116_105:                            ;   in Loop: Header=BB116_45 Depth=1
	v_mov_b32_e32 v2, s70
	ds_load_b32 v2, v2
	s_wait_dscnt 0x0
	v_add_nc_u32_e32 v12, v12, v2
	s_or_b32 exec_lo, exec_lo, s75
	s_and_saveexec_b32 s75, s28
	s_cbranch_execz .LBB116_74
.LBB116_106:                            ;   in Loop: Header=BB116_45 Depth=1
	v_mov_b32_e32 v2, s71
	ds_load_b32 v2, v2
	s_wait_dscnt 0x0
	v_add_nc_u32_e32 v12, v12, v2
	s_or_b32 exec_lo, exec_lo, s75
	s_and_saveexec_b32 s75, s29
	s_cbranch_execz .LBB116_75
.LBB116_107:                            ;   in Loop: Header=BB116_45 Depth=1
	v_mov_b32_e32 v2, s72
	ds_load_b32 v2, v2
	s_wait_dscnt 0x0
	v_add_nc_u32_e32 v12, v12, v2
	s_or_b32 exec_lo, exec_lo, s75
	s_and_saveexec_b32 s75, s30
	s_cbranch_execz .LBB116_76
.LBB116_108:                            ;   in Loop: Header=BB116_45 Depth=1
	v_mov_b32_e32 v2, s73
	ds_load_b32 v2, v2
	s_wait_dscnt 0x0
	v_add_nc_u32_e32 v12, v12, v2
	s_or_b32 exec_lo, exec_lo, s75
	s_delay_alu instid0(VALU_DEP_1)
	v_ashrrev_i32_e32 v13, 31, v12
	s_and_saveexec_b32 s75, s31
	s_cbranch_execz .LBB116_77
.LBB116_109:                            ;   in Loop: Header=BB116_45 Depth=1
	v_add3_u32 v2, v6, -1, v12
	s_delay_alu instid0(VALU_DEP_1) | instskip(NEXT) | instid1(VALU_DEP_1)
	v_lshl_add_u32 v2, v2, 3, 0
	v_add_nc_u32_e32 v5, 0x40000, v2
	ds_store_b64 v2, v[8:9]
	ds_store_b64 v5, v[10:11]
	s_or_b32 exec_lo, exec_lo, s75
	s_and_saveexec_b32 s31, vcc_lo
	s_cbranch_execz .LBB116_44
.LBB116_110:                            ;   in Loop: Header=BB116_45 Depth=1
	v_mov_b32_e32 v2, s74
	ds_store_b64 v2, v[12:13]
	s_branch .LBB116_44
.LBB116_111:
	s_or_b32 exec_lo, exec_lo, s33
	s_wait_kmcnt 0x0
	s_lshl_b64 s[0:1], s[50:51], 3
	v_mov_b32_e32 v1, 0
	s_add_nc_u64 s[4:5], s[42:43], s[0:1]
	s_mov_b32 s6, exec_lo
	s_load_b128 s[0:3], s[4:5], 0x0
	s_wait_kmcnt 0x0
	s_sub_nc_u64 s[4:5], s[2:3], s[0:1]
	s_delay_alu instid0(SALU_CYCLE_1)
	v_cmpx_gt_i64_e64 s[4:5], v[0:1]
	s_cbranch_execz .LBB116_121
; %bb.112:
	s_sub_nc_u64 s[8:9], s[0:1], s[2:3]
	s_and_b64 s[6:7], s[4:5], 7
	v_cmp_lt_u64_e64 s10, s[8:9], -7
	s_and_b64 s[2:3], s[4:5], -8
	s_mov_b32 s47, 0
	s_cmp_lg_u64 s[6:7], 0
	s_sub_nc_u64 s[0:1], s[0:1], s[46:47]
	s_cselect_b32 s11, -1, 0
	s_mov_b32 s12, 0
	s_branch .LBB116_114
.LBB116_113:                            ;   in Loop: Header=BB116_114 Depth=1
	v_add_nc_u64_e32 v[0:1], 0x400, v[0:1]
	s_wait_dscnt 0x1
	s_delay_alu instid0(VALU_DEP_2)
	v_lshl_add_u64 v[4:5], v[6:7], 3, s[34:35]
	s_wait_dscnt 0x0
	global_store_b64 v[4:5], v[2:3], off
	v_cmp_le_i64_e32 vcc_lo, s[4:5], v[0:1]
	s_or_b32 s12, vcc_lo, s12
	s_wait_xcnt 0x0
	s_and_not1_b32 exec_lo, exec_lo, s12
	s_cbranch_execz .LBB116_121
.LBB116_114:                            ; =>This Loop Header: Depth=1
                                        ;     Child Loop BB116_116 Depth 2
                                        ;     Child Loop BB116_120 Depth 2
	v_lshl_add_u32 v2, v0, 3, 0
	v_mov_b64_e32 v[6:7], s[0:1]
	s_and_not1_b32 vcc_lo, exec_lo, s10
	s_mov_b64 s[8:9], 0
	s_delay_alu instid0(VALU_DEP_2)
	v_add_nc_u32_e32 v3, 0x40000, v2
	ds_load_b64 v[4:5], v2
	ds_load_b64 v[2:3], v3
	s_cbranch_vccnz .LBB116_118
; %bb.115:                              ;   in Loop: Header=BB116_114 Depth=1
	v_mov_b64_e32 v[6:7], s[0:1]
	s_mov_b32 s13, 0
.LBB116_116:                            ;   Parent Loop BB116_114 Depth=1
                                        ; =>  This Inner Loop Header: Depth=2
	s_delay_alu instid0(SALU_CYCLE_1)
	v_dual_mov_b32 v20, s13 :: v_dual_mov_b32 v17, s47
	v_mov_b32_e32 v19, s47
	s_add_nc_u64 s[8:9], s[8:9], 8
	s_add_co_i32 s13, s13, 64
	ds_load_2addr_b64 v[8:11], v20 offset1:1
	ds_load_2addr_b64 v[12:15], v20 offset0:2 offset1:3
	s_cmp_eq_u64 s[2:3], s[8:9]
	s_wait_dscnt 0x1
	v_cmp_gt_i64_e32 vcc_lo, v[4:5], v[8:9]
	v_cndmask_b32_e64 v16, 0, 1, vcc_lo
	v_cmp_gt_i64_e32 vcc_lo, v[4:5], v[10:11]
	s_delay_alu instid0(VALU_DEP_2) | instskip(SKIP_4) | instid1(VALU_DEP_2)
	v_add_nc_u64_e32 v[10:11], v[6:7], v[16:17]
	ds_load_2addr_b64 v[6:9], v20 offset0:4 offset1:5
	v_cndmask_b32_e64 v18, 0, 1, vcc_lo
	s_wait_dscnt 0x1
	v_cmp_gt_i64_e32 vcc_lo, v[4:5], v[12:13]
	v_add_nc_u64_e32 v[10:11], v[10:11], v[18:19]
	v_cndmask_b32_e64 v16, 0, 1, vcc_lo
	v_cmp_gt_i64_e32 vcc_lo, v[4:5], v[14:15]
	s_delay_alu instid0(VALU_DEP_2)
	v_add_nc_u64_e32 v[14:15], v[10:11], v[16:17]
	ds_load_2addr_b64 v[10:13], v20 offset0:6 offset1:7
	v_cndmask_b32_e64 v18, 0, 1, vcc_lo
	s_wait_dscnt 0x1
	v_cmp_gt_i64_e32 vcc_lo, v[4:5], v[6:7]
	v_mov_b32_e32 v7, s47
	s_delay_alu instid0(VALU_DEP_3) | instskip(SKIP_3) | instid1(VALU_DEP_3)
	v_add_nc_u64_e32 v[14:15], v[14:15], v[18:19]
	v_cndmask_b32_e64 v16, 0, 1, vcc_lo
	v_cmp_gt_i64_e32 vcc_lo, v[4:5], v[8:9]
	v_mov_b32_e32 v9, s47
	v_add_nc_u64_e32 v[14:15], v[14:15], v[16:17]
	v_cndmask_b32_e64 v6, 0, 1, vcc_lo
	s_wait_dscnt 0x0
	v_cmp_gt_i64_e32 vcc_lo, v[4:5], v[10:11]
	v_mov_b32_e32 v11, s47
	s_delay_alu instid0(VALU_DEP_3) | instskip(SKIP_2) | instid1(VALU_DEP_2)
	v_add_nc_u64_e32 v[6:7], v[14:15], v[6:7]
	v_cndmask_b32_e64 v8, 0, 1, vcc_lo
	v_cmp_gt_i64_e32 vcc_lo, v[4:5], v[12:13]
	v_add_nc_u64_e32 v[6:7], v[6:7], v[8:9]
	v_cndmask_b32_e64 v10, 0, 1, vcc_lo
	s_delay_alu instid0(VALU_DEP_1)
	v_add_nc_u64_e32 v[6:7], v[6:7], v[10:11]
	s_cbranch_scc0 .LBB116_116
; %bb.117:                              ;   in Loop: Header=BB116_114 Depth=1
	s_mov_b64 s[8:9], s[2:3]
.LBB116_118:                            ;   in Loop: Header=BB116_114 Depth=1
	s_and_not1_b32 vcc_lo, exec_lo, s11
	s_cbranch_vccnz .LBB116_113
; %bb.119:                              ;   in Loop: Header=BB116_114 Depth=1
	s_lshl_b32 s8, s8, 3
	s_delay_alu instid0(SALU_CYCLE_1)
	s_add_co_i32 s13, s8, 0
	s_mov_b64 s[8:9], s[6:7]
.LBB116_120:                            ;   Parent Loop BB116_114 Depth=1
                                        ; =>  This Inner Loop Header: Depth=2
	v_dual_mov_b32 v8, s13 :: v_dual_mov_b32 v11, s47
	s_add_nc_u64 s[8:9], s[8:9], -1
	s_add_co_i32 s13, s13, 8
	s_cmp_lg_u64 s[8:9], 0
	ds_load_b64 v[8:9], v8
	s_wait_dscnt 0x0
	v_cmp_gt_i64_e32 vcc_lo, v[4:5], v[8:9]
	v_cndmask_b32_e64 v10, 0, 1, vcc_lo
	s_delay_alu instid0(VALU_DEP_1)
	v_add_nc_u64_e32 v[6:7], v[6:7], v[10:11]
	s_cbranch_scc1 .LBB116_120
	s_branch .LBB116_113
.LBB116_121:
	s_endpgm
	.section	.rodata,"a",@progbits
	.p2align	6, 0x0
	.amdhsa_kernel _ZN9rocsparseL41csrgemm_numeric_fill_block_per_row_kernelILj1024ELj64ELj32768ELj137ELj32ElldEEvT5_PKS1_S3_NS_24const_host_device_scalarIT6_EEPKT4_S3_PKS5_S9_S3_SB_S6_S9_S3_SB_S9_S3_PS5_21rocsparse_index_base_SD_SD_SD_bbb
		.amdhsa_group_segment_fixed_size 0
		.amdhsa_private_segment_fixed_size 0
		.amdhsa_kernarg_size 156
		.amdhsa_user_sgpr_count 2
		.amdhsa_user_sgpr_dispatch_ptr 0
		.amdhsa_user_sgpr_queue_ptr 0
		.amdhsa_user_sgpr_kernarg_segment_ptr 1
		.amdhsa_user_sgpr_dispatch_id 0
		.amdhsa_user_sgpr_kernarg_preload_length 0
		.amdhsa_user_sgpr_kernarg_preload_offset 0
		.amdhsa_user_sgpr_private_segment_size 0
		.amdhsa_wavefront_size32 1
		.amdhsa_uses_dynamic_stack 0
		.amdhsa_enable_private_segment 0
		.amdhsa_system_sgpr_workgroup_id_x 1
		.amdhsa_system_sgpr_workgroup_id_y 0
		.amdhsa_system_sgpr_workgroup_id_z 0
		.amdhsa_system_sgpr_workgroup_info 0
		.amdhsa_system_vgpr_workitem_id 0
		.amdhsa_next_free_vgpr 28
		.amdhsa_next_free_sgpr 76
		.amdhsa_named_barrier_count 0
		.amdhsa_reserve_vcc 1
		.amdhsa_float_round_mode_32 0
		.amdhsa_float_round_mode_16_64 0
		.amdhsa_float_denorm_mode_32 3
		.amdhsa_float_denorm_mode_16_64 3
		.amdhsa_fp16_overflow 0
		.amdhsa_memory_ordered 1
		.amdhsa_forward_progress 1
		.amdhsa_inst_pref_size 36
		.amdhsa_round_robin_scheduling 0
		.amdhsa_exception_fp_ieee_invalid_op 0
		.amdhsa_exception_fp_denorm_src 0
		.amdhsa_exception_fp_ieee_div_zero 0
		.amdhsa_exception_fp_ieee_overflow 0
		.amdhsa_exception_fp_ieee_underflow 0
		.amdhsa_exception_fp_ieee_inexact 0
		.amdhsa_exception_int_div_zero 0
	.end_amdhsa_kernel
	.section	.text._ZN9rocsparseL41csrgemm_numeric_fill_block_per_row_kernelILj1024ELj64ELj32768ELj137ELj32ElldEEvT5_PKS1_S3_NS_24const_host_device_scalarIT6_EEPKT4_S3_PKS5_S9_S3_SB_S6_S9_S3_SB_S9_S3_PS5_21rocsparse_index_base_SD_SD_SD_bbb,"axG",@progbits,_ZN9rocsparseL41csrgemm_numeric_fill_block_per_row_kernelILj1024ELj64ELj32768ELj137ELj32ElldEEvT5_PKS1_S3_NS_24const_host_device_scalarIT6_EEPKT4_S3_PKS5_S9_S3_SB_S6_S9_S3_SB_S9_S3_PS5_21rocsparse_index_base_SD_SD_SD_bbb,comdat
.Lfunc_end116:
	.size	_ZN9rocsparseL41csrgemm_numeric_fill_block_per_row_kernelILj1024ELj64ELj32768ELj137ELj32ElldEEvT5_PKS1_S3_NS_24const_host_device_scalarIT6_EEPKT4_S3_PKS5_S9_S3_SB_S6_S9_S3_SB_S9_S3_PS5_21rocsparse_index_base_SD_SD_SD_bbb, .Lfunc_end116-_ZN9rocsparseL41csrgemm_numeric_fill_block_per_row_kernelILj1024ELj64ELj32768ELj137ELj32ElldEEvT5_PKS1_S3_NS_24const_host_device_scalarIT6_EEPKT4_S3_PKS5_S9_S3_SB_S6_S9_S3_SB_S9_S3_PS5_21rocsparse_index_base_SD_SD_SD_bbb
                                        ; -- End function
	.set _ZN9rocsparseL41csrgemm_numeric_fill_block_per_row_kernelILj1024ELj64ELj32768ELj137ELj32ElldEEvT5_PKS1_S3_NS_24const_host_device_scalarIT6_EEPKT4_S3_PKS5_S9_S3_SB_S6_S9_S3_SB_S9_S3_PS5_21rocsparse_index_base_SD_SD_SD_bbb.num_vgpr, 28
	.set _ZN9rocsparseL41csrgemm_numeric_fill_block_per_row_kernelILj1024ELj64ELj32768ELj137ELj32ElldEEvT5_PKS1_S3_NS_24const_host_device_scalarIT6_EEPKT4_S3_PKS5_S9_S3_SB_S6_S9_S3_SB_S9_S3_PS5_21rocsparse_index_base_SD_SD_SD_bbb.num_agpr, 0
	.set _ZN9rocsparseL41csrgemm_numeric_fill_block_per_row_kernelILj1024ELj64ELj32768ELj137ELj32ElldEEvT5_PKS1_S3_NS_24const_host_device_scalarIT6_EEPKT4_S3_PKS5_S9_S3_SB_S6_S9_S3_SB_S9_S3_PS5_21rocsparse_index_base_SD_SD_SD_bbb.numbered_sgpr, 76
	.set _ZN9rocsparseL41csrgemm_numeric_fill_block_per_row_kernelILj1024ELj64ELj32768ELj137ELj32ElldEEvT5_PKS1_S3_NS_24const_host_device_scalarIT6_EEPKT4_S3_PKS5_S9_S3_SB_S6_S9_S3_SB_S9_S3_PS5_21rocsparse_index_base_SD_SD_SD_bbb.num_named_barrier, 0
	.set _ZN9rocsparseL41csrgemm_numeric_fill_block_per_row_kernelILj1024ELj64ELj32768ELj137ELj32ElldEEvT5_PKS1_S3_NS_24const_host_device_scalarIT6_EEPKT4_S3_PKS5_S9_S3_SB_S6_S9_S3_SB_S9_S3_PS5_21rocsparse_index_base_SD_SD_SD_bbb.private_seg_size, 0
	.set _ZN9rocsparseL41csrgemm_numeric_fill_block_per_row_kernelILj1024ELj64ELj32768ELj137ELj32ElldEEvT5_PKS1_S3_NS_24const_host_device_scalarIT6_EEPKT4_S3_PKS5_S9_S3_SB_S6_S9_S3_SB_S9_S3_PS5_21rocsparse_index_base_SD_SD_SD_bbb.uses_vcc, 1
	.set _ZN9rocsparseL41csrgemm_numeric_fill_block_per_row_kernelILj1024ELj64ELj32768ELj137ELj32ElldEEvT5_PKS1_S3_NS_24const_host_device_scalarIT6_EEPKT4_S3_PKS5_S9_S3_SB_S6_S9_S3_SB_S9_S3_PS5_21rocsparse_index_base_SD_SD_SD_bbb.uses_flat_scratch, 0
	.set _ZN9rocsparseL41csrgemm_numeric_fill_block_per_row_kernelILj1024ELj64ELj32768ELj137ELj32ElldEEvT5_PKS1_S3_NS_24const_host_device_scalarIT6_EEPKT4_S3_PKS5_S9_S3_SB_S6_S9_S3_SB_S9_S3_PS5_21rocsparse_index_base_SD_SD_SD_bbb.has_dyn_sized_stack, 0
	.set _ZN9rocsparseL41csrgemm_numeric_fill_block_per_row_kernelILj1024ELj64ELj32768ELj137ELj32ElldEEvT5_PKS1_S3_NS_24const_host_device_scalarIT6_EEPKT4_S3_PKS5_S9_S3_SB_S6_S9_S3_SB_S9_S3_PS5_21rocsparse_index_base_SD_SD_SD_bbb.has_recursion, 0
	.set _ZN9rocsparseL41csrgemm_numeric_fill_block_per_row_kernelILj1024ELj64ELj32768ELj137ELj32ElldEEvT5_PKS1_S3_NS_24const_host_device_scalarIT6_EEPKT4_S3_PKS5_S9_S3_SB_S6_S9_S3_SB_S9_S3_PS5_21rocsparse_index_base_SD_SD_SD_bbb.has_indirect_call, 0
	.section	.AMDGPU.csdata,"",@progbits
; Kernel info:
; codeLenInByte = 4568
; TotalNumSgprs: 78
; NumVgprs: 28
; ScratchSize: 0
; MemoryBound: 0
; FloatMode: 240
; IeeeMode: 1
; LDSByteSize: 0 bytes/workgroup (compile time only)
; SGPRBlocks: 0
; VGPRBlocks: 1
; NumSGPRsForWavesPerEU: 78
; NumVGPRsForWavesPerEU: 28
; NamedBarCnt: 0
; Occupancy: 16
; WaveLimiterHint : 1
; COMPUTE_PGM_RSRC2:SCRATCH_EN: 0
; COMPUTE_PGM_RSRC2:USER_SGPR: 2
; COMPUTE_PGM_RSRC2:TRAP_HANDLER: 0
; COMPUTE_PGM_RSRC2:TGID_X_EN: 1
; COMPUTE_PGM_RSRC2:TGID_Y_EN: 0
; COMPUTE_PGM_RSRC2:TGID_Z_EN: 0
; COMPUTE_PGM_RSRC2:TIDIG_COMP_CNT: 0
	.section	.text._ZN9rocsparseL41csrgemm_numeric_fill_block_per_row_kernelILj1024ELj64ELj32768ELj137ELj64ElldEEvT5_PKS1_S3_NS_24const_host_device_scalarIT6_EEPKT4_S3_PKS5_S9_S3_SB_S6_S9_S3_SB_S9_S3_PS5_21rocsparse_index_base_SD_SD_SD_bbb,"axG",@progbits,_ZN9rocsparseL41csrgemm_numeric_fill_block_per_row_kernelILj1024ELj64ELj32768ELj137ELj64ElldEEvT5_PKS1_S3_NS_24const_host_device_scalarIT6_EEPKT4_S3_PKS5_S9_S3_SB_S6_S9_S3_SB_S9_S3_PS5_21rocsparse_index_base_SD_SD_SD_bbb,comdat
	.globl	_ZN9rocsparseL41csrgemm_numeric_fill_block_per_row_kernelILj1024ELj64ELj32768ELj137ELj64ElldEEvT5_PKS1_S3_NS_24const_host_device_scalarIT6_EEPKT4_S3_PKS5_S9_S3_SB_S6_S9_S3_SB_S9_S3_PS5_21rocsparse_index_base_SD_SD_SD_bbb ; -- Begin function _ZN9rocsparseL41csrgemm_numeric_fill_block_per_row_kernelILj1024ELj64ELj32768ELj137ELj64ElldEEvT5_PKS1_S3_NS_24const_host_device_scalarIT6_EEPKT4_S3_PKS5_S9_S3_SB_S6_S9_S3_SB_S9_S3_PS5_21rocsparse_index_base_SD_SD_SD_bbb
	.p2align	8
	.type	_ZN9rocsparseL41csrgemm_numeric_fill_block_per_row_kernelILj1024ELj64ELj32768ELj137ELj64ElldEEvT5_PKS1_S3_NS_24const_host_device_scalarIT6_EEPKT4_S3_PKS5_S9_S3_SB_S6_S9_S3_SB_S9_S3_PS5_21rocsparse_index_base_SD_SD_SD_bbb,@function
_ZN9rocsparseL41csrgemm_numeric_fill_block_per_row_kernelILj1024ELj64ELj32768ELj137ELj64ElldEEvT5_PKS1_S3_NS_24const_host_device_scalarIT6_EEPKT4_S3_PKS5_S9_S3_SB_S6_S9_S3_SB_S9_S3_PS5_21rocsparse_index_base_SD_SD_SD_bbb: ; @_ZN9rocsparseL41csrgemm_numeric_fill_block_per_row_kernelILj1024ELj64ELj32768ELj137ELj64ElldEEvT5_PKS1_S3_NS_24const_host_device_scalarIT6_EEPKT4_S3_PKS5_S9_S3_SB_S6_S9_S3_SB_S9_S3_PS5_21rocsparse_index_base_SD_SD_SD_bbb
; %bb.0:
	s_clause 0x3
	s_load_b32 s6, s[0:1], 0x98
	s_load_b64 s[2:3], s[0:1], 0x18
	s_load_b128 s[20:23], s[0:1], 0x88
	s_load_b64 s[4:5], s[0:1], 0x50
	s_wait_kmcnt 0x0
	s_bitcmp1_b32 s6, 0
	s_cselect_b32 s36, -1, 0
	s_bitcmp1_b32 s6, 16
	s_cselect_b32 s7, -1, 0
	s_xor_b32 s8, s36, -1
	s_delay_alu instid0(SALU_CYCLE_1)
	s_or_b32 s10, s7, s8
	s_and_b32 s8, s36, exec_lo
	s_cselect_b32 s9, s3, 0
	s_cselect_b32 s8, s2, 0
	s_and_b32 vcc_lo, exec_lo, s10
	v_mov_b64_e32 v[6:7], s[8:9]
	s_cbranch_vccnz .LBB117_2
; %bb.1:
	v_mov_b32_e32 v1, 0
	flat_load_b64 v[6:7], v1, s[2:3]
.LBB117_2:
	s_wait_xcnt 0x0
	s_load_b64 s[2:3], s[0:1], 0x8
	s_bitcmp1_b32 s6, 8
	s_cselect_b32 s33, -1, 0
	s_delay_alu instid0(SALU_CYCLE_1) | instskip(NEXT) | instid1(SALU_CYCLE_1)
	s_xor_b32 s6, s33, -1
	s_or_b32 s8, s7, s6
	s_and_b32 s6, s33, exec_lo
	s_cselect_b32 s7, s5, 0
	s_cselect_b32 s6, s4, 0
	s_and_b32 vcc_lo, exec_lo, s8
	v_mov_b64_e32 v[2:3], s[6:7]
	s_cbranch_vccnz .LBB117_4
; %bb.3:
	v_mov_b32_e32 v1, 0
	flat_load_b64 v[2:3], v1, s[4:5]
.LBB117_4:
	s_clause 0x5
	s_load_b64 s[30:31], s[0:1], 0x0
	s_load_b64 s[34:35], s[0:1], 0x10
	;; [unrolled: 1-line block ×3, first 2 shown]
	s_load_b256 s[12:19], s[0:1], 0x58
	s_load_b128 s[24:27], s[0:1], 0x40
	s_load_b256 s[4:11], s[0:1], 0x20
	v_lshl_add_u32 v28, v0, 3, 0
	v_or_b32_e32 v29, 0xfffffc00, v0
	v_mov_b64_e32 v[4:5], 0
	s_wait_xcnt 0x0
	s_mov_b32 s0, 0
	s_delay_alu instid0(VALU_DEP_2)
	v_dual_mov_b32 v1, v28 :: v_dual_mov_b32 v10, v29
	s_wait_kmcnt 0x0
	v_mov_b64_e32 v[8:9], s[30:31]
.LBB117_5:                              ; =>This Inner Loop Header: Depth=1
	s_delay_alu instid0(VALU_DEP_2) | instskip(NEXT) | instid1(VALU_DEP_3)
	v_add_nc_u32_e32 v10, 0x400, v10
	v_add_nc_u32_e32 v11, 0x40000, v1
	ds_store_b64 v1, v[8:9]
	v_add_nc_u32_e32 v1, 0x2000, v1
	v_cmp_lt_u32_e32 vcc_lo, 0x7bff, v10
	ds_store_b64 v11, v[4:5]
	s_or_b32 s0, vcc_lo, s0
	s_delay_alu instid0(SALU_CYCLE_1)
	s_and_not1_b32 exec_lo, exec_lo, s0
	s_cbranch_execnz .LBB117_5
; %bb.6:
	s_or_b32 exec_lo, exec_lo, s0
	s_wait_loadcnt_dscnt 0x0
	s_barrier_signal -1
	s_barrier_wait -1
	s_load_b64 s[0:1], s[2:3], 0x0
	s_wait_xcnt 0x0
	s_bfe_u32 s2, ttmp6, 0x4000c
	s_and_b32 s3, ttmp6, 15
	s_add_co_i32 s2, s2, 1
	s_getreg_b32 s37, hwreg(HW_REG_IB_STS2, 6, 4)
	s_mul_i32 s2, ttmp9, s2
	v_lshrrev_b32_e32 v4, 6, v0
	s_add_co_i32 s3, s3, s2
	s_wait_kmcnt 0x0
	s_lshl_b64 s[0:1], s[0:1], 3
	s_cmp_eq_u32 s37, 0
	s_add_nc_u64 s[0:1], s[34:35], s[0:1]
	s_cselect_b32 s2, ttmp9, s3
	s_and_b32 vcc_lo, exec_lo, s36
	s_load_b64 s[34:35], s[0:1], s2 offset:0x0 scale_offset
	s_wait_xcnt 0x0
	s_mov_b32 s1, 0
	s_cbranch_vccz .LBB117_26
; %bb.7:
	s_wait_kmcnt 0x0
	s_lshl_b64 s[2:3], s[34:35], 3
	v_mov_b32_e32 v5, 0
	s_add_nc_u64 s[2:3], s[4:5], s[2:3]
	s_mov_b32 s0, s20
	s_load_b128 s[36:39], s[2:3], 0x0
	s_mov_b32 s20, exec_lo
	v_sub_nc_u64_e64 v[8:9], v[4:5], s[0:1]
	s_wait_kmcnt 0x0
	s_delay_alu instid0(VALU_DEP_1)
	v_add_nc_u64_e32 v[8:9], s[36:37], v[8:9]
	s_sub_nc_u64 s[2:3], s[38:39], s[0:1]
	s_delay_alu instid0(VALU_DEP_1) | instid1(SALU_CYCLE_1)
	v_cmpx_gt_i64_e64 s[2:3], v[8:9]
	s_cbranch_execz .LBB117_25
; %bb.8:
	v_dual_mov_b32 v11, v5 :: v_dual_bitop2_b32 v10, 63, v0 bitop3:0x40
	s_mov_b32 s5, 0
	s_mov_b32 s4, s21
	;; [unrolled: 1-line block ×3, first 2 shown]
	s_delay_alu instid0(VALU_DEP_1)
	v_sub_nc_u64_e64 v[10:11], v[10:11], s[4:5]
	s_branch .LBB117_10
.LBB117_9:                              ;   in Loop: Header=BB117_10 Depth=1
	s_or_b32 exec_lo, exec_lo, s36
	v_add_nc_u64_e32 v[8:9], 16, v[8:9]
	s_delay_alu instid0(VALU_DEP_1) | instskip(SKIP_1) | instid1(SALU_CYCLE_1)
	v_cmp_le_i64_e32 vcc_lo, s[2:3], v[8:9]
	s_or_b32 s21, vcc_lo, s21
	s_and_not1_b32 exec_lo, exec_lo, s21
	s_cbranch_execz .LBB117_25
.LBB117_10:                             ; =>This Loop Header: Depth=1
                                        ;     Child Loop BB117_14 Depth 2
                                        ;       Child Loop BB117_17 Depth 3
	v_lshl_add_u64 v[12:13], v[8:9], 3, s[6:7]
	s_mov_b32 s36, exec_lo
	global_load_b64 v[12:13], v[12:13], off
	s_wait_loadcnt 0x0
	s_wait_xcnt 0x0
	v_sub_nc_u64_e64 v[12:13], v[12:13], s[0:1]
	s_delay_alu instid0(VALU_DEP_1)
	v_lshl_add_u64 v[12:13], v[12:13], 3, s[10:11]
	global_load_b128 v[14:17], v[12:13], off
	s_wait_loadcnt 0x0
	s_wait_xcnt 0x0
	v_sub_nc_u64_e64 v[12:13], v[16:17], s[4:5]
	v_add_nc_u64_e32 v[14:15], v[14:15], v[10:11]
	s_delay_alu instid0(VALU_DEP_1)
	v_cmpx_lt_i64_e64 v[14:15], v[12:13]
	s_cbranch_execz .LBB117_9
; %bb.11:                               ;   in Loop: Header=BB117_10 Depth=1
	v_lshl_add_u64 v[16:17], v[8:9], 3, s[8:9]
	s_mov_b32 s37, 0
	global_load_b64 v[16:17], v[16:17], off
	s_wait_loadcnt 0x0
	s_wait_xcnt 0x0
	v_mul_f64_e32 v[16:17], v[6:7], v[16:17]
	s_branch .LBB117_14
.LBB117_12:                             ;   in Loop: Header=BB117_14 Depth=2
	s_or_b32 exec_lo, exec_lo, s39
.LBB117_13:                             ;   in Loop: Header=BB117_14 Depth=2
	s_delay_alu instid0(SALU_CYCLE_1) | instskip(SKIP_3) | instid1(VALU_DEP_2)
	s_or_b32 exec_lo, exec_lo, s38
	s_wait_loadcnt 0x0
	v_dual_mul_f64 v[18:19], v[16:17], v[18:19] :: v_dual_lshlrev_b32 v1, 3, v20
	v_add_nc_u64_e32 v[14:15], 64, v[14:15]
	v_add3_u32 v1, 0, v1, 0x40000
	s_delay_alu instid0(VALU_DEP_2)
	v_cmp_ge_i64_e32 vcc_lo, v[14:15], v[12:13]
	s_or_b32 s37, vcc_lo, s37
	ds_add_f64 v1, v[18:19]
	s_and_not1_b32 exec_lo, exec_lo, s37
	s_cbranch_execz .LBB117_9
.LBB117_14:                             ;   Parent Loop BB117_10 Depth=1
                                        ; =>  This Loop Header: Depth=2
                                        ;       Child Loop BB117_17 Depth 3
	v_lshlrev_b64_e32 v[18:19], 3, v[14:15]
	s_mov_b32 s38, exec_lo
	s_delay_alu instid0(VALU_DEP_1)
	v_add_nc_u64_e32 v[20:21], s[24:25], v[18:19]
	v_add_nc_u64_e32 v[18:19], s[26:27], v[18:19]
	global_load_b64 v[20:21], v[20:21], off
	global_load_b64 v[18:19], v[18:19], off
	s_wait_loadcnt 0x1
	v_sub_nc_u64_e64 v[22:23], v[20:21], s[4:5]
	s_delay_alu instid0(VALU_DEP_1) | instskip(SKIP_1) | instid1(VALU_DEP_1)
	v_mul_lo_u32 v1, 0x89, v22
	s_wait_xcnt 0x1
	v_and_b32_e32 v20, 0x7fff, v1
	s_delay_alu instid0(VALU_DEP_1)
	v_lshl_add_u32 v1, v20, 3, 0
	ds_load_b64 v[26:27], v1
	s_wait_dscnt 0x0
	s_wait_xcnt 0x0
	v_cmpx_ne_u64_e64 v[26:27], v[22:23]
	s_cbranch_execz .LBB117_13
; %bb.15:                               ;   in Loop: Header=BB117_14 Depth=2
	s_mov_b32 s39, 0
                                        ; implicit-def: $sgpr40
                                        ; implicit-def: $sgpr41
	s_branch .LBB117_17
.LBB117_16:                             ;   in Loop: Header=BB117_17 Depth=3
	s_or_b32 exec_lo, exec_lo, s44
	s_delay_alu instid0(SALU_CYCLE_1) | instskip(NEXT) | instid1(SALU_CYCLE_1)
	s_and_b32 s42, exec_lo, s43
	s_or_b32 s39, s42, s39
	s_and_not1_b32 s40, s40, exec_lo
	s_and_b32 s42, s41, exec_lo
	s_delay_alu instid0(SALU_CYCLE_1)
	s_or_b32 s40, s40, s42
	s_and_not1_b32 exec_lo, exec_lo, s39
	s_cbranch_execz .LBB117_23
.LBB117_17:                             ;   Parent Loop BB117_10 Depth=1
                                        ;     Parent Loop BB117_14 Depth=2
                                        ; =>    This Inner Loop Header: Depth=3
	v_mov_b64_e32 v[24:25], v[20:21]
	s_mov_b32 s42, 0
	s_mov_b32 s43, exec_lo
                                        ; implicit-def: $vgpr20_vgpr21
	v_cmpx_ne_u64_e64 s[30:31], v[26:27]
	s_xor_b32 s43, exec_lo, s43
; %bb.18:                               ;   in Loop: Header=BB117_17 Depth=3
	s_delay_alu instid0(VALU_DEP_2) | instskip(SKIP_1) | instid1(VALU_DEP_1)
	v_add_nc_u32_e32 v1, 1, v24
	s_mov_b32 s42, exec_lo
	v_and_b32_e32 v20, 0x7fff, v1
                                        ; implicit-def: $vgpr1
; %bb.19:                               ;   in Loop: Header=BB117_17 Depth=3
	s_and_not1_saveexec_b32 s43, s43
	s_cbranch_execz .LBB117_21
; %bb.20:                               ;   in Loop: Header=BB117_17 Depth=3
	v_mov_b64_e32 v[20:21], s[30:31]
	s_and_not1_b32 s42, s42, exec_lo
	ds_cmpstore_rtn_b64 v[20:21], v1, v[22:23], v[20:21]
	s_wait_dscnt 0x0
	v_cmp_ne_u64_e32 vcc_lo, s[30:31], v[20:21]
	v_mov_b64_e32 v[20:21], v[24:25]
	s_and_b32 s44, vcc_lo, exec_lo
	s_delay_alu instid0(SALU_CYCLE_1)
	s_or_b32 s42, s42, s44
.LBB117_21:                             ;   in Loop: Header=BB117_17 Depth=3
	s_or_b32 exec_lo, exec_lo, s43
	s_mov_b32 s43, -1
	s_or_b32 s41, s41, exec_lo
                                        ; implicit-def: $vgpr1
                                        ; implicit-def: $vgpr26_vgpr27
	s_and_saveexec_b32 s44, s42
	s_cbranch_execz .LBB117_16
; %bb.22:                               ;   in Loop: Header=BB117_17 Depth=3
	v_lshl_add_u32 v1, v20, 3, 0
	s_and_not1_b32 s41, s41, exec_lo
	ds_load_b64 v[26:27], v1
	s_wait_dscnt 0x0
	v_cmp_eq_u64_e32 vcc_lo, v[26:27], v[22:23]
	s_or_not1_b32 s43, vcc_lo, exec_lo
	s_branch .LBB117_16
.LBB117_23:                             ;   in Loop: Header=BB117_14 Depth=2
	s_or_b32 exec_lo, exec_lo, s39
	s_and_saveexec_b32 s39, s40
	s_delay_alu instid0(SALU_CYCLE_1)
	s_xor_b32 s39, exec_lo, s39
	s_cbranch_execz .LBB117_12
; %bb.24:                               ;   in Loop: Header=BB117_14 Depth=2
	v_mov_b32_e32 v20, v24
	s_branch .LBB117_12
.LBB117_25:
	s_or_b32 exec_lo, exec_lo, s20
.LBB117_26:
	s_delay_alu instid0(SALU_CYCLE_1)
	s_and_not1_b32 vcc_lo, exec_lo, s33
	s_cbranch_vccnz .LBB117_43
; %bb.27:
	s_wait_kmcnt 0x0
	s_lshl_b64 s[0:1], s[34:35], 3
	v_mov_b32_e32 v1, 0
	s_add_nc_u64 s[0:1], s[12:13], s[0:1]
	s_load_b128 s[4:7], s[0:1], 0x0
	s_wait_xcnt 0x0
	s_mov_b32 s1, 0
	s_mov_b32 s0, s23
	s_delay_alu instid0(SALU_CYCLE_1) | instskip(SKIP_1) | instid1(VALU_DEP_1)
	v_sub_nc_u64_e64 v[6:7], v[0:1], s[0:1]
	s_wait_kmcnt 0x0
	v_add_nc_u64_e32 v[6:7], s[4:5], v[6:7]
	s_sub_nc_u64 s[2:3], s[6:7], s[0:1]
	s_mov_b32 s4, exec_lo
	s_delay_alu instid0(VALU_DEP_1)
	v_cmpx_gt_i64_e64 s[2:3], v[6:7]
	s_cbranch_execz .LBB117_42
; %bb.28:
	s_mov_b32 s5, s1
	s_branch .LBB117_31
.LBB117_29:                             ;   in Loop: Header=BB117_31 Depth=1
	s_or_b32 exec_lo, exec_lo, s7
.LBB117_30:                             ;   in Loop: Header=BB117_31 Depth=1
	s_delay_alu instid0(SALU_CYCLE_1) | instskip(SKIP_3) | instid1(VALU_DEP_2)
	s_or_b32 exec_lo, exec_lo, s6
	s_wait_loadcnt 0x0
	v_dual_mul_f64 v[8:9], v[2:3], v[8:9] :: v_dual_lshlrev_b32 v1, 3, v10
	v_add_nc_u64_e32 v[6:7], 0x400, v[6:7]
	v_add3_u32 v1, 0, v1, 0x40000
	s_delay_alu instid0(VALU_DEP_2)
	v_cmp_le_i64_e32 vcc_lo, s[2:3], v[6:7]
	s_or_b32 s5, vcc_lo, s5
	ds_add_f64 v1, v[8:9]
	s_and_not1_b32 exec_lo, exec_lo, s5
	s_cbranch_execz .LBB117_42
.LBB117_31:                             ; =>This Loop Header: Depth=1
                                        ;     Child Loop BB117_34 Depth 2
	v_lshlrev_b64_e32 v[8:9], 3, v[6:7]
	s_mov_b32 s6, exec_lo
	s_delay_alu instid0(VALU_DEP_1)
	v_add_nc_u64_e32 v[10:11], s[14:15], v[8:9]
	v_add_nc_u64_e32 v[8:9], s[16:17], v[8:9]
	global_load_b64 v[10:11], v[10:11], off
	global_load_b64 v[8:9], v[8:9], off
	s_wait_loadcnt 0x1
	v_sub_nc_u64_e64 v[12:13], v[10:11], s[0:1]
	s_delay_alu instid0(VALU_DEP_1) | instskip(NEXT) | instid1(VALU_DEP_1)
	v_mul_lo_u32 v1, 0x89, v12
	v_and_b32_e32 v10, 0x7fff, v1
	s_delay_alu instid0(VALU_DEP_1)
	v_lshl_add_u32 v1, v10, 3, 0
	ds_load_b64 v[16:17], v1
	s_wait_dscnt 0x0
	s_wait_xcnt 0x0
	v_cmpx_ne_u64_e64 v[16:17], v[12:13]
	s_cbranch_execz .LBB117_30
; %bb.32:                               ;   in Loop: Header=BB117_31 Depth=1
	s_mov_b32 s7, 0
                                        ; implicit-def: $sgpr8
                                        ; implicit-def: $sgpr9
	s_branch .LBB117_34
.LBB117_33:                             ;   in Loop: Header=BB117_34 Depth=2
	s_or_b32 exec_lo, exec_lo, s12
	s_delay_alu instid0(SALU_CYCLE_1) | instskip(NEXT) | instid1(SALU_CYCLE_1)
	s_and_b32 s10, exec_lo, s11
	s_or_b32 s7, s10, s7
	s_and_not1_b32 s8, s8, exec_lo
	s_and_b32 s10, s9, exec_lo
	s_delay_alu instid0(SALU_CYCLE_1)
	s_or_b32 s8, s8, s10
	s_and_not1_b32 exec_lo, exec_lo, s7
	s_cbranch_execz .LBB117_40
.LBB117_34:                             ;   Parent Loop BB117_31 Depth=1
                                        ; =>  This Inner Loop Header: Depth=2
	v_mov_b64_e32 v[14:15], v[10:11]
	s_mov_b32 s10, 0
	s_mov_b32 s11, exec_lo
                                        ; implicit-def: $vgpr10_vgpr11
	v_cmpx_ne_u64_e64 s[30:31], v[16:17]
	s_xor_b32 s11, exec_lo, s11
; %bb.35:                               ;   in Loop: Header=BB117_34 Depth=2
	s_delay_alu instid0(VALU_DEP_2) | instskip(SKIP_1) | instid1(VALU_DEP_1)
	v_add_nc_u32_e32 v1, 1, v14
	s_mov_b32 s10, exec_lo
	v_and_b32_e32 v10, 0x7fff, v1
                                        ; implicit-def: $vgpr1
; %bb.36:                               ;   in Loop: Header=BB117_34 Depth=2
	s_and_not1_saveexec_b32 s11, s11
	s_cbranch_execz .LBB117_38
; %bb.37:                               ;   in Loop: Header=BB117_34 Depth=2
	v_mov_b64_e32 v[10:11], s[30:31]
	s_and_not1_b32 s10, s10, exec_lo
	ds_cmpstore_rtn_b64 v[10:11], v1, v[12:13], v[10:11]
	s_wait_dscnt 0x0
	v_cmp_ne_u64_e32 vcc_lo, s[30:31], v[10:11]
	v_mov_b64_e32 v[10:11], v[14:15]
	s_and_b32 s12, vcc_lo, exec_lo
	s_delay_alu instid0(SALU_CYCLE_1)
	s_or_b32 s10, s10, s12
.LBB117_38:                             ;   in Loop: Header=BB117_34 Depth=2
	s_or_b32 exec_lo, exec_lo, s11
	s_mov_b32 s11, -1
	s_or_b32 s9, s9, exec_lo
                                        ; implicit-def: $vgpr1
                                        ; implicit-def: $vgpr16_vgpr17
	s_and_saveexec_b32 s12, s10
	s_cbranch_execz .LBB117_33
; %bb.39:                               ;   in Loop: Header=BB117_34 Depth=2
	v_lshl_add_u32 v1, v10, 3, 0
	s_and_not1_b32 s9, s9, exec_lo
	ds_load_b64 v[16:17], v1
	s_wait_dscnt 0x0
	v_cmp_eq_u64_e32 vcc_lo, v[16:17], v[12:13]
	s_or_not1_b32 s11, vcc_lo, exec_lo
	s_branch .LBB117_33
.LBB117_40:                             ;   in Loop: Header=BB117_31 Depth=1
	s_or_b32 exec_lo, exec_lo, s7
	s_and_saveexec_b32 s7, s8
	s_delay_alu instid0(SALU_CYCLE_1)
	s_xor_b32 s7, exec_lo, s7
	s_cbranch_execz .LBB117_29
; %bb.41:                               ;   in Loop: Header=BB117_31 Depth=1
	v_mov_b32_e32 v10, v14
	s_branch .LBB117_29
.LBB117_42:
	s_or_b32 exec_lo, exec_lo, s4
.LBB117_43:
	v_mbcnt_lo_u32_b32 v1, -1, 0
	v_lshlrev_b32_e32 v2, 3, v4
	v_mov_b64_e32 v[6:7], 0
	s_add_co_i32 s38, 0, 0x80078
	s_delay_alu instid0(SALU_CYCLE_1)
	v_dual_mov_b32 v3, 0 :: v_dual_mov_b32 v5, s38
	v_xor_b32_e32 v4, 31, v1
	v_add3_u32 v1, 0x80000, 0, v2
	v_cmp_lt_u32_e64 s0, 63, v0
	v_cmp_lt_u32_e64 s1, 0x7f, v0
	;; [unrolled: 1-line block ×3, first 2 shown]
	v_lshrrev_b32_e64 v4, v4, -1
	v_cmp_lt_u32_e64 s3, 0xff, v0
	v_cmp_lt_u32_e64 s4, 0x13f, v0
	;; [unrolled: 1-line block ×12, first 2 shown]
	s_mov_b32 s16, 0
	s_add_co_i32 s17, 0, 0x80000
	s_add_co_i32 s20, 0, 0x80008
	;; [unrolled: 1-line block ×15, first 2 shown]
	s_wait_dscnt 0x0
	s_barrier_signal -1
	s_barrier_wait -1
	v_cmp_eq_u32_e32 vcc_lo, 0x3ff, v0
	s_branch .LBB117_45
.LBB117_44:                             ;   in Loop: Header=BB117_45 Depth=1
	s_or_b32 exec_lo, exec_lo, s15
	s_wait_dscnt 0x0
	s_barrier_signal -1
	s_barrier_wait -1
	ds_load_b64 v[8:9], v5
	v_add_nc_u32_e32 v29, 0x400, v29
	v_add_nc_u32_e32 v28, 0x2000, v28
	s_delay_alu instid0(VALU_DEP_2)
	v_cmp_lt_u32_e64 s15, 0x7bff, v29
	s_or_b32 s16, s15, s16
	s_wait_dscnt 0x0
	v_add_nc_u64_e32 v[6:7], v[8:9], v[6:7]
	s_and_not1_b32 exec_lo, exec_lo, s16
	s_cbranch_execz .LBB117_79
.LBB117_45:                             ; =>This Inner Loop Header: Depth=1
	ds_load_b64 v[8:9], v28
	v_add_nc_u32_e32 v2, 0x40000, v28
	ds_load_b64 v[10:11], v2
	s_wait_dscnt 0x0
	s_barrier_signal -1
	s_barrier_wait -1
	v_cmp_gt_i64_e64 s15, s[30:31], v[8:9]
	s_bcnt1_i32_b32 s43, s15
	s_delay_alu instid0(SALU_CYCLE_1) | instskip(NEXT) | instid1(VALU_DEP_1)
	v_dual_mov_b32 v2, s43 :: v_dual_bitop2_b32 v12, s15, v4 bitop3:0x40
	v_bcnt_u32_b32 v12, v12, 0
	ds_store_b64 v1, v[2:3]
	s_wait_dscnt 0x0
	s_barrier_signal -1
	s_barrier_wait -1
	s_and_saveexec_b32 s43, s0
	s_cbranch_execnz .LBB117_62
; %bb.46:                               ;   in Loop: Header=BB117_45 Depth=1
	s_or_b32 exec_lo, exec_lo, s43
	s_and_saveexec_b32 s43, s1
	s_cbranch_execnz .LBB117_63
.LBB117_47:                             ;   in Loop: Header=BB117_45 Depth=1
	s_or_b32 exec_lo, exec_lo, s43
	s_and_saveexec_b32 s43, s2
	s_cbranch_execnz .LBB117_64
.LBB117_48:                             ;   in Loop: Header=BB117_45 Depth=1
	s_or_b32 exec_lo, exec_lo, s43
	s_and_saveexec_b32 s43, s3
	s_cbranch_execnz .LBB117_65
.LBB117_49:                             ;   in Loop: Header=BB117_45 Depth=1
	s_or_b32 exec_lo, exec_lo, s43
	s_and_saveexec_b32 s43, s4
	s_cbranch_execnz .LBB117_66
.LBB117_50:                             ;   in Loop: Header=BB117_45 Depth=1
	s_or_b32 exec_lo, exec_lo, s43
	s_and_saveexec_b32 s43, s5
	s_cbranch_execnz .LBB117_67
.LBB117_51:                             ;   in Loop: Header=BB117_45 Depth=1
	s_or_b32 exec_lo, exec_lo, s43
	s_and_saveexec_b32 s43, s6
	s_cbranch_execnz .LBB117_68
.LBB117_52:                             ;   in Loop: Header=BB117_45 Depth=1
	s_or_b32 exec_lo, exec_lo, s43
	s_and_saveexec_b32 s43, s7
	s_cbranch_execnz .LBB117_69
.LBB117_53:                             ;   in Loop: Header=BB117_45 Depth=1
	s_or_b32 exec_lo, exec_lo, s43
	s_and_saveexec_b32 s43, s8
	s_cbranch_execnz .LBB117_70
.LBB117_54:                             ;   in Loop: Header=BB117_45 Depth=1
	s_or_b32 exec_lo, exec_lo, s43
	s_and_saveexec_b32 s43, s9
	s_cbranch_execnz .LBB117_71
.LBB117_55:                             ;   in Loop: Header=BB117_45 Depth=1
	s_or_b32 exec_lo, exec_lo, s43
	s_and_saveexec_b32 s43, s10
	s_cbranch_execnz .LBB117_72
.LBB117_56:                             ;   in Loop: Header=BB117_45 Depth=1
	s_or_b32 exec_lo, exec_lo, s43
	s_and_saveexec_b32 s43, s11
	s_cbranch_execnz .LBB117_73
.LBB117_57:                             ;   in Loop: Header=BB117_45 Depth=1
	s_or_b32 exec_lo, exec_lo, s43
	s_and_saveexec_b32 s43, s12
	s_cbranch_execnz .LBB117_74
.LBB117_58:                             ;   in Loop: Header=BB117_45 Depth=1
	s_or_b32 exec_lo, exec_lo, s43
	s_and_saveexec_b32 s43, s13
	s_cbranch_execnz .LBB117_75
.LBB117_59:                             ;   in Loop: Header=BB117_45 Depth=1
	s_or_b32 exec_lo, exec_lo, s43
	s_and_saveexec_b32 s43, s14
	s_cbranch_execnz .LBB117_76
.LBB117_60:                             ;   in Loop: Header=BB117_45 Depth=1
	s_or_b32 exec_lo, exec_lo, s43
	v_ashrrev_i32_e32 v13, 31, v12
	s_and_saveexec_b32 s43, s15
	s_cbranch_execnz .LBB117_77
.LBB117_61:                             ;   in Loop: Header=BB117_45 Depth=1
	s_or_b32 exec_lo, exec_lo, s43
	s_and_saveexec_b32 s15, vcc_lo
	s_cbranch_execz .LBB117_44
	s_branch .LBB117_78
.LBB117_62:                             ;   in Loop: Header=BB117_45 Depth=1
	v_mov_b32_e32 v2, s17
	ds_load_b32 v2, v2
	s_wait_dscnt 0x0
	v_add_nc_u32_e32 v12, v2, v12
	s_or_b32 exec_lo, exec_lo, s43
	s_and_saveexec_b32 s43, s1
	s_cbranch_execz .LBB117_47
.LBB117_63:                             ;   in Loop: Header=BB117_45 Depth=1
	v_mov_b32_e32 v2, s20
	ds_load_b32 v2, v2
	s_wait_dscnt 0x0
	v_add_nc_u32_e32 v12, v12, v2
	s_or_b32 exec_lo, exec_lo, s43
	s_and_saveexec_b32 s43, s2
	s_cbranch_execz .LBB117_48
.LBB117_64:                             ;   in Loop: Header=BB117_45 Depth=1
	v_mov_b32_e32 v2, s21
	ds_load_b32 v2, v2
	s_wait_dscnt 0x0
	v_add_nc_u32_e32 v12, v12, v2
	s_or_b32 exec_lo, exec_lo, s43
	s_and_saveexec_b32 s43, s3
	s_cbranch_execz .LBB117_49
.LBB117_65:                             ;   in Loop: Header=BB117_45 Depth=1
	v_mov_b32_e32 v2, s23
	ds_load_b32 v2, v2
	s_wait_dscnt 0x0
	v_add_nc_u32_e32 v12, v12, v2
	s_or_b32 exec_lo, exec_lo, s43
	s_and_saveexec_b32 s43, s4
	s_cbranch_execz .LBB117_50
.LBB117_66:                             ;   in Loop: Header=BB117_45 Depth=1
	v_mov_b32_e32 v2, s24
	ds_load_b32 v2, v2
	s_wait_dscnt 0x0
	v_add_nc_u32_e32 v12, v12, v2
	s_or_b32 exec_lo, exec_lo, s43
	s_and_saveexec_b32 s43, s5
	s_cbranch_execz .LBB117_51
.LBB117_67:                             ;   in Loop: Header=BB117_45 Depth=1
	v_mov_b32_e32 v2, s25
	ds_load_b32 v2, v2
	s_wait_dscnt 0x0
	v_add_nc_u32_e32 v12, v12, v2
	s_or_b32 exec_lo, exec_lo, s43
	s_and_saveexec_b32 s43, s6
	s_cbranch_execz .LBB117_52
.LBB117_68:                             ;   in Loop: Header=BB117_45 Depth=1
	v_mov_b32_e32 v2, s26
	ds_load_b32 v2, v2
	s_wait_dscnt 0x0
	v_add_nc_u32_e32 v12, v12, v2
	s_or_b32 exec_lo, exec_lo, s43
	s_and_saveexec_b32 s43, s7
	s_cbranch_execz .LBB117_53
.LBB117_69:                             ;   in Loop: Header=BB117_45 Depth=1
	v_mov_b32_e32 v2, s27
	ds_load_b32 v2, v2
	s_wait_dscnt 0x0
	v_add_nc_u32_e32 v12, v12, v2
	s_or_b32 exec_lo, exec_lo, s43
	s_and_saveexec_b32 s43, s8
	s_cbranch_execz .LBB117_54
.LBB117_70:                             ;   in Loop: Header=BB117_45 Depth=1
	v_mov_b32_e32 v2, s33
	ds_load_b32 v2, v2
	s_wait_dscnt 0x0
	v_add_nc_u32_e32 v12, v12, v2
	s_or_b32 exec_lo, exec_lo, s43
	s_and_saveexec_b32 s43, s9
	s_cbranch_execz .LBB117_55
.LBB117_71:                             ;   in Loop: Header=BB117_45 Depth=1
	v_mov_b32_e32 v2, s36
	ds_load_b32 v2, v2
	s_wait_dscnt 0x0
	v_add_nc_u32_e32 v12, v12, v2
	s_or_b32 exec_lo, exec_lo, s43
	s_and_saveexec_b32 s43, s10
	s_cbranch_execz .LBB117_56
.LBB117_72:                             ;   in Loop: Header=BB117_45 Depth=1
	v_mov_b32_e32 v2, s37
	ds_load_b32 v2, v2
	s_wait_dscnt 0x0
	v_add_nc_u32_e32 v12, v12, v2
	s_or_b32 exec_lo, exec_lo, s43
	s_and_saveexec_b32 s43, s11
	s_cbranch_execz .LBB117_57
.LBB117_73:                             ;   in Loop: Header=BB117_45 Depth=1
	v_mov_b32_e32 v2, s39
	ds_load_b32 v2, v2
	s_wait_dscnt 0x0
	v_add_nc_u32_e32 v12, v12, v2
	s_or_b32 exec_lo, exec_lo, s43
	s_and_saveexec_b32 s43, s12
	s_cbranch_execz .LBB117_58
.LBB117_74:                             ;   in Loop: Header=BB117_45 Depth=1
	v_mov_b32_e32 v2, s40
	ds_load_b32 v2, v2
	s_wait_dscnt 0x0
	v_add_nc_u32_e32 v12, v12, v2
	s_or_b32 exec_lo, exec_lo, s43
	s_and_saveexec_b32 s43, s13
	s_cbranch_execz .LBB117_59
.LBB117_75:                             ;   in Loop: Header=BB117_45 Depth=1
	v_mov_b32_e32 v2, s41
	ds_load_b32 v2, v2
	s_wait_dscnt 0x0
	v_add_nc_u32_e32 v12, v12, v2
	s_or_b32 exec_lo, exec_lo, s43
	s_and_saveexec_b32 s43, s14
	s_cbranch_execz .LBB117_60
.LBB117_76:                             ;   in Loop: Header=BB117_45 Depth=1
	v_mov_b32_e32 v2, s42
	ds_load_b32 v2, v2
	s_wait_dscnt 0x0
	v_add_nc_u32_e32 v12, v12, v2
	s_or_b32 exec_lo, exec_lo, s43
	s_delay_alu instid0(VALU_DEP_1)
	v_ashrrev_i32_e32 v13, 31, v12
	s_and_saveexec_b32 s43, s15
	s_cbranch_execz .LBB117_61
.LBB117_77:                             ;   in Loop: Header=BB117_45 Depth=1
	v_add3_u32 v2, v6, -1, v12
	s_delay_alu instid0(VALU_DEP_1) | instskip(NEXT) | instid1(VALU_DEP_1)
	v_lshl_add_u32 v2, v2, 3, 0
	v_add_nc_u32_e32 v14, 0x40000, v2
	ds_store_b64 v2, v[8:9]
	ds_store_b64 v14, v[10:11]
	s_or_b32 exec_lo, exec_lo, s43
	s_and_saveexec_b32 s15, vcc_lo
	s_cbranch_execz .LBB117_44
.LBB117_78:                             ;   in Loop: Header=BB117_45 Depth=1
	v_mov_b32_e32 v2, s38
	ds_store_b64 v2, v[12:13]
	s_branch .LBB117_44
.LBB117_79:
	s_or_b32 exec_lo, exec_lo, s16
	s_wait_kmcnt 0x0
	s_lshl_b64 s[0:1], s[34:35], 3
	v_mov_b32_e32 v1, 0
	s_add_nc_u64 s[4:5], s[18:19], s[0:1]
	s_mov_b32 s6, exec_lo
	s_load_b128 s[0:3], s[4:5], 0x0
	s_wait_kmcnt 0x0
	s_sub_nc_u64 s[4:5], s[2:3], s[0:1]
	s_delay_alu instid0(SALU_CYCLE_1)
	v_cmpx_gt_i64_e64 s[4:5], v[0:1]
	s_cbranch_execz .LBB117_89
; %bb.80:
	s_sub_nc_u64 s[8:9], s[0:1], s[2:3]
	s_and_b64 s[6:7], s[4:5], 7
	v_cmp_lt_u64_e64 s10, s[8:9], -7
	s_and_b64 s[2:3], s[4:5], -8
	s_mov_b32 s23, 0
	s_cmp_lg_u64 s[6:7], 0
	s_sub_nc_u64 s[0:1], s[0:1], s[22:23]
	s_cselect_b32 s11, -1, 0
	s_mov_b32 s12, 0
	s_branch .LBB117_82
.LBB117_81:                             ;   in Loop: Header=BB117_82 Depth=1
	v_add_nc_u64_e32 v[0:1], 0x400, v[0:1]
	s_wait_dscnt 0x1
	s_delay_alu instid0(VALU_DEP_2)
	v_lshl_add_u64 v[4:5], v[6:7], 3, s[28:29]
	s_wait_dscnt 0x0
	global_store_b64 v[4:5], v[2:3], off
	v_cmp_le_i64_e32 vcc_lo, s[4:5], v[0:1]
	s_or_b32 s12, vcc_lo, s12
	s_wait_xcnt 0x0
	s_and_not1_b32 exec_lo, exec_lo, s12
	s_cbranch_execz .LBB117_89
.LBB117_82:                             ; =>This Loop Header: Depth=1
                                        ;     Child Loop BB117_84 Depth 2
                                        ;     Child Loop BB117_88 Depth 2
	v_lshl_add_u32 v2, v0, 3, 0
	v_mov_b64_e32 v[6:7], s[0:1]
	s_and_not1_b32 vcc_lo, exec_lo, s10
	s_mov_b64 s[8:9], 0
	s_delay_alu instid0(VALU_DEP_2)
	v_add_nc_u32_e32 v3, 0x40000, v2
	ds_load_b64 v[4:5], v2
	ds_load_b64 v[2:3], v3
	s_cbranch_vccnz .LBB117_86
; %bb.83:                               ;   in Loop: Header=BB117_82 Depth=1
	v_mov_b64_e32 v[6:7], s[0:1]
	s_mov_b32 s13, 0
.LBB117_84:                             ;   Parent Loop BB117_82 Depth=1
                                        ; =>  This Inner Loop Header: Depth=2
	s_delay_alu instid0(SALU_CYCLE_1)
	v_dual_mov_b32 v20, s13 :: v_dual_mov_b32 v17, s23
	v_mov_b32_e32 v19, s23
	s_add_nc_u64 s[8:9], s[8:9], 8
	s_add_co_i32 s13, s13, 64
	ds_load_2addr_b64 v[8:11], v20 offset1:1
	ds_load_2addr_b64 v[12:15], v20 offset0:2 offset1:3
	s_cmp_eq_u64 s[2:3], s[8:9]
	s_wait_dscnt 0x1
	v_cmp_gt_i64_e32 vcc_lo, v[4:5], v[8:9]
	v_cndmask_b32_e64 v16, 0, 1, vcc_lo
	v_cmp_gt_i64_e32 vcc_lo, v[4:5], v[10:11]
	s_delay_alu instid0(VALU_DEP_2) | instskip(SKIP_4) | instid1(VALU_DEP_2)
	v_add_nc_u64_e32 v[10:11], v[6:7], v[16:17]
	ds_load_2addr_b64 v[6:9], v20 offset0:4 offset1:5
	v_cndmask_b32_e64 v18, 0, 1, vcc_lo
	s_wait_dscnt 0x1
	v_cmp_gt_i64_e32 vcc_lo, v[4:5], v[12:13]
	v_add_nc_u64_e32 v[10:11], v[10:11], v[18:19]
	v_cndmask_b32_e64 v16, 0, 1, vcc_lo
	v_cmp_gt_i64_e32 vcc_lo, v[4:5], v[14:15]
	s_delay_alu instid0(VALU_DEP_2)
	v_add_nc_u64_e32 v[14:15], v[10:11], v[16:17]
	ds_load_2addr_b64 v[10:13], v20 offset0:6 offset1:7
	v_cndmask_b32_e64 v18, 0, 1, vcc_lo
	s_wait_dscnt 0x1
	v_cmp_gt_i64_e32 vcc_lo, v[4:5], v[6:7]
	v_mov_b32_e32 v7, s23
	s_delay_alu instid0(VALU_DEP_3) | instskip(SKIP_3) | instid1(VALU_DEP_3)
	v_add_nc_u64_e32 v[14:15], v[14:15], v[18:19]
	v_cndmask_b32_e64 v16, 0, 1, vcc_lo
	v_cmp_gt_i64_e32 vcc_lo, v[4:5], v[8:9]
	v_mov_b32_e32 v9, s23
	v_add_nc_u64_e32 v[14:15], v[14:15], v[16:17]
	v_cndmask_b32_e64 v6, 0, 1, vcc_lo
	s_wait_dscnt 0x0
	v_cmp_gt_i64_e32 vcc_lo, v[4:5], v[10:11]
	v_mov_b32_e32 v11, s23
	s_delay_alu instid0(VALU_DEP_3) | instskip(SKIP_2) | instid1(VALU_DEP_2)
	v_add_nc_u64_e32 v[6:7], v[14:15], v[6:7]
	v_cndmask_b32_e64 v8, 0, 1, vcc_lo
	v_cmp_gt_i64_e32 vcc_lo, v[4:5], v[12:13]
	v_add_nc_u64_e32 v[6:7], v[6:7], v[8:9]
	v_cndmask_b32_e64 v10, 0, 1, vcc_lo
	s_delay_alu instid0(VALU_DEP_1)
	v_add_nc_u64_e32 v[6:7], v[6:7], v[10:11]
	s_cbranch_scc0 .LBB117_84
; %bb.85:                               ;   in Loop: Header=BB117_82 Depth=1
	s_mov_b64 s[8:9], s[2:3]
.LBB117_86:                             ;   in Loop: Header=BB117_82 Depth=1
	s_and_not1_b32 vcc_lo, exec_lo, s11
	s_cbranch_vccnz .LBB117_81
; %bb.87:                               ;   in Loop: Header=BB117_82 Depth=1
	s_lshl_b32 s8, s8, 3
	s_delay_alu instid0(SALU_CYCLE_1)
	s_add_co_i32 s13, s8, 0
	s_mov_b64 s[8:9], s[6:7]
.LBB117_88:                             ;   Parent Loop BB117_82 Depth=1
                                        ; =>  This Inner Loop Header: Depth=2
	v_dual_mov_b32 v8, s13 :: v_dual_mov_b32 v11, s23
	s_add_nc_u64 s[8:9], s[8:9], -1
	s_add_co_i32 s13, s13, 8
	s_cmp_lg_u64 s[8:9], 0
	ds_load_b64 v[8:9], v8
	s_wait_dscnt 0x0
	v_cmp_gt_i64_e32 vcc_lo, v[4:5], v[8:9]
	v_cndmask_b32_e64 v10, 0, 1, vcc_lo
	s_delay_alu instid0(VALU_DEP_1)
	v_add_nc_u64_e32 v[6:7], v[6:7], v[10:11]
	s_cbranch_scc1 .LBB117_88
	s_branch .LBB117_81
.LBB117_89:
	s_endpgm
	.section	.rodata,"a",@progbits
	.p2align	6, 0x0
	.amdhsa_kernel _ZN9rocsparseL41csrgemm_numeric_fill_block_per_row_kernelILj1024ELj64ELj32768ELj137ELj64ElldEEvT5_PKS1_S3_NS_24const_host_device_scalarIT6_EEPKT4_S3_PKS5_S9_S3_SB_S6_S9_S3_SB_S9_S3_PS5_21rocsparse_index_base_SD_SD_SD_bbb
		.amdhsa_group_segment_fixed_size 0
		.amdhsa_private_segment_fixed_size 0
		.amdhsa_kernarg_size 156
		.amdhsa_user_sgpr_count 2
		.amdhsa_user_sgpr_dispatch_ptr 0
		.amdhsa_user_sgpr_queue_ptr 0
		.amdhsa_user_sgpr_kernarg_segment_ptr 1
		.amdhsa_user_sgpr_dispatch_id 0
		.amdhsa_user_sgpr_kernarg_preload_length 0
		.amdhsa_user_sgpr_kernarg_preload_offset 0
		.amdhsa_user_sgpr_private_segment_size 0
		.amdhsa_wavefront_size32 1
		.amdhsa_uses_dynamic_stack 0
		.amdhsa_enable_private_segment 0
		.amdhsa_system_sgpr_workgroup_id_x 1
		.amdhsa_system_sgpr_workgroup_id_y 0
		.amdhsa_system_sgpr_workgroup_id_z 0
		.amdhsa_system_sgpr_workgroup_info 0
		.amdhsa_system_vgpr_workitem_id 0
		.amdhsa_next_free_vgpr 30
		.amdhsa_next_free_sgpr 45
		.amdhsa_named_barrier_count 0
		.amdhsa_reserve_vcc 1
		.amdhsa_float_round_mode_32 0
		.amdhsa_float_round_mode_16_64 0
		.amdhsa_float_denorm_mode_32 3
		.amdhsa_float_denorm_mode_16_64 3
		.amdhsa_fp16_overflow 0
		.amdhsa_memory_ordered 1
		.amdhsa_forward_progress 1
		.amdhsa_inst_pref_size 28
		.amdhsa_round_robin_scheduling 0
		.amdhsa_exception_fp_ieee_invalid_op 0
		.amdhsa_exception_fp_denorm_src 0
		.amdhsa_exception_fp_ieee_div_zero 0
		.amdhsa_exception_fp_ieee_overflow 0
		.amdhsa_exception_fp_ieee_underflow 0
		.amdhsa_exception_fp_ieee_inexact 0
		.amdhsa_exception_int_div_zero 0
	.end_amdhsa_kernel
	.section	.text._ZN9rocsparseL41csrgemm_numeric_fill_block_per_row_kernelILj1024ELj64ELj32768ELj137ELj64ElldEEvT5_PKS1_S3_NS_24const_host_device_scalarIT6_EEPKT4_S3_PKS5_S9_S3_SB_S6_S9_S3_SB_S9_S3_PS5_21rocsparse_index_base_SD_SD_SD_bbb,"axG",@progbits,_ZN9rocsparseL41csrgemm_numeric_fill_block_per_row_kernelILj1024ELj64ELj32768ELj137ELj64ElldEEvT5_PKS1_S3_NS_24const_host_device_scalarIT6_EEPKT4_S3_PKS5_S9_S3_SB_S6_S9_S3_SB_S9_S3_PS5_21rocsparse_index_base_SD_SD_SD_bbb,comdat
.Lfunc_end117:
	.size	_ZN9rocsparseL41csrgemm_numeric_fill_block_per_row_kernelILj1024ELj64ELj32768ELj137ELj64ElldEEvT5_PKS1_S3_NS_24const_host_device_scalarIT6_EEPKT4_S3_PKS5_S9_S3_SB_S6_S9_S3_SB_S9_S3_PS5_21rocsparse_index_base_SD_SD_SD_bbb, .Lfunc_end117-_ZN9rocsparseL41csrgemm_numeric_fill_block_per_row_kernelILj1024ELj64ELj32768ELj137ELj64ElldEEvT5_PKS1_S3_NS_24const_host_device_scalarIT6_EEPKT4_S3_PKS5_S9_S3_SB_S6_S9_S3_SB_S9_S3_PS5_21rocsparse_index_base_SD_SD_SD_bbb
                                        ; -- End function
	.set _ZN9rocsparseL41csrgemm_numeric_fill_block_per_row_kernelILj1024ELj64ELj32768ELj137ELj64ElldEEvT5_PKS1_S3_NS_24const_host_device_scalarIT6_EEPKT4_S3_PKS5_S9_S3_SB_S6_S9_S3_SB_S9_S3_PS5_21rocsparse_index_base_SD_SD_SD_bbb.num_vgpr, 30
	.set _ZN9rocsparseL41csrgemm_numeric_fill_block_per_row_kernelILj1024ELj64ELj32768ELj137ELj64ElldEEvT5_PKS1_S3_NS_24const_host_device_scalarIT6_EEPKT4_S3_PKS5_S9_S3_SB_S6_S9_S3_SB_S9_S3_PS5_21rocsparse_index_base_SD_SD_SD_bbb.num_agpr, 0
	.set _ZN9rocsparseL41csrgemm_numeric_fill_block_per_row_kernelILj1024ELj64ELj32768ELj137ELj64ElldEEvT5_PKS1_S3_NS_24const_host_device_scalarIT6_EEPKT4_S3_PKS5_S9_S3_SB_S6_S9_S3_SB_S9_S3_PS5_21rocsparse_index_base_SD_SD_SD_bbb.numbered_sgpr, 45
	.set _ZN9rocsparseL41csrgemm_numeric_fill_block_per_row_kernelILj1024ELj64ELj32768ELj137ELj64ElldEEvT5_PKS1_S3_NS_24const_host_device_scalarIT6_EEPKT4_S3_PKS5_S9_S3_SB_S6_S9_S3_SB_S9_S3_PS5_21rocsparse_index_base_SD_SD_SD_bbb.num_named_barrier, 0
	.set _ZN9rocsparseL41csrgemm_numeric_fill_block_per_row_kernelILj1024ELj64ELj32768ELj137ELj64ElldEEvT5_PKS1_S3_NS_24const_host_device_scalarIT6_EEPKT4_S3_PKS5_S9_S3_SB_S6_S9_S3_SB_S9_S3_PS5_21rocsparse_index_base_SD_SD_SD_bbb.private_seg_size, 0
	.set _ZN9rocsparseL41csrgemm_numeric_fill_block_per_row_kernelILj1024ELj64ELj32768ELj137ELj64ElldEEvT5_PKS1_S3_NS_24const_host_device_scalarIT6_EEPKT4_S3_PKS5_S9_S3_SB_S6_S9_S3_SB_S9_S3_PS5_21rocsparse_index_base_SD_SD_SD_bbb.uses_vcc, 1
	.set _ZN9rocsparseL41csrgemm_numeric_fill_block_per_row_kernelILj1024ELj64ELj32768ELj137ELj64ElldEEvT5_PKS1_S3_NS_24const_host_device_scalarIT6_EEPKT4_S3_PKS5_S9_S3_SB_S6_S9_S3_SB_S9_S3_PS5_21rocsparse_index_base_SD_SD_SD_bbb.uses_flat_scratch, 0
	.set _ZN9rocsparseL41csrgemm_numeric_fill_block_per_row_kernelILj1024ELj64ELj32768ELj137ELj64ElldEEvT5_PKS1_S3_NS_24const_host_device_scalarIT6_EEPKT4_S3_PKS5_S9_S3_SB_S6_S9_S3_SB_S9_S3_PS5_21rocsparse_index_base_SD_SD_SD_bbb.has_dyn_sized_stack, 0
	.set _ZN9rocsparseL41csrgemm_numeric_fill_block_per_row_kernelILj1024ELj64ELj32768ELj137ELj64ElldEEvT5_PKS1_S3_NS_24const_host_device_scalarIT6_EEPKT4_S3_PKS5_S9_S3_SB_S6_S9_S3_SB_S9_S3_PS5_21rocsparse_index_base_SD_SD_SD_bbb.has_recursion, 0
	.set _ZN9rocsparseL41csrgemm_numeric_fill_block_per_row_kernelILj1024ELj64ELj32768ELj137ELj64ElldEEvT5_PKS1_S3_NS_24const_host_device_scalarIT6_EEPKT4_S3_PKS5_S9_S3_SB_S6_S9_S3_SB_S9_S3_PS5_21rocsparse_index_base_SD_SD_SD_bbb.has_indirect_call, 0
	.section	.AMDGPU.csdata,"",@progbits
; Kernel info:
; codeLenInByte = 3556
; TotalNumSgprs: 47
; NumVgprs: 30
; ScratchSize: 0
; MemoryBound: 0
; FloatMode: 240
; IeeeMode: 1
; LDSByteSize: 0 bytes/workgroup (compile time only)
; SGPRBlocks: 0
; VGPRBlocks: 1
; NumSGPRsForWavesPerEU: 47
; NumVGPRsForWavesPerEU: 30
; NamedBarCnt: 0
; Occupancy: 16
; WaveLimiterHint : 1
; COMPUTE_PGM_RSRC2:SCRATCH_EN: 0
; COMPUTE_PGM_RSRC2:USER_SGPR: 2
; COMPUTE_PGM_RSRC2:TRAP_HANDLER: 0
; COMPUTE_PGM_RSRC2:TGID_X_EN: 1
; COMPUTE_PGM_RSRC2:TGID_Y_EN: 0
; COMPUTE_PGM_RSRC2:TGID_Z_EN: 0
; COMPUTE_PGM_RSRC2:TIDIG_COMP_CNT: 0
	.section	.text._ZN9rocsparseL51csrgemm_numeric_fill_block_per_row_multipass_kernelILj512ELj16ELj2048ELj32ElldEEvT4_PKS1_S3_NS_24const_host_device_scalarIT5_EEPKT3_S3_PKS5_S9_S3_SB_S6_S9_S3_SB_S9_S3_PS5_PS7_21rocsparse_index_base_SE_SE_SE_bbb,"axG",@progbits,_ZN9rocsparseL51csrgemm_numeric_fill_block_per_row_multipass_kernelILj512ELj16ELj2048ELj32ElldEEvT4_PKS1_S3_NS_24const_host_device_scalarIT5_EEPKT3_S3_PKS5_S9_S3_SB_S6_S9_S3_SB_S9_S3_PS5_PS7_21rocsparse_index_base_SE_SE_SE_bbb,comdat
	.globl	_ZN9rocsparseL51csrgemm_numeric_fill_block_per_row_multipass_kernelILj512ELj16ELj2048ELj32ElldEEvT4_PKS1_S3_NS_24const_host_device_scalarIT5_EEPKT3_S3_PKS5_S9_S3_SB_S6_S9_S3_SB_S9_S3_PS5_PS7_21rocsparse_index_base_SE_SE_SE_bbb ; -- Begin function _ZN9rocsparseL51csrgemm_numeric_fill_block_per_row_multipass_kernelILj512ELj16ELj2048ELj32ElldEEvT4_PKS1_S3_NS_24const_host_device_scalarIT5_EEPKT3_S3_PKS5_S9_S3_SB_S6_S9_S3_SB_S9_S3_PS5_PS7_21rocsparse_index_base_SE_SE_SE_bbb
	.p2align	8
	.type	_ZN9rocsparseL51csrgemm_numeric_fill_block_per_row_multipass_kernelILj512ELj16ELj2048ELj32ElldEEvT4_PKS1_S3_NS_24const_host_device_scalarIT5_EEPKT3_S3_PKS5_S9_S3_SB_S6_S9_S3_SB_S9_S3_PS5_PS7_21rocsparse_index_base_SE_SE_SE_bbb,@function
_ZN9rocsparseL51csrgemm_numeric_fill_block_per_row_multipass_kernelILj512ELj16ELj2048ELj32ElldEEvT4_PKS1_S3_NS_24const_host_device_scalarIT5_EEPKT3_S3_PKS5_S9_S3_SB_S6_S9_S3_SB_S9_S3_PS5_PS7_21rocsparse_index_base_SE_SE_SE_bbb: ; @_ZN9rocsparseL51csrgemm_numeric_fill_block_per_row_multipass_kernelILj512ELj16ELj2048ELj32ElldEEvT4_PKS1_S3_NS_24const_host_device_scalarIT5_EEPKT3_S3_PKS5_S9_S3_SB_S6_S9_S3_SB_S9_S3_PS5_PS7_21rocsparse_index_base_SE_SE_SE_bbb
; %bb.0:
	s_clause 0x4
	s_load_b32 s8, s[0:1], 0xa0
	s_load_b64 s[6:7], s[0:1], 0x18
	s_load_b128 s[28:31], s[0:1], 0x90
	s_load_b64 s[2:3], s[0:1], 0x8
	s_load_b64 s[4:5], s[0:1], 0x50
	s_wait_kmcnt 0x0
	s_bitcmp1_b32 s8, 0
	s_cselect_b32 s18, -1, 0
	s_bitcmp1_b32 s8, 16
	s_cselect_b32 s9, -1, 0
	s_xor_b32 s10, s18, -1
	s_delay_alu instid0(SALU_CYCLE_1)
	s_or_b32 s12, s9, s10
	s_and_b32 s10, s18, exec_lo
	s_cselect_b32 s11, s7, 0
	s_cselect_b32 s10, s6, 0
	s_and_b32 vcc_lo, exec_lo, s12
	v_mov_b64_e32 v[2:3], s[10:11]
	s_cbranch_vccnz .LBB118_2
; %bb.1:
	v_mov_b32_e32 v1, 0
	flat_load_b64 v[2:3], v1, s[6:7]
.LBB118_2:
	s_wait_xcnt 0x0
	s_load_b64 s[6:7], s[0:1], 0x10
	s_bitcmp1_b32 s8, 8
	s_cselect_b32 s33, -1, 0
	s_delay_alu instid0(SALU_CYCLE_1) | instskip(NEXT) | instid1(SALU_CYCLE_1)
	s_xor_b32 s8, s33, -1
	s_or_b32 s10, s9, s8
	s_and_b32 s8, s33, exec_lo
	s_cselect_b32 s9, s5, 0
	s_cselect_b32 s8, s4, 0
	s_and_b32 vcc_lo, exec_lo, s10
	v_mov_b64_e32 v[4:5], s[8:9]
	s_cbranch_vccnz .LBB118_4
; %bb.3:
	v_mov_b32_e32 v1, 0
	flat_load_b64 v[4:5], v1, s[4:5]
.LBB118_4:
	s_load_b64 s[2:3], s[2:3], 0x0
	s_bfe_u32 s4, ttmp6, 0x4000c
	s_and_b32 s5, ttmp6, 15
	s_add_co_i32 s4, s4, 1
	s_getreg_b32 s8, hwreg(HW_REG_IB_STS2, 6, 4)
	s_mul_i32 s4, ttmp9, s4
	s_mov_b32 s9, 0
	s_add_co_i32 s5, s5, s4
	s_mov_b64 s[34:35], 0
	s_wait_kmcnt 0x0
	s_lshl_b64 s[2:3], s[2:3], 3
	s_cmp_eq_u32 s8, 0
	s_add_nc_u64 s[2:3], s[6:7], s[2:3]
	s_cselect_b32 s8, ttmp9, s5
	s_load_b64 s[6:7], s[0:1], 0x20
	s_load_b64 s[4:5], s[2:3], s8 offset:0x0 scale_offset
	s_and_not1_b32 vcc_lo, exec_lo, s18
	s_wait_xcnt 0x0
	s_mov_b64 s[2:3], 0
	s_cbranch_vccz .LBB118_7
; %bb.5:
	s_and_not1_b32 vcc_lo, exec_lo, s18
	s_cbranch_vccz .LBB118_8
.LBB118_6:
	s_load_b64 s[48:49], s[0:1], 0x0
	s_wait_kmcnt 0x0
	v_cmp_lt_i64_e64 s6, s[48:49], 1
	s_and_b32 vcc_lo, exec_lo, s6
	s_cbranch_vccz .LBB118_9
	s_branch .LBB118_62
.LBB118_7:
	s_wait_kmcnt 0x0
	s_lshl_b64 s[2:3], s[4:5], 3
	s_mov_b32 s8, s28
	s_add_nc_u64 s[2:3], s[6:7], s[2:3]
	s_load_b64 s[2:3], s[2:3], 0x0
	s_wait_kmcnt 0x0
	s_sub_nc_u64 s[2:3], s[2:3], s[8:9]
	s_and_not1_b32 vcc_lo, exec_lo, s18
	s_cbranch_vccnz .LBB118_6
.LBB118_8:
	s_wait_kmcnt 0x0
	s_lshl_b64 s[8:9], s[4:5], 3
	s_delay_alu instid0(SALU_CYCLE_1)
	s_add_nc_u64 s[6:7], s[6:7], s[8:9]
	s_mov_b32 s9, 0
	s_load_b64 s[6:7], s[6:7], 0x8
	s_mov_b32 s8, s28
	s_wait_kmcnt 0x0
	s_sub_nc_u64 s[34:35], s[6:7], s[8:9]
	s_load_b64 s[48:49], s[0:1], 0x0
	s_wait_kmcnt 0x0
	v_cmp_lt_i64_e64 s6, s[48:49], 1
	s_and_b32 vcc_lo, exec_lo, s6
	s_cbranch_vccnz .LBB118_62
.LBB118_9:
	s_clause 0x3
	s_load_b256 s[20:27], s[0:1], 0x58
	s_load_b128 s[44:47], s[0:1], 0x80
	s_load_b64 s[50:51], s[0:1], 0x48
	s_load_b256 s[36:43], s[0:1], 0x28
	v_mbcnt_lo_u32_b32 v10, -1, 0
	s_lshl_b64 s[56:57], s[4:5], 3
	v_dual_mov_b32 v7, 0 :: v_dual_lshrrev_b32 v11, 3, v0
	v_dual_lshrrev_b32 v6, 4, v0 :: v_dual_bitop2_b32 v1, 15, v0 bitop3:0x40
	s_delay_alu instid0(VALU_DEP_3)
	v_xor_b32_e32 v13, 4, v10
	v_xor_b32_e32 v12, 8, v10
	s_mov_b32 s55, 0
	s_mov_b32 s54, s30
	v_add_nc_u64_e32 v[8:9], s[2:3], v[6:7]
	v_mov_b32_e32 v6, v1
	v_cmp_gt_i32_e32 vcc_lo, 32, v12
	v_cmp_eq_u32_e64 s2, 15, v1
	v_mov_b32_e32 v1, v7
	s_wait_xcnt 0x0
	v_cmp_eq_u32_e64 s0, 0, v0
	s_wait_kmcnt 0x0
	s_add_nc_u64 s[4:5], s[26:27], s[56:57]
	v_cndmask_b32_e32 v12, v10, v12, vcc_lo
	s_load_b64 s[4:5], s[4:5], 0x0
	v_xor_b32_e32 v15, 1, v10
	v_cmp_gt_i32_e32 vcc_lo, 32, v13
	v_cmp_eq_u32_e64 s1, 0x1ff, v0
	v_dual_lshlrev_b32 v42, 2, v12 :: v_dual_bitop2_b32 v14, 2, v10 bitop3:0x14
	v_cmp_gt_u32_e64 s3, 32, v0
	v_dual_cndmask_b32 v13, v10, v13, vcc_lo :: v_dual_bitop2_b32 v16, 31, v10 bitop3:0x14
	v_cmp_gt_u32_e64 s6, 0x80, v0
	s_delay_alu instid0(VALU_DEP_4) | instskip(NEXT) | instid1(VALU_DEP_3)
	v_cmp_gt_i32_e32 vcc_lo, 32, v14
	v_dual_lshlrev_b32 v43, 2, v13 :: v_dual_bitop2_b32 v11, 60, v11 bitop3:0x40
	v_cmp_gt_u32_e64 s7, 0xa0, v0
	v_cmp_gt_u32_e64 s8, 0xc0, v0
	v_cndmask_b32_e32 v14, v10, v14, vcc_lo
	v_cmp_gt_i32_e32 vcc_lo, 32, v15
	v_cmp_gt_u32_e64 s9, 0xe0, v0
	v_cmp_gt_u32_e64 s10, 0x100, v0
	;; [unrolled: 1-line block ×3, first 2 shown]
	s_wait_kmcnt 0x0
	s_sub_nc_u64 s[26:27], s[4:5], s[54:55]
	v_cndmask_b32_e32 v15, v10, v15, vcc_lo
	v_cmp_gt_i64_e32 vcc_lo, s[34:35], v[8:9]
	s_mov_b32 s54, s31
	v_lshrrev_b32_e64 v10, v16, -1
	s_delay_alu instid0(VALU_DEP_3)
	v_dual_lshlrev_b32 v44, 2, v14 :: v_dual_lshlrev_b32 v45, 2, v15
	v_sub_nc_u64_e64 v[12:13], v[0:1], s[54:55]
	v_cmp_gt_u32_e64 s4, 64, v0
	v_cmp_gt_u32_e64 s5, 0x60, v0
	;; [unrolled: 1-line block ×8, first 2 shown]
	v_or_b32_e32 v46, 0xfffffe00, v0
	v_dual_mov_b32 v48, 1 :: v_dual_lshlrev_b32 v47, 3, v0
	v_mov_b64_e32 v[16:17], 0
	v_mov_b64_e32 v[18:19], 0x800
	;; [unrolled: 1-line block ×4, first 2 shown]
	s_mov_b32 s52, s29
	s_mov_b32 s29, s55
	;; [unrolled: 1-line block ×3, first 2 shown]
	s_add_nc_u64 s[26:27], s[20:21], s[56:57]
	s_and_b32 s30, s18, vcc_lo
	s_branch .LBB118_11
.LBB118_10:                             ;   in Loop: Header=BB118_11 Depth=1
	s_or_b32 exec_lo, exec_lo, s18
	ds_load_b64 v[16:17], v7 offset:18432
	s_wait_dscnt 0x0
	s_barrier_signal -1
	s_barrier_wait -1
	v_cmp_le_i64_e32 vcc_lo, s[48:49], v[16:17]
	v_add_nc_u64_e32 v[18:19], 0x800, v[16:17]
	s_cbranch_vccnz .LBB118_62
.LBB118_11:                             ; =>This Loop Header: Depth=1
                                        ;     Child Loop BB118_12 Depth 2
                                        ;     Child Loop BB118_18 Depth 2
                                        ;       Child Loop BB118_24 Depth 3
                                        ;     Child Loop BB118_41 Depth 2
                                        ;     Child Loop BB118_53 Depth 2
	;; [unrolled: 1-line block ×3, first 2 shown]
	v_dual_mov_b32 v20, v47 :: v_dual_mov_b32 v21, v46
	s_mov_b32 s18, 0
.LBB118_12:                             ;   Parent Loop BB118_11 Depth=1
                                        ; =>  This Inner Loop Header: Depth=2
	ds_store_b8 v21, v7 offset:16896
	v_add_nc_u32_e32 v21, 0x200, v21
	ds_store_b64 v20, v[14:15]
	v_add_nc_u32_e32 v20, 0x1000, v20
	v_cmp_lt_u32_e32 vcc_lo, 0x5ff, v21
	s_or_b32 s18, vcc_lo, s18
	s_delay_alu instid0(SALU_CYCLE_1)
	s_and_not1_b32 exec_lo, exec_lo, s18
	s_cbranch_execnz .LBB118_12
; %bb.13:                               ;   in Loop: Header=BB118_11 Depth=1
	s_or_b32 exec_lo, exec_lo, s18
	s_and_saveexec_b32 s18, s0
; %bb.14:                               ;   in Loop: Header=BB118_11 Depth=1
	v_mov_b64_e32 v[20:21], s[48:49]
	ds_store_b64 v7, v[20:21] offset:18432
; %bb.15:                               ;   in Loop: Header=BB118_11 Depth=1
	s_or_b32 exec_lo, exec_lo, s18
	v_mov_b64_e32 v[20:21], s[48:49]
	s_wait_loadcnt_dscnt 0x0
	s_barrier_signal -1
	s_barrier_wait -1
	s_and_saveexec_b32 s21, s30
	s_cbranch_execz .LBB118_37
; %bb.16:                               ;   in Loop: Header=BB118_11 Depth=1
	v_cmp_ne_u64_e64 s18, 0, v[16:17]
	v_mov_b64_e32 v[20:21], s[48:49]
	v_mov_b64_e32 v[22:23], v[8:9]
	s_mov_b32 s31, 0
	s_branch .LBB118_18
.LBB118_17:                             ;   in Loop: Header=BB118_18 Depth=2
	s_wait_xcnt 0x0
	s_or_b32 exec_lo, exec_lo, s19
	v_add_nc_u64_e32 v[22:23], 32, v[22:23]
	s_delay_alu instid0(VALU_DEP_1) | instskip(SKIP_1) | instid1(SALU_CYCLE_1)
	v_cmp_le_i64_e32 vcc_lo, s[34:35], v[22:23]
	s_or_b32 s31, vcc_lo, s31
	s_and_not1_b32 exec_lo, exec_lo, s31
	s_cbranch_execz .LBB118_36
.LBB118_18:                             ;   Parent Loop BB118_11 Depth=1
                                        ; =>  This Loop Header: Depth=2
                                        ;       Child Loop BB118_24 Depth 3
	s_delay_alu instid0(VALU_DEP_1) | instskip(SKIP_1) | instid1(VALU_DEP_1)
	v_lshlrev_b64_e32 v[24:25], 3, v[22:23]
	s_and_b32 vcc_lo, exec_lo, s18
	v_add_nc_u64_e32 v[26:27], s[36:37], v[24:25]
	v_add_nc_u64_e32 v[24:25], s[38:39], v[24:25]
	s_wait_dscnt 0x0
	global_load_b64 v[28:29], v[26:27], off
	global_load_b64 v[30:31], v[24:25], off
	s_wait_xcnt 0x0
	v_lshl_add_u64 v[24:25], v[22:23], 3, s[46:47]
	s_cbranch_vccz .LBB118_35
; %bb.19:                               ;   in Loop: Header=BB118_18 Depth=2
	global_load_b64 v[26:27], v[24:25], off
	s_wait_loadcnt 0x2
	v_sub_nc_u64_e64 v[28:29], v[28:29], s[28:29]
	s_delay_alu instid0(VALU_DEP_1)
	v_lshl_add_u64 v[28:29], v[28:29], 3, s[40:41]
	s_cbranch_execnz .LBB118_21
.LBB118_20:                             ;   in Loop: Header=BB118_18 Depth=2
	s_wait_loadcnt 0x0
	global_load_b64 v[26:27], v[28:29], off
	s_wait_loadcnt 0x0
	v_sub_nc_u64_e64 v[26:27], v[26:27], s[52:53]
.LBB118_21:                             ;   in Loop: Header=BB118_18 Depth=2
	global_load_b64 v[28:29], v[28:29], off offset:8
	s_wait_loadcnt 0x1
	v_add_nc_u64_e32 v[26:27], v[26:27], v[6:7]
	s_mov_b32 s56, exec_lo
	s_wait_loadcnt 0x0
	s_wait_xcnt 0x0
	v_sub_nc_u64_e64 v[28:29], v[28:29], s[52:53]
	s_delay_alu instid0(VALU_DEP_1)
	v_cmpx_lt_i64_e64 v[26:27], v[28:29]
	s_cbranch_execz .LBB118_33
; %bb.22:                               ;   in Loop: Header=BB118_18 Depth=2
	v_mul_f64_e32 v[30:31], v[2:3], v[30:31]
	v_lshlrev_b64_e32 v[34:35], 3, v[26:27]
	v_mov_b64_e32 v[40:41], v[26:27]
	s_mov_b32 s58, 0
                                        ; implicit-def: $sgpr57
                                        ; implicit-def: $sgpr59
	s_delay_alu instid0(VALU_DEP_2)
	v_add_nc_u64_e32 v[32:33], s[42:43], v[34:35]
	v_add_nc_u64_e32 v[34:35], s[50:51], v[34:35]
	s_branch .LBB118_24
.LBB118_23:                             ;   in Loop: Header=BB118_24 Depth=3
	s_or_b32 exec_lo, exec_lo, s60
	s_delay_alu instid0(SALU_CYCLE_1) | instskip(NEXT) | instid1(SALU_CYCLE_1)
	s_and_b32 s19, exec_lo, s20
	s_or_b32 s58, s19, s58
	s_and_not1_b32 s19, s57, exec_lo
	s_and_b32 s20, s59, exec_lo
	s_delay_alu instid0(SALU_CYCLE_1)
	s_or_b32 s57, s19, s20
	s_and_not1_b32 exec_lo, exec_lo, s58
	s_cbranch_execz .LBB118_30
.LBB118_24:                             ;   Parent Loop BB118_11 Depth=1
                                        ;     Parent Loop BB118_18 Depth=2
                                        ; =>    This Inner Loop Header: Depth=3
	global_load_b64 v[36:37], v[32:33], off
	v_mov_b64_e32 v[38:39], v[40:41]
	s_wait_loadcnt 0x0
	v_sub_nc_u64_e64 v[36:37], v[36:37], s[52:53]
	s_delay_alu instid0(VALU_DEP_1)
	v_cmp_lt_i64_e64 s19, v[36:37], v[16:17]
	v_cmp_ge_i64_e64 s20, v[36:37], v[18:19]
	v_cmp_lt_i64_e32 vcc_lo, v[36:37], v[18:19]
	s_or_b32 s20, s19, s20
	s_mov_b32 s19, 0
	s_wait_xcnt 0x0
	s_and_saveexec_b32 s60, s20
	s_delay_alu instid0(SALU_CYCLE_1)
	s_xor_b32 s20, exec_lo, s60
; %bb.25:                               ;   in Loop: Header=BB118_24 Depth=3
	s_and_b32 s19, vcc_lo, exec_lo
; %bb.26:                               ;   in Loop: Header=BB118_24 Depth=3
	s_and_not1_saveexec_b32 s20, s20
	s_cbranch_execz .LBB118_28
; %bb.27:                               ;   in Loop: Header=BB118_24 Depth=3
	global_load_b64 v[40:41], v[34:35], off
	v_sub_nc_u32_e32 v49, v36, v16
	s_or_b32 s19, s19, exec_lo
	s_delay_alu instid0(VALU_DEP_1)
	v_lshlrev_b32_e32 v50, 3, v49
	ds_store_b8 v49, v48 offset:16384
	s_wait_loadcnt 0x0
	v_mul_f64_e32 v[40:41], v[30:31], v[40:41]
	ds_add_f64 v50, v[40:41]
.LBB118_28:                             ;   in Loop: Header=BB118_24 Depth=3
	s_wait_xcnt 0x0
	s_or_b32 exec_lo, exec_lo, s20
	s_mov_b32 s20, -1
	s_or_b32 s59, s59, exec_lo
                                        ; implicit-def: $vgpr40_vgpr41
	s_and_saveexec_b32 s60, s19
	s_cbranch_execz .LBB118_23
; %bb.29:                               ;   in Loop: Header=BB118_24 Depth=3
	v_add_nc_u64_e32 v[40:41], 16, v[38:39]
	v_add_nc_u64_e32 v[32:33], 0x80, v[32:33]
	;; [unrolled: 1-line block ×3, first 2 shown]
	s_and_not1_b32 s59, s59, exec_lo
	s_delay_alu instid0(VALU_DEP_3)
	v_cmp_ge_i64_e32 vcc_lo, v[40:41], v[28:29]
	s_or_not1_b32 s20, vcc_lo, exec_lo
	s_branch .LBB118_23
.LBB118_30:                             ;   in Loop: Header=BB118_18 Depth=2
	s_or_b32 exec_lo, exec_lo, s58
	s_and_saveexec_b32 s19, s57
	s_delay_alu instid0(SALU_CYCLE_1)
	s_xor_b32 s19, exec_lo, s19
	s_cbranch_execz .LBB118_32
; %bb.31:                               ;   in Loop: Header=BB118_18 Depth=2
	v_min_i64 v[20:21], v[36:37], v[20:21]
	v_mov_b64_e32 v[26:27], v[38:39]
.LBB118_32:                             ;   in Loop: Header=BB118_18 Depth=2
	s_or_b32 exec_lo, exec_lo, s19
.LBB118_33:                             ;   in Loop: Header=BB118_18 Depth=2
	s_delay_alu instid0(SALU_CYCLE_1)
	s_or_b32 exec_lo, exec_lo, s56
	ds_bpermute_b32 v28, v42, v26
	ds_bpermute_b32 v29, v42, v27
	s_wait_dscnt 0x0
	v_min_i64 v[26:27], v[28:29], v[26:27]
	ds_bpermute_b32 v28, v43, v26
	ds_bpermute_b32 v29, v43, v27
	s_wait_dscnt 0x0
	v_min_i64 v[26:27], v[28:29], v[26:27]
	;; [unrolled: 4-line block ×3, first 2 shown]
	ds_bpermute_b32 v28, v45, v26
	ds_bpermute_b32 v29, v45, v27
	s_and_saveexec_b32 s19, s2
	s_cbranch_execz .LBB118_17
; %bb.34:                               ;   in Loop: Header=BB118_18 Depth=2
	s_wait_dscnt 0x0
	v_min_i64 v[26:27], v[28:29], v[26:27]
	global_store_b64 v[24:25], v[26:27], off
	s_branch .LBB118_17
.LBB118_35:                             ;   in Loop: Header=BB118_18 Depth=2
                                        ; implicit-def: $vgpr26_vgpr27
	s_wait_loadcnt 0x1
	v_sub_nc_u64_e64 v[28:29], v[28:29], s[28:29]
	s_delay_alu instid0(VALU_DEP_1)
	v_lshl_add_u64 v[28:29], v[28:29], 3, s[40:41]
	s_branch .LBB118_20
.LBB118_36:                             ;   in Loop: Header=BB118_11 Depth=1
	s_or_b32 exec_lo, exec_lo, s31
.LBB118_37:                             ;   in Loop: Header=BB118_11 Depth=1
	s_delay_alu instid0(SALU_CYCLE_1) | instskip(NEXT) | instid1(SALU_CYCLE_1)
	s_or_b32 exec_lo, exec_lo, s21
	s_and_not1_b32 vcc_lo, exec_lo, s33
	s_cbranch_vccnz .LBB118_51
; %bb.38:                               ;   in Loop: Header=BB118_11 Depth=1
	s_load_b128 s[56:59], s[26:27], 0x0
	s_mov_b32 s31, exec_lo
	s_wait_kmcnt 0x0
	v_add_nc_u64_e32 v[22:23], s[56:57], v[12:13]
	s_sub_nc_u64 s[20:21], s[58:59], s[54:55]
	s_delay_alu instid0(VALU_DEP_1) | instid1(SALU_CYCLE_1)
	v_cmpx_gt_i64_e64 s[20:21], v[22:23]
	s_cbranch_execz .LBB118_50
; %bb.39:                               ;   in Loop: Header=BB118_11 Depth=1
	v_lshlrev_b64_e32 v[26:27], 3, v[22:23]
	s_mov_b32 s56, 0
                                        ; implicit-def: $sgpr57
                                        ; implicit-def: $sgpr58
	s_delay_alu instid0(VALU_DEP_1)
	v_add_nc_u64_e32 v[24:25], s[22:23], v[26:27]
	v_add_nc_u64_e32 v[26:27], s[24:25], v[26:27]
	s_branch .LBB118_41
.LBB118_40:                             ;   in Loop: Header=BB118_41 Depth=2
	s_or_b32 exec_lo, exec_lo, s59
	s_delay_alu instid0(SALU_CYCLE_1) | instskip(NEXT) | instid1(SALU_CYCLE_1)
	s_and_b32 s18, exec_lo, s19
	s_or_b32 s56, s18, s56
	s_and_not1_b32 s18, s57, exec_lo
	s_and_b32 s19, s58, exec_lo
	s_delay_alu instid0(SALU_CYCLE_1)
	s_or_b32 s57, s18, s19
	s_and_not1_b32 exec_lo, exec_lo, s56
	s_cbranch_execz .LBB118_47
.LBB118_41:                             ;   Parent Loop BB118_11 Depth=1
                                        ; =>  This Inner Loop Header: Depth=2
	s_wait_dscnt 0x0
	global_load_b64 v[28:29], v[24:25], off
	s_wait_loadcnt 0x0
	v_sub_nc_u64_e64 v[28:29], v[28:29], s[54:55]
	s_delay_alu instid0(VALU_DEP_1)
	v_cmp_lt_i64_e64 s18, v[28:29], v[16:17]
	v_cmp_ge_i64_e64 s19, v[28:29], v[18:19]
	v_cmp_lt_i64_e32 vcc_lo, v[28:29], v[18:19]
	s_or_b32 s19, s18, s19
	s_mov_b32 s18, 0
	s_wait_xcnt 0x0
	s_and_saveexec_b32 s59, s19
	s_delay_alu instid0(SALU_CYCLE_1)
	s_xor_b32 s19, exec_lo, s59
; %bb.42:                               ;   in Loop: Header=BB118_41 Depth=2
	s_and_b32 s18, vcc_lo, exec_lo
; %bb.43:                               ;   in Loop: Header=BB118_41 Depth=2
	s_and_not1_saveexec_b32 s19, s19
	s_cbranch_execz .LBB118_45
; %bb.44:                               ;   in Loop: Header=BB118_41 Depth=2
	global_load_b64 v[30:31], v[26:27], off
	v_sub_nc_u32_e32 v32, v28, v16
	s_or_b32 s18, s18, exec_lo
	ds_store_b8 v32, v48 offset:16384
	s_wait_loadcnt 0x0
	v_dual_mul_f64 v[30:31], v[4:5], v[30:31] :: v_dual_lshlrev_b32 v33, 3, v32
	ds_add_f64 v33, v[30:31]
.LBB118_45:                             ;   in Loop: Header=BB118_41 Depth=2
	s_wait_xcnt 0x0
	s_or_b32 exec_lo, exec_lo, s19
	s_mov_b32 s19, -1
	s_or_b32 s58, s58, exec_lo
	s_and_saveexec_b32 s59, s18
	s_cbranch_execz .LBB118_40
; %bb.46:                               ;   in Loop: Header=BB118_41 Depth=2
	v_add_nc_u64_e32 v[22:23], 0x200, v[22:23]
	v_add_nc_u64_e32 v[24:25], 0x1000, v[24:25]
	;; [unrolled: 1-line block ×3, first 2 shown]
	s_and_not1_b32 s58, s58, exec_lo
	s_delay_alu instid0(VALU_DEP_3)
	v_cmp_le_i64_e32 vcc_lo, s[20:21], v[22:23]
	s_or_not1_b32 s19, vcc_lo, exec_lo
	s_branch .LBB118_40
.LBB118_47:                             ;   in Loop: Header=BB118_11 Depth=1
	s_or_b32 exec_lo, exec_lo, s56
	s_and_saveexec_b32 s18, s57
	s_delay_alu instid0(SALU_CYCLE_1)
	s_xor_b32 s18, exec_lo, s18
; %bb.48:                               ;   in Loop: Header=BB118_11 Depth=1
	v_min_i64 v[20:21], v[28:29], v[20:21]
; %bb.49:                               ;   in Loop: Header=BB118_11 Depth=1
	s_or_b32 exec_lo, exec_lo, s18
.LBB118_50:                             ;   in Loop: Header=BB118_11 Depth=1
	s_delay_alu instid0(SALU_CYCLE_1)
	s_or_b32 exec_lo, exec_lo, s31
.LBB118_51:                             ;   in Loop: Header=BB118_11 Depth=1
	ds_bpermute_b32 v16, v42, v20
	ds_bpermute_b32 v17, v42, v21
	s_wait_dscnt 0x0
	v_min_i64 v[16:17], v[16:17], v[20:21]
	ds_bpermute_b32 v18, v43, v16
	ds_bpermute_b32 v19, v43, v17
	s_wait_dscnt 0x0
	v_min_i64 v[16:17], v[18:19], v[16:17]
	;; [unrolled: 4-line block ×3, first 2 shown]
	ds_bpermute_b32 v18, v45, v16
	ds_bpermute_b32 v19, v45, v17
	s_and_saveexec_b32 s18, s2
	s_cbranch_execz .LBB118_56
; %bb.52:                               ;   in Loop: Header=BB118_11 Depth=1
	s_wait_dscnt 0x0
	v_min_i64 v[18:19], v[18:19], v[16:17]
	v_mov_b64_e32 v[16:17], -1
	s_mov_b32 s19, exec_lo
.LBB118_53:                             ;   Parent Loop BB118_11 Depth=1
                                        ; =>  This Inner Loop Header: Depth=2
	s_delay_alu instid0(SALU_CYCLE_1)
	s_ctz_i32_b32 s31, s19
	s_delay_alu instid0(VALU_DEP_2) | instid1(SALU_CYCLE_1)
	v_readlane_b32 s21, v19, s31
	s_delay_alu instid0(VALU_DEP_3) | instskip(NEXT) | instid1(VALU_DEP_1)
	v_readlane_b32 s20, v18, s31
	v_min_u64 v[16:17], v[16:17], s[20:21]
	s_lshl_b32 s20, 1, s31
	s_delay_alu instid0(SALU_CYCLE_1) | instskip(NEXT) | instid1(SALU_CYCLE_1)
	s_and_not1_b32 s19, s19, s20
	s_cmp_lg_u32 s19, 0
	s_cbranch_scc1 .LBB118_53
; %bb.54:                               ;   in Loop: Header=BB118_11 Depth=1
	v_mbcnt_lo_u32_b32 v18, exec_lo, 0
	s_mov_b32 s19, exec_lo
	s_delay_alu instid0(VALU_DEP_1)
	v_cmpx_eq_u32_e32 0, v18
	s_xor_b32 s19, exec_lo, s19
; %bb.55:                               ;   in Loop: Header=BB118_11 Depth=1
	ds_min_u64 v7, v[16:17] offset:18432
.LBB118_56:                             ;   in Loop: Header=BB118_11 Depth=1
	s_or_b32 exec_lo, exec_lo, s18
	v_dual_mov_b32 v20, v47 :: v_dual_mov_b32 v21, v46
	s_mov_b32 s18, 0
	s_wait_storecnt_dscnt 0x0
	s_barrier_signal -1
	s_barrier_wait -1
	s_branch .LBB118_58
.LBB118_57:                             ;   in Loop: Header=BB118_58 Depth=2
	s_or_b32 exec_lo, exec_lo, s19
	s_wait_storecnt_dscnt 0x0
	s_barrier_signal -1
	s_barrier_wait -1
	ds_load_b32 v16, v7 offset:60
	v_add_nc_u32_e32 v21, 0x200, v21
	v_add_nc_u32_e32 v20, 0x1000, v20
	s_delay_alu instid0(VALU_DEP_2) | instskip(SKIP_3) | instid1(VALU_DEP_1)
	v_cmp_lt_u32_e32 vcc_lo, 0x5ff, v21
	s_or_b32 s18, vcc_lo, s18
	s_wait_dscnt 0x0
	v_ashrrev_i32_e32 v17, 31, v16
	v_add_nc_u64_e32 v[0:1], v[0:1], v[16:17]
	s_and_not1_b32 exec_lo, exec_lo, s18
	s_cbranch_execz .LBB118_10
.LBB118_58:                             ;   Parent Loop BB118_11 Depth=1
                                        ; =>  This Inner Loop Header: Depth=2
	ds_load_u8 v18, v21 offset:16896
	ds_load_b64 v[16:17], v20
	s_wait_dscnt 0x0
	s_barrier_signal -1
	s_barrier_wait -1
	v_cmp_ne_u16_e32 vcc_lo, 0, v18
	s_bcnt1_i32_b32 s19, vcc_lo
	s_delay_alu instid0(SALU_CYCLE_1)
	v_mov_b32_e32 v19, s19
	s_mov_b32 s19, exec_lo
	ds_store_b32 v11, v19
	s_wait_dscnt 0x0
	s_barrier_signal -1
	s_barrier_wait -1
	ds_load_b128 v[22:25], v7
	ds_load_b128 v[26:29], v7 offset:16
	v_and_b32_e32 v19, vcc_lo, v10
	ds_load_b128 v[30:33], v7 offset:32
	s_wait_dscnt 0x2
	v_cndmask_b32_e64 v22, v22, 0, s3
	v_cndmask_b32_e64 v34, v23, 0, s4
	;; [unrolled: 1-line block ×4, first 2 shown]
	s_wait_dscnt 0x1
	v_cndmask_b32_e64 v26, v26, 0, s7
	v_bcnt_u32_b32 v19, v19, v22
	ds_load_b96 v[22:24], v7 offset:48
	v_cndmask_b32_e64 v27, v27, 0, s8
	v_cndmask_b32_e64 v28, v28, 0, s9
	v_add3_u32 v19, v19, v34, v35
	s_delay_alu instid0(VALU_DEP_1) | instskip(SKIP_3) | instid1(VALU_DEP_3)
	v_add3_u32 v19, v19, v25, v26
	v_cndmask_b32_e64 v25, v29, 0, s10
	s_wait_dscnt 0x1
	v_cndmask_b32_e64 v26, v30, 0, s11
	v_add3_u32 v19, v19, v27, v28
	v_cndmask_b32_e64 v27, v31, 0, s12
	v_cndmask_b32_e64 v28, v32, 0, s13
	s_delay_alu instid0(VALU_DEP_3)
	v_add3_u32 v19, v19, v25, v26
	v_cndmask_b32_e64 v25, v33, 0, s14
	s_wait_dscnt 0x0
	v_cndmask_b32_e64 v22, v22, 0, s15
	v_cndmask_b32_e64 v23, v23, 0, s16
	;; [unrolled: 1-line block ×3, first 2 shown]
	v_add3_u32 v19, v19, v27, v28
	s_delay_alu instid0(VALU_DEP_1) | instskip(SKIP_1) | instid1(VALU_DEP_2)
	v_add3_u32 v19, v19, v25, v22
	v_and_b32_e32 v22, 1, v18
	v_add3_u32 v18, v19, v23, v24
	s_delay_alu instid0(VALU_DEP_2)
	v_cmpx_eq_u32_e32 1, v22
	s_cbranch_execz .LBB118_60
; %bb.59:                               ;   in Loop: Header=BB118_58 Depth=2
	v_lshl_add_u64 v[22:23], v[0:1], 3, s[44:45]
	s_delay_alu instid0(VALU_DEP_3) | instskip(NEXT) | instid1(VALU_DEP_1)
	v_ashrrev_i32_e32 v19, 31, v18
	v_lshl_add_u64 v[22:23], v[18:19], 3, v[22:23]
	global_store_b64 v[22:23], v[16:17], off offset:-8
.LBB118_60:                             ;   in Loop: Header=BB118_58 Depth=2
	s_wait_xcnt 0x0
	s_or_b32 exec_lo, exec_lo, s19
	s_and_saveexec_b32 s19, s1
	s_cbranch_execz .LBB118_57
; %bb.61:                               ;   in Loop: Header=BB118_58 Depth=2
	ds_store_b32 v7, v18 offset:60
	s_branch .LBB118_57
.LBB118_62:
	s_endpgm
	.section	.rodata,"a",@progbits
	.p2align	6, 0x0
	.amdhsa_kernel _ZN9rocsparseL51csrgemm_numeric_fill_block_per_row_multipass_kernelILj512ELj16ELj2048ELj32ElldEEvT4_PKS1_S3_NS_24const_host_device_scalarIT5_EEPKT3_S3_PKS5_S9_S3_SB_S6_S9_S3_SB_S9_S3_PS5_PS7_21rocsparse_index_base_SE_SE_SE_bbb
		.amdhsa_group_segment_fixed_size 18440
		.amdhsa_private_segment_fixed_size 0
		.amdhsa_kernarg_size 164
		.amdhsa_user_sgpr_count 2
		.amdhsa_user_sgpr_dispatch_ptr 0
		.amdhsa_user_sgpr_queue_ptr 0
		.amdhsa_user_sgpr_kernarg_segment_ptr 1
		.amdhsa_user_sgpr_dispatch_id 0
		.amdhsa_user_sgpr_kernarg_preload_length 0
		.amdhsa_user_sgpr_kernarg_preload_offset 0
		.amdhsa_user_sgpr_private_segment_size 0
		.amdhsa_wavefront_size32 1
		.amdhsa_uses_dynamic_stack 0
		.amdhsa_enable_private_segment 0
		.amdhsa_system_sgpr_workgroup_id_x 1
		.amdhsa_system_sgpr_workgroup_id_y 0
		.amdhsa_system_sgpr_workgroup_id_z 0
		.amdhsa_system_sgpr_workgroup_info 0
		.amdhsa_system_vgpr_workitem_id 0
		.amdhsa_next_free_vgpr 51
		.amdhsa_next_free_sgpr 61
		.amdhsa_named_barrier_count 0
		.amdhsa_reserve_vcc 1
		.amdhsa_float_round_mode_32 0
		.amdhsa_float_round_mode_16_64 0
		.amdhsa_float_denorm_mode_32 3
		.amdhsa_float_denorm_mode_16_64 3
		.amdhsa_fp16_overflow 0
		.amdhsa_memory_ordered 1
		.amdhsa_forward_progress 1
		.amdhsa_inst_pref_size 23
		.amdhsa_round_robin_scheduling 0
		.amdhsa_exception_fp_ieee_invalid_op 0
		.amdhsa_exception_fp_denorm_src 0
		.amdhsa_exception_fp_ieee_div_zero 0
		.amdhsa_exception_fp_ieee_overflow 0
		.amdhsa_exception_fp_ieee_underflow 0
		.amdhsa_exception_fp_ieee_inexact 0
		.amdhsa_exception_int_div_zero 0
	.end_amdhsa_kernel
	.section	.text._ZN9rocsparseL51csrgemm_numeric_fill_block_per_row_multipass_kernelILj512ELj16ELj2048ELj32ElldEEvT4_PKS1_S3_NS_24const_host_device_scalarIT5_EEPKT3_S3_PKS5_S9_S3_SB_S6_S9_S3_SB_S9_S3_PS5_PS7_21rocsparse_index_base_SE_SE_SE_bbb,"axG",@progbits,_ZN9rocsparseL51csrgemm_numeric_fill_block_per_row_multipass_kernelILj512ELj16ELj2048ELj32ElldEEvT4_PKS1_S3_NS_24const_host_device_scalarIT5_EEPKT3_S3_PKS5_S9_S3_SB_S6_S9_S3_SB_S9_S3_PS5_PS7_21rocsparse_index_base_SE_SE_SE_bbb,comdat
.Lfunc_end118:
	.size	_ZN9rocsparseL51csrgemm_numeric_fill_block_per_row_multipass_kernelILj512ELj16ELj2048ELj32ElldEEvT4_PKS1_S3_NS_24const_host_device_scalarIT5_EEPKT3_S3_PKS5_S9_S3_SB_S6_S9_S3_SB_S9_S3_PS5_PS7_21rocsparse_index_base_SE_SE_SE_bbb, .Lfunc_end118-_ZN9rocsparseL51csrgemm_numeric_fill_block_per_row_multipass_kernelILj512ELj16ELj2048ELj32ElldEEvT4_PKS1_S3_NS_24const_host_device_scalarIT5_EEPKT3_S3_PKS5_S9_S3_SB_S6_S9_S3_SB_S9_S3_PS5_PS7_21rocsparse_index_base_SE_SE_SE_bbb
                                        ; -- End function
	.set _ZN9rocsparseL51csrgemm_numeric_fill_block_per_row_multipass_kernelILj512ELj16ELj2048ELj32ElldEEvT4_PKS1_S3_NS_24const_host_device_scalarIT5_EEPKT3_S3_PKS5_S9_S3_SB_S6_S9_S3_SB_S9_S3_PS5_PS7_21rocsparse_index_base_SE_SE_SE_bbb.num_vgpr, 51
	.set _ZN9rocsparseL51csrgemm_numeric_fill_block_per_row_multipass_kernelILj512ELj16ELj2048ELj32ElldEEvT4_PKS1_S3_NS_24const_host_device_scalarIT5_EEPKT3_S3_PKS5_S9_S3_SB_S6_S9_S3_SB_S9_S3_PS5_PS7_21rocsparse_index_base_SE_SE_SE_bbb.num_agpr, 0
	.set _ZN9rocsparseL51csrgemm_numeric_fill_block_per_row_multipass_kernelILj512ELj16ELj2048ELj32ElldEEvT4_PKS1_S3_NS_24const_host_device_scalarIT5_EEPKT3_S3_PKS5_S9_S3_SB_S6_S9_S3_SB_S9_S3_PS5_PS7_21rocsparse_index_base_SE_SE_SE_bbb.numbered_sgpr, 61
	.set _ZN9rocsparseL51csrgemm_numeric_fill_block_per_row_multipass_kernelILj512ELj16ELj2048ELj32ElldEEvT4_PKS1_S3_NS_24const_host_device_scalarIT5_EEPKT3_S3_PKS5_S9_S3_SB_S6_S9_S3_SB_S9_S3_PS5_PS7_21rocsparse_index_base_SE_SE_SE_bbb.num_named_barrier, 0
	.set _ZN9rocsparseL51csrgemm_numeric_fill_block_per_row_multipass_kernelILj512ELj16ELj2048ELj32ElldEEvT4_PKS1_S3_NS_24const_host_device_scalarIT5_EEPKT3_S3_PKS5_S9_S3_SB_S6_S9_S3_SB_S9_S3_PS5_PS7_21rocsparse_index_base_SE_SE_SE_bbb.private_seg_size, 0
	.set _ZN9rocsparseL51csrgemm_numeric_fill_block_per_row_multipass_kernelILj512ELj16ELj2048ELj32ElldEEvT4_PKS1_S3_NS_24const_host_device_scalarIT5_EEPKT3_S3_PKS5_S9_S3_SB_S6_S9_S3_SB_S9_S3_PS5_PS7_21rocsparse_index_base_SE_SE_SE_bbb.uses_vcc, 1
	.set _ZN9rocsparseL51csrgemm_numeric_fill_block_per_row_multipass_kernelILj512ELj16ELj2048ELj32ElldEEvT4_PKS1_S3_NS_24const_host_device_scalarIT5_EEPKT3_S3_PKS5_S9_S3_SB_S6_S9_S3_SB_S9_S3_PS5_PS7_21rocsparse_index_base_SE_SE_SE_bbb.uses_flat_scratch, 0
	.set _ZN9rocsparseL51csrgemm_numeric_fill_block_per_row_multipass_kernelILj512ELj16ELj2048ELj32ElldEEvT4_PKS1_S3_NS_24const_host_device_scalarIT5_EEPKT3_S3_PKS5_S9_S3_SB_S6_S9_S3_SB_S9_S3_PS5_PS7_21rocsparse_index_base_SE_SE_SE_bbb.has_dyn_sized_stack, 0
	.set _ZN9rocsparseL51csrgemm_numeric_fill_block_per_row_multipass_kernelILj512ELj16ELj2048ELj32ElldEEvT4_PKS1_S3_NS_24const_host_device_scalarIT5_EEPKT3_S3_PKS5_S9_S3_SB_S6_S9_S3_SB_S9_S3_PS5_PS7_21rocsparse_index_base_SE_SE_SE_bbb.has_recursion, 0
	.set _ZN9rocsparseL51csrgemm_numeric_fill_block_per_row_multipass_kernelILj512ELj16ELj2048ELj32ElldEEvT4_PKS1_S3_NS_24const_host_device_scalarIT5_EEPKT3_S3_PKS5_S9_S3_SB_S6_S9_S3_SB_S9_S3_PS5_PS7_21rocsparse_index_base_SE_SE_SE_bbb.has_indirect_call, 0
	.section	.AMDGPU.csdata,"",@progbits
; Kernel info:
; codeLenInByte = 2916
; TotalNumSgprs: 63
; NumVgprs: 51
; ScratchSize: 0
; MemoryBound: 0
; FloatMode: 240
; IeeeMode: 1
; LDSByteSize: 18440 bytes/workgroup (compile time only)
; SGPRBlocks: 0
; VGPRBlocks: 3
; NumSGPRsForWavesPerEU: 63
; NumVGPRsForWavesPerEU: 51
; NamedBarCnt: 0
; Occupancy: 16
; WaveLimiterHint : 1
; COMPUTE_PGM_RSRC2:SCRATCH_EN: 0
; COMPUTE_PGM_RSRC2:USER_SGPR: 2
; COMPUTE_PGM_RSRC2:TRAP_HANDLER: 0
; COMPUTE_PGM_RSRC2:TGID_X_EN: 1
; COMPUTE_PGM_RSRC2:TGID_Y_EN: 0
; COMPUTE_PGM_RSRC2:TGID_Z_EN: 0
; COMPUTE_PGM_RSRC2:TIDIG_COMP_CNT: 0
	.section	.text._ZN9rocsparseL51csrgemm_numeric_fill_block_per_row_multipass_kernelILj512ELj16ELj2048ELj64ElldEEvT4_PKS1_S3_NS_24const_host_device_scalarIT5_EEPKT3_S3_PKS5_S9_S3_SB_S6_S9_S3_SB_S9_S3_PS5_PS7_21rocsparse_index_base_SE_SE_SE_bbb,"axG",@progbits,_ZN9rocsparseL51csrgemm_numeric_fill_block_per_row_multipass_kernelILj512ELj16ELj2048ELj64ElldEEvT4_PKS1_S3_NS_24const_host_device_scalarIT5_EEPKT3_S3_PKS5_S9_S3_SB_S6_S9_S3_SB_S9_S3_PS5_PS7_21rocsparse_index_base_SE_SE_SE_bbb,comdat
	.globl	_ZN9rocsparseL51csrgemm_numeric_fill_block_per_row_multipass_kernelILj512ELj16ELj2048ELj64ElldEEvT4_PKS1_S3_NS_24const_host_device_scalarIT5_EEPKT3_S3_PKS5_S9_S3_SB_S6_S9_S3_SB_S9_S3_PS5_PS7_21rocsparse_index_base_SE_SE_SE_bbb ; -- Begin function _ZN9rocsparseL51csrgemm_numeric_fill_block_per_row_multipass_kernelILj512ELj16ELj2048ELj64ElldEEvT4_PKS1_S3_NS_24const_host_device_scalarIT5_EEPKT3_S3_PKS5_S9_S3_SB_S6_S9_S3_SB_S9_S3_PS5_PS7_21rocsparse_index_base_SE_SE_SE_bbb
	.p2align	8
	.type	_ZN9rocsparseL51csrgemm_numeric_fill_block_per_row_multipass_kernelILj512ELj16ELj2048ELj64ElldEEvT4_PKS1_S3_NS_24const_host_device_scalarIT5_EEPKT3_S3_PKS5_S9_S3_SB_S6_S9_S3_SB_S9_S3_PS5_PS7_21rocsparse_index_base_SE_SE_SE_bbb,@function
_ZN9rocsparseL51csrgemm_numeric_fill_block_per_row_multipass_kernelILj512ELj16ELj2048ELj64ElldEEvT4_PKS1_S3_NS_24const_host_device_scalarIT5_EEPKT3_S3_PKS5_S9_S3_SB_S6_S9_S3_SB_S9_S3_PS5_PS7_21rocsparse_index_base_SE_SE_SE_bbb: ; @_ZN9rocsparseL51csrgemm_numeric_fill_block_per_row_multipass_kernelILj512ELj16ELj2048ELj64ElldEEvT4_PKS1_S3_NS_24const_host_device_scalarIT5_EEPKT3_S3_PKS5_S9_S3_SB_S6_S9_S3_SB_S9_S3_PS5_PS7_21rocsparse_index_base_SE_SE_SE_bbb
; %bb.0:
	s_clause 0x4
	s_load_b32 s8, s[0:1], 0xa0
	s_load_b64 s[6:7], s[0:1], 0x18
	s_load_b128 s[28:31], s[0:1], 0x90
	s_load_b64 s[2:3], s[0:1], 0x8
	s_load_b64 s[4:5], s[0:1], 0x50
	s_wait_kmcnt 0x0
	s_bitcmp1_b32 s8, 0
	s_cselect_b32 s10, -1, 0
	s_bitcmp1_b32 s8, 16
	s_cselect_b32 s9, -1, 0
	s_xor_b32 s11, s10, -1
	s_delay_alu instid0(SALU_CYCLE_1)
	s_or_b32 s11, s9, s11
	s_and_b32 s12, s10, exec_lo
	s_cselect_b32 s13, s7, 0
	s_cselect_b32 s12, s6, 0
	s_and_b32 vcc_lo, exec_lo, s11
	v_mov_b64_e32 v[2:3], s[12:13]
	s_cbranch_vccnz .LBB119_2
; %bb.1:
	v_mov_b32_e32 v1, 0
	flat_load_b64 v[2:3], v1, s[6:7]
.LBB119_2:
	s_wait_xcnt 0x0
	s_load_b64 s[6:7], s[0:1], 0x10
	s_bitcmp1_b32 s8, 8
	s_cselect_b32 s33, -1, 0
	s_delay_alu instid0(SALU_CYCLE_1) | instskip(NEXT) | instid1(SALU_CYCLE_1)
	s_xor_b32 s8, s33, -1
	s_or_b32 s11, s9, s8
	s_and_b32 s8, s33, exec_lo
	s_cselect_b32 s9, s5, 0
	s_cselect_b32 s8, s4, 0
	s_and_b32 vcc_lo, exec_lo, s11
	v_mov_b64_e32 v[4:5], s[8:9]
	s_cbranch_vccnz .LBB119_4
; %bb.3:
	v_mov_b32_e32 v1, 0
	flat_load_b64 v[4:5], v1, s[4:5]
.LBB119_4:
	s_load_b64 s[2:3], s[2:3], 0x0
	s_bfe_u32 s4, ttmp6, 0x4000c
	s_and_b32 s5, ttmp6, 15
	s_add_co_i32 s4, s4, 1
	s_getreg_b32 s8, hwreg(HW_REG_IB_STS2, 6, 4)
	s_mul_i32 s4, ttmp9, s4
	s_mov_b64 s[34:35], 0
	s_add_co_i32 s9, s5, s4
	s_wait_kmcnt 0x0
	s_lshl_b64 s[2:3], s[2:3], 3
	s_cmp_eq_u32 s8, 0
	s_add_nc_u64 s[4:5], s[6:7], s[2:3]
	s_cselect_b32 s8, ttmp9, s9
	s_load_b64 s[6:7], s[0:1], 0x20
	s_load_b64 s[2:3], s[4:5], s8 offset:0x0 scale_offset
	s_mov_b32 s9, 0
	s_and_not1_b32 vcc_lo, exec_lo, s10
	s_wait_xcnt 0x0
	s_mov_b64 s[4:5], 0
	s_cbranch_vccz .LBB119_7
; %bb.5:
	s_and_not1_b32 vcc_lo, exec_lo, s10
	s_cbranch_vccz .LBB119_8
.LBB119_6:
	s_load_b64 s[40:41], s[0:1], 0x0
	s_wait_kmcnt 0x0
	v_cmp_lt_i64_e64 s6, s[40:41], 1
	s_and_b32 vcc_lo, exec_lo, s6
	s_cbranch_vccz .LBB119_9
	s_branch .LBB119_62
.LBB119_7:
	s_wait_kmcnt 0x0
	s_lshl_b64 s[4:5], s[2:3], 3
	s_mov_b32 s8, s28
	s_add_nc_u64 s[4:5], s[6:7], s[4:5]
	s_load_b64 s[4:5], s[4:5], 0x0
	s_wait_kmcnt 0x0
	s_sub_nc_u64 s[4:5], s[4:5], s[8:9]
	s_and_not1_b32 vcc_lo, exec_lo, s10
	s_cbranch_vccnz .LBB119_6
.LBB119_8:
	s_wait_kmcnt 0x0
	s_lshl_b64 s[8:9], s[2:3], 3
	s_delay_alu instid0(SALU_CYCLE_1)
	s_add_nc_u64 s[6:7], s[6:7], s[8:9]
	s_mov_b32 s9, 0
	s_load_b64 s[6:7], s[6:7], 0x8
	s_mov_b32 s8, s28
	s_wait_kmcnt 0x0
	s_sub_nc_u64 s[34:35], s[6:7], s[8:9]
	s_load_b64 s[40:41], s[0:1], 0x0
	s_wait_kmcnt 0x0
	v_cmp_lt_i64_e64 s6, s[40:41], 1
	s_and_b32 vcc_lo, exec_lo, s6
	s_cbranch_vccnz .LBB119_62
.LBB119_9:
	s_clause 0x3
	s_load_b256 s[12:19], s[0:1], 0x58
	s_load_b128 s[36:39], s[0:1], 0x80
	s_load_b64 s[42:43], s[0:1], 0x48
	s_load_b256 s[20:27], s[0:1], 0x28
	v_mbcnt_lo_u32_b32 v10, -1, 0
	v_mov_b32_e32 v7, 0
	s_lshl_b64 s[48:49], s[2:3], 3
	v_dual_lshrrev_b32 v8, 4, v0 :: v_dual_bitop2_b32 v6, 15, v0 bitop3:0x40
	s_delay_alu instid0(VALU_DEP_2) | instskip(SKIP_3) | instid1(VALU_DEP_2)
	v_dual_mov_b32 v9, v7 :: v_dual_bitop2_b32 v12, 8, v10 bitop3:0x14
	v_mov_b32_e32 v1, v7
	s_mov_b32 s47, 0
	s_mov_b32 s46, s30
	v_cmp_gt_i32_e32 vcc_lo, 32, v12
	v_xor_b32_e32 v13, 4, v10
	s_wait_xcnt 0x0
	v_cmp_eq_u32_e64 s0, 0, v0
	v_cmp_eq_u32_e64 s1, 0x1ff, v0
	v_cmp_gt_u32_e64 s2, 64, v0
	v_cndmask_b32_e32 v12, v10, v12, vcc_lo
	s_wait_kmcnt 0x0
	s_add_nc_u64 s[6:7], s[18:19], s[48:49]
	v_cmp_gt_i32_e32 vcc_lo, 32, v13
	s_load_b64 s[6:7], s[6:7], 0x0
	v_xor_b32_e32 v14, 2, v10
	v_dual_lshlrev_b32 v42, 2, v12 :: v_dual_bitop2_b32 v15, 1, v10 bitop3:0x14
	v_cndmask_b32_e32 v13, v10, v13, vcc_lo
	v_cmp_gt_u32_e64 s8, 0x180, v0
	s_delay_alu instid0(VALU_DEP_4)
	v_cmp_gt_i32_e32 vcc_lo, 32, v14
	v_and_b32_e32 v11, 28, v8
	v_add_nc_u64_e32 v[8:9], s[4:5], v[8:9]
	v_cmp_gt_u32_e64 s4, 0x80, v0
	v_cmp_gt_u32_e64 s5, 0xc0, v0
	v_cndmask_b32_e32 v14, v10, v14, vcc_lo
	v_cmp_gt_i32_e32 vcc_lo, 32, v15
	v_dual_lshlrev_b32 v43, 2, v13 :: v_dual_bitop2_b32 v16, 31, v10 bitop3:0x14
	v_cmp_gt_u32_e64 s9, 0x1c0, v0
	s_delay_alu instid0(VALU_DEP_4) | instskip(SKIP_1) | instid1(VALU_DEP_4)
	v_dual_cndmask_b32 v15, v10, v15 :: v_dual_lshlrev_b32 v44, 2, v14
	v_cmp_gt_i64_e32 vcc_lo, s[34:35], v[8:9]
	v_lshrrev_b32_e64 v10, v16, -1
	s_wait_kmcnt 0x0
	s_sub_nc_u64 s[18:19], s[6:7], s[46:47]
	s_mov_b32 s46, s31
	v_dual_lshlrev_b32 v45, 2, v15 :: v_dual_lshlrev_b32 v47, 3, v0
	v_sub_nc_u64_e64 v[12:13], v[0:1], s[46:47]
	v_cmp_gt_u32_e64 s6, 0x100, v0
	v_cmp_gt_u32_e64 s7, 0x140, v0
	v_or_b32_e32 v46, 0xfffffe00, v0
	v_mov_b64_e32 v[16:17], 0
	v_mov_b64_e32 v[18:19], 0x800
	;; [unrolled: 1-line block ×4, first 2 shown]
	v_cmp_eq_u32_e64 s3, 15, v6
	v_mov_b32_e32 v48, 1
	s_mov_b32 s44, s29
	s_mov_b32 s29, s47
	s_mov_b32 s45, s47
	s_add_nc_u64 s[18:19], s[12:13], s[48:49]
	s_and_b32 s30, s10, vcc_lo
	s_branch .LBB119_11
.LBB119_10:                             ;   in Loop: Header=BB119_11 Depth=1
	s_or_b32 exec_lo, exec_lo, s10
	ds_load_b64 v[16:17], v7 offset:18432
	s_wait_dscnt 0x0
	s_barrier_signal -1
	s_barrier_wait -1
	v_cmp_le_i64_e32 vcc_lo, s[40:41], v[16:17]
	v_add_nc_u64_e32 v[18:19], 0x800, v[16:17]
	s_cbranch_vccnz .LBB119_62
.LBB119_11:                             ; =>This Loop Header: Depth=1
                                        ;     Child Loop BB119_12 Depth 2
                                        ;     Child Loop BB119_18 Depth 2
                                        ;       Child Loop BB119_24 Depth 3
                                        ;     Child Loop BB119_41 Depth 2
                                        ;     Child Loop BB119_53 Depth 2
	;; [unrolled: 1-line block ×3, first 2 shown]
	v_dual_mov_b32 v20, v47 :: v_dual_mov_b32 v21, v46
	s_mov_b32 s10, 0
.LBB119_12:                             ;   Parent Loop BB119_11 Depth=1
                                        ; =>  This Inner Loop Header: Depth=2
	ds_store_b8 v21, v7 offset:16896
	v_add_nc_u32_e32 v21, 0x200, v21
	ds_store_b64 v20, v[14:15]
	v_add_nc_u32_e32 v20, 0x1000, v20
	v_cmp_lt_u32_e32 vcc_lo, 0x5ff, v21
	s_or_b32 s10, vcc_lo, s10
	s_delay_alu instid0(SALU_CYCLE_1)
	s_and_not1_b32 exec_lo, exec_lo, s10
	s_cbranch_execnz .LBB119_12
; %bb.13:                               ;   in Loop: Header=BB119_11 Depth=1
	s_or_b32 exec_lo, exec_lo, s10
	s_and_saveexec_b32 s10, s0
; %bb.14:                               ;   in Loop: Header=BB119_11 Depth=1
	v_mov_b64_e32 v[20:21], s[40:41]
	ds_store_b64 v7, v[20:21] offset:18432
; %bb.15:                               ;   in Loop: Header=BB119_11 Depth=1
	s_or_b32 exec_lo, exec_lo, s10
	v_mov_b64_e32 v[20:21], s[40:41]
	s_wait_loadcnt_dscnt 0x0
	s_barrier_signal -1
	s_barrier_wait -1
	s_and_saveexec_b32 s13, s30
	s_cbranch_execz .LBB119_37
; %bb.16:                               ;   in Loop: Header=BB119_11 Depth=1
	v_cmp_ne_u64_e64 s10, 0, v[16:17]
	v_mov_b64_e32 v[20:21], s[40:41]
	v_mov_b64_e32 v[22:23], v[8:9]
	s_mov_b32 s31, 0
	s_branch .LBB119_18
.LBB119_17:                             ;   in Loop: Header=BB119_18 Depth=2
	s_wait_xcnt 0x0
	s_or_b32 exec_lo, exec_lo, s11
	v_add_nc_u64_e32 v[22:23], 32, v[22:23]
	s_delay_alu instid0(VALU_DEP_1) | instskip(SKIP_1) | instid1(SALU_CYCLE_1)
	v_cmp_le_i64_e32 vcc_lo, s[34:35], v[22:23]
	s_or_b32 s31, vcc_lo, s31
	s_and_not1_b32 exec_lo, exec_lo, s31
	s_cbranch_execz .LBB119_36
.LBB119_18:                             ;   Parent Loop BB119_11 Depth=1
                                        ; =>  This Loop Header: Depth=2
                                        ;       Child Loop BB119_24 Depth 3
	s_delay_alu instid0(VALU_DEP_1) | instskip(SKIP_1) | instid1(VALU_DEP_1)
	v_lshlrev_b64_e32 v[24:25], 3, v[22:23]
	s_and_b32 vcc_lo, exec_lo, s10
	v_add_nc_u64_e32 v[26:27], s[20:21], v[24:25]
	v_add_nc_u64_e32 v[24:25], s[22:23], v[24:25]
	s_wait_dscnt 0x0
	global_load_b64 v[28:29], v[26:27], off
	global_load_b64 v[30:31], v[24:25], off
	s_wait_xcnt 0x0
	v_lshl_add_u64 v[24:25], v[22:23], 3, s[38:39]
	s_cbranch_vccz .LBB119_35
; %bb.19:                               ;   in Loop: Header=BB119_18 Depth=2
	global_load_b64 v[26:27], v[24:25], off
	s_wait_loadcnt 0x2
	v_sub_nc_u64_e64 v[28:29], v[28:29], s[28:29]
	s_delay_alu instid0(VALU_DEP_1)
	v_lshl_add_u64 v[28:29], v[28:29], 3, s[24:25]
	s_cbranch_execnz .LBB119_21
.LBB119_20:                             ;   in Loop: Header=BB119_18 Depth=2
	s_wait_loadcnt 0x0
	global_load_b64 v[26:27], v[28:29], off
	s_wait_loadcnt 0x0
	v_sub_nc_u64_e64 v[26:27], v[26:27], s[44:45]
.LBB119_21:                             ;   in Loop: Header=BB119_18 Depth=2
	global_load_b64 v[28:29], v[28:29], off offset:8
	s_wait_loadcnt 0x1
	v_add_nc_u64_e32 v[26:27], v[26:27], v[6:7]
	s_mov_b32 s48, exec_lo
	s_wait_loadcnt 0x0
	s_wait_xcnt 0x0
	v_sub_nc_u64_e64 v[28:29], v[28:29], s[44:45]
	s_delay_alu instid0(VALU_DEP_1)
	v_cmpx_lt_i64_e64 v[26:27], v[28:29]
	s_cbranch_execz .LBB119_33
; %bb.22:                               ;   in Loop: Header=BB119_18 Depth=2
	v_mul_f64_e32 v[30:31], v[2:3], v[30:31]
	v_lshlrev_b64_e32 v[34:35], 3, v[26:27]
	v_mov_b64_e32 v[40:41], v[26:27]
	s_mov_b32 s50, 0
                                        ; implicit-def: $sgpr49
                                        ; implicit-def: $sgpr51
	s_delay_alu instid0(VALU_DEP_2)
	v_add_nc_u64_e32 v[32:33], s[26:27], v[34:35]
	v_add_nc_u64_e32 v[34:35], s[42:43], v[34:35]
	s_branch .LBB119_24
.LBB119_23:                             ;   in Loop: Header=BB119_24 Depth=3
	s_or_b32 exec_lo, exec_lo, s52
	s_delay_alu instid0(SALU_CYCLE_1) | instskip(NEXT) | instid1(SALU_CYCLE_1)
	s_and_b32 s11, exec_lo, s12
	s_or_b32 s50, s11, s50
	s_and_not1_b32 s11, s49, exec_lo
	s_and_b32 s12, s51, exec_lo
	s_delay_alu instid0(SALU_CYCLE_1)
	s_or_b32 s49, s11, s12
	s_and_not1_b32 exec_lo, exec_lo, s50
	s_cbranch_execz .LBB119_30
.LBB119_24:                             ;   Parent Loop BB119_11 Depth=1
                                        ;     Parent Loop BB119_18 Depth=2
                                        ; =>    This Inner Loop Header: Depth=3
	global_load_b64 v[36:37], v[32:33], off
	v_mov_b64_e32 v[38:39], v[40:41]
	s_wait_loadcnt 0x0
	v_sub_nc_u64_e64 v[36:37], v[36:37], s[44:45]
	s_delay_alu instid0(VALU_DEP_1)
	v_cmp_lt_i64_e64 s11, v[36:37], v[16:17]
	v_cmp_ge_i64_e64 s12, v[36:37], v[18:19]
	v_cmp_lt_i64_e32 vcc_lo, v[36:37], v[18:19]
	s_or_b32 s12, s11, s12
	s_mov_b32 s11, 0
	s_wait_xcnt 0x0
	s_and_saveexec_b32 s52, s12
	s_delay_alu instid0(SALU_CYCLE_1)
	s_xor_b32 s12, exec_lo, s52
; %bb.25:                               ;   in Loop: Header=BB119_24 Depth=3
	s_and_b32 s11, vcc_lo, exec_lo
; %bb.26:                               ;   in Loop: Header=BB119_24 Depth=3
	s_and_not1_saveexec_b32 s12, s12
	s_cbranch_execz .LBB119_28
; %bb.27:                               ;   in Loop: Header=BB119_24 Depth=3
	global_load_b64 v[40:41], v[34:35], off
	v_sub_nc_u32_e32 v49, v36, v16
	s_or_b32 s11, s11, exec_lo
	s_delay_alu instid0(VALU_DEP_1)
	v_lshlrev_b32_e32 v50, 3, v49
	ds_store_b8 v49, v48 offset:16384
	s_wait_loadcnt 0x0
	v_mul_f64_e32 v[40:41], v[30:31], v[40:41]
	ds_add_f64 v50, v[40:41]
.LBB119_28:                             ;   in Loop: Header=BB119_24 Depth=3
	s_wait_xcnt 0x0
	s_or_b32 exec_lo, exec_lo, s12
	s_mov_b32 s12, -1
	s_or_b32 s51, s51, exec_lo
                                        ; implicit-def: $vgpr40_vgpr41
	s_and_saveexec_b32 s52, s11
	s_cbranch_execz .LBB119_23
; %bb.29:                               ;   in Loop: Header=BB119_24 Depth=3
	v_add_nc_u64_e32 v[40:41], 16, v[38:39]
	v_add_nc_u64_e32 v[32:33], 0x80, v[32:33]
	v_add_nc_u64_e32 v[34:35], 0x80, v[34:35]
	s_and_not1_b32 s51, s51, exec_lo
	s_delay_alu instid0(VALU_DEP_3)
	v_cmp_ge_i64_e32 vcc_lo, v[40:41], v[28:29]
	s_or_not1_b32 s12, vcc_lo, exec_lo
	s_branch .LBB119_23
.LBB119_30:                             ;   in Loop: Header=BB119_18 Depth=2
	s_or_b32 exec_lo, exec_lo, s50
	s_and_saveexec_b32 s11, s49
	s_delay_alu instid0(SALU_CYCLE_1)
	s_xor_b32 s11, exec_lo, s11
	s_cbranch_execz .LBB119_32
; %bb.31:                               ;   in Loop: Header=BB119_18 Depth=2
	v_min_i64 v[20:21], v[36:37], v[20:21]
	v_mov_b64_e32 v[26:27], v[38:39]
.LBB119_32:                             ;   in Loop: Header=BB119_18 Depth=2
	s_or_b32 exec_lo, exec_lo, s11
.LBB119_33:                             ;   in Loop: Header=BB119_18 Depth=2
	s_delay_alu instid0(SALU_CYCLE_1)
	s_or_b32 exec_lo, exec_lo, s48
	ds_bpermute_b32 v28, v42, v26
	ds_bpermute_b32 v29, v42, v27
	s_wait_dscnt 0x0
	v_min_i64 v[26:27], v[28:29], v[26:27]
	ds_bpermute_b32 v28, v43, v26
	ds_bpermute_b32 v29, v43, v27
	s_wait_dscnt 0x0
	v_min_i64 v[26:27], v[28:29], v[26:27]
	;; [unrolled: 4-line block ×3, first 2 shown]
	ds_bpermute_b32 v28, v45, v26
	ds_bpermute_b32 v29, v45, v27
	s_and_saveexec_b32 s11, s3
	s_cbranch_execz .LBB119_17
; %bb.34:                               ;   in Loop: Header=BB119_18 Depth=2
	s_wait_dscnt 0x0
	v_min_i64 v[26:27], v[28:29], v[26:27]
	global_store_b64 v[24:25], v[26:27], off
	s_branch .LBB119_17
.LBB119_35:                             ;   in Loop: Header=BB119_18 Depth=2
                                        ; implicit-def: $vgpr26_vgpr27
	s_wait_loadcnt 0x1
	v_sub_nc_u64_e64 v[28:29], v[28:29], s[28:29]
	s_delay_alu instid0(VALU_DEP_1)
	v_lshl_add_u64 v[28:29], v[28:29], 3, s[24:25]
	s_branch .LBB119_20
.LBB119_36:                             ;   in Loop: Header=BB119_11 Depth=1
	s_or_b32 exec_lo, exec_lo, s31
.LBB119_37:                             ;   in Loop: Header=BB119_11 Depth=1
	s_delay_alu instid0(SALU_CYCLE_1) | instskip(NEXT) | instid1(SALU_CYCLE_1)
	s_or_b32 exec_lo, exec_lo, s13
	s_and_not1_b32 vcc_lo, exec_lo, s33
	s_cbranch_vccnz .LBB119_51
; %bb.38:                               ;   in Loop: Header=BB119_11 Depth=1
	s_load_b128 s[48:51], s[18:19], 0x0
	s_mov_b32 s31, exec_lo
	s_wait_kmcnt 0x0
	v_add_nc_u64_e32 v[22:23], s[48:49], v[12:13]
	s_sub_nc_u64 s[12:13], s[50:51], s[46:47]
	s_delay_alu instid0(VALU_DEP_1) | instid1(SALU_CYCLE_1)
	v_cmpx_gt_i64_e64 s[12:13], v[22:23]
	s_cbranch_execz .LBB119_50
; %bb.39:                               ;   in Loop: Header=BB119_11 Depth=1
	v_lshlrev_b64_e32 v[26:27], 3, v[22:23]
	s_mov_b32 s48, 0
                                        ; implicit-def: $sgpr49
                                        ; implicit-def: $sgpr50
	s_delay_alu instid0(VALU_DEP_1)
	v_add_nc_u64_e32 v[24:25], s[14:15], v[26:27]
	v_add_nc_u64_e32 v[26:27], s[16:17], v[26:27]
	s_branch .LBB119_41
.LBB119_40:                             ;   in Loop: Header=BB119_41 Depth=2
	s_or_b32 exec_lo, exec_lo, s51
	s_delay_alu instid0(SALU_CYCLE_1) | instskip(NEXT) | instid1(SALU_CYCLE_1)
	s_and_b32 s10, exec_lo, s11
	s_or_b32 s48, s10, s48
	s_and_not1_b32 s10, s49, exec_lo
	s_and_b32 s11, s50, exec_lo
	s_delay_alu instid0(SALU_CYCLE_1)
	s_or_b32 s49, s10, s11
	s_and_not1_b32 exec_lo, exec_lo, s48
	s_cbranch_execz .LBB119_47
.LBB119_41:                             ;   Parent Loop BB119_11 Depth=1
                                        ; =>  This Inner Loop Header: Depth=2
	s_wait_dscnt 0x0
	global_load_b64 v[28:29], v[24:25], off
	s_wait_loadcnt 0x0
	v_sub_nc_u64_e64 v[28:29], v[28:29], s[46:47]
	s_delay_alu instid0(VALU_DEP_1)
	v_cmp_lt_i64_e64 s10, v[28:29], v[16:17]
	v_cmp_ge_i64_e64 s11, v[28:29], v[18:19]
	v_cmp_lt_i64_e32 vcc_lo, v[28:29], v[18:19]
	s_or_b32 s11, s10, s11
	s_mov_b32 s10, 0
	s_wait_xcnt 0x0
	s_and_saveexec_b32 s51, s11
	s_delay_alu instid0(SALU_CYCLE_1)
	s_xor_b32 s11, exec_lo, s51
; %bb.42:                               ;   in Loop: Header=BB119_41 Depth=2
	s_and_b32 s10, vcc_lo, exec_lo
; %bb.43:                               ;   in Loop: Header=BB119_41 Depth=2
	s_and_not1_saveexec_b32 s11, s11
	s_cbranch_execz .LBB119_45
; %bb.44:                               ;   in Loop: Header=BB119_41 Depth=2
	global_load_b64 v[30:31], v[26:27], off
	v_sub_nc_u32_e32 v32, v28, v16
	s_or_b32 s10, s10, exec_lo
	ds_store_b8 v32, v48 offset:16384
	s_wait_loadcnt 0x0
	v_dual_mul_f64 v[30:31], v[4:5], v[30:31] :: v_dual_lshlrev_b32 v33, 3, v32
	ds_add_f64 v33, v[30:31]
.LBB119_45:                             ;   in Loop: Header=BB119_41 Depth=2
	s_wait_xcnt 0x0
	s_or_b32 exec_lo, exec_lo, s11
	s_mov_b32 s11, -1
	s_or_b32 s50, s50, exec_lo
	s_and_saveexec_b32 s51, s10
	s_cbranch_execz .LBB119_40
; %bb.46:                               ;   in Loop: Header=BB119_41 Depth=2
	v_add_nc_u64_e32 v[22:23], 0x200, v[22:23]
	v_add_nc_u64_e32 v[24:25], 0x1000, v[24:25]
	;; [unrolled: 1-line block ×3, first 2 shown]
	s_and_not1_b32 s50, s50, exec_lo
	s_delay_alu instid0(VALU_DEP_3)
	v_cmp_le_i64_e32 vcc_lo, s[12:13], v[22:23]
	s_or_not1_b32 s11, vcc_lo, exec_lo
	s_branch .LBB119_40
.LBB119_47:                             ;   in Loop: Header=BB119_11 Depth=1
	s_or_b32 exec_lo, exec_lo, s48
	s_and_saveexec_b32 s10, s49
	s_delay_alu instid0(SALU_CYCLE_1)
	s_xor_b32 s10, exec_lo, s10
; %bb.48:                               ;   in Loop: Header=BB119_11 Depth=1
	v_min_i64 v[20:21], v[28:29], v[20:21]
; %bb.49:                               ;   in Loop: Header=BB119_11 Depth=1
	s_or_b32 exec_lo, exec_lo, s10
.LBB119_50:                             ;   in Loop: Header=BB119_11 Depth=1
	s_delay_alu instid0(SALU_CYCLE_1)
	s_or_b32 exec_lo, exec_lo, s31
.LBB119_51:                             ;   in Loop: Header=BB119_11 Depth=1
	ds_bpermute_b32 v16, v42, v20
	ds_bpermute_b32 v17, v42, v21
	s_wait_dscnt 0x0
	v_min_i64 v[16:17], v[16:17], v[20:21]
	ds_bpermute_b32 v18, v43, v16
	ds_bpermute_b32 v19, v43, v17
	s_wait_dscnt 0x0
	v_min_i64 v[16:17], v[18:19], v[16:17]
	ds_bpermute_b32 v18, v44, v16
	ds_bpermute_b32 v19, v44, v17
	s_wait_dscnt 0x0
	v_min_i64 v[16:17], v[18:19], v[16:17]
	ds_bpermute_b32 v18, v45, v16
	ds_bpermute_b32 v19, v45, v17
	s_and_saveexec_b32 s10, s3
	s_cbranch_execz .LBB119_56
; %bb.52:                               ;   in Loop: Header=BB119_11 Depth=1
	s_wait_dscnt 0x0
	v_min_i64 v[18:19], v[18:19], v[16:17]
	v_mov_b64_e32 v[16:17], -1
	s_mov_b32 s11, exec_lo
.LBB119_53:                             ;   Parent Loop BB119_11 Depth=1
                                        ; =>  This Inner Loop Header: Depth=2
	s_delay_alu instid0(SALU_CYCLE_1)
	s_ctz_i32_b32 s31, s11
	s_delay_alu instid0(VALU_DEP_2) | instid1(SALU_CYCLE_1)
	v_readlane_b32 s13, v19, s31
	s_delay_alu instid0(VALU_DEP_3) | instskip(NEXT) | instid1(VALU_DEP_1)
	v_readlane_b32 s12, v18, s31
	v_min_u64 v[16:17], v[16:17], s[12:13]
	s_lshl_b32 s12, 1, s31
	s_delay_alu instid0(SALU_CYCLE_1) | instskip(NEXT) | instid1(SALU_CYCLE_1)
	s_and_not1_b32 s11, s11, s12
	s_cmp_lg_u32 s11, 0
	s_cbranch_scc1 .LBB119_53
; %bb.54:                               ;   in Loop: Header=BB119_11 Depth=1
	v_mbcnt_lo_u32_b32 v18, exec_lo, 0
	s_mov_b32 s11, exec_lo
	s_delay_alu instid0(VALU_DEP_1)
	v_cmpx_eq_u32_e32 0, v18
	s_xor_b32 s11, exec_lo, s11
; %bb.55:                               ;   in Loop: Header=BB119_11 Depth=1
	ds_min_u64 v7, v[16:17] offset:18432
.LBB119_56:                             ;   in Loop: Header=BB119_11 Depth=1
	s_or_b32 exec_lo, exec_lo, s10
	v_dual_mov_b32 v20, v47 :: v_dual_mov_b32 v21, v46
	s_mov_b32 s10, 0
	s_wait_storecnt_dscnt 0x0
	s_barrier_signal -1
	s_barrier_wait -1
	s_branch .LBB119_58
.LBB119_57:                             ;   in Loop: Header=BB119_58 Depth=2
	s_or_b32 exec_lo, exec_lo, s11
	s_wait_storecnt_dscnt 0x0
	s_barrier_signal -1
	s_barrier_wait -1
	ds_load_b32 v16, v7 offset:28
	v_add_nc_u32_e32 v21, 0x200, v21
	v_add_nc_u32_e32 v20, 0x1000, v20
	s_delay_alu instid0(VALU_DEP_2) | instskip(SKIP_3) | instid1(VALU_DEP_1)
	v_cmp_lt_u32_e32 vcc_lo, 0x5ff, v21
	s_or_b32 s10, vcc_lo, s10
	s_wait_dscnt 0x0
	v_ashrrev_i32_e32 v17, 31, v16
	v_add_nc_u64_e32 v[0:1], v[0:1], v[16:17]
	s_and_not1_b32 exec_lo, exec_lo, s10
	s_cbranch_execz .LBB119_10
.LBB119_58:                             ;   Parent Loop BB119_11 Depth=1
                                        ; =>  This Inner Loop Header: Depth=2
	ds_load_u8 v18, v21 offset:16896
	ds_load_b64 v[16:17], v20
	s_wait_dscnt 0x0
	s_barrier_signal -1
	s_barrier_wait -1
	v_cmp_ne_u16_e32 vcc_lo, 0, v18
	s_bcnt1_i32_b32 s11, vcc_lo
	s_delay_alu instid0(SALU_CYCLE_1)
	v_mov_b32_e32 v19, s11
	s_mov_b32 s11, exec_lo
	ds_store_b32 v11, v19
	s_wait_dscnt 0x0
	s_barrier_signal -1
	s_barrier_wait -1
	ds_load_b128 v[22:25], v7
	ds_load_b96 v[26:28], v7 offset:16
	v_and_b32_e32 v19, vcc_lo, v10
	s_wait_dscnt 0x1
	v_cndmask_b32_e64 v22, v22, 0, s2
	v_cndmask_b32_e64 v23, v23, 0, s4
	;; [unrolled: 1-line block ×3, first 2 shown]
	s_delay_alu instid0(VALU_DEP_3) | instskip(SKIP_3) | instid1(VALU_DEP_3)
	v_bcnt_u32_b32 v19, v19, v22
	v_cndmask_b32_e64 v22, v25, 0, s6
	s_wait_dscnt 0x0
	v_cndmask_b32_e64 v25, v26, 0, s7
	v_add3_u32 v19, v19, v23, v24
	v_cndmask_b32_e64 v23, v27, 0, s8
	v_cndmask_b32_e64 v24, v28, 0, s9
	s_delay_alu instid0(VALU_DEP_3) | instskip(SKIP_1) | instid1(VALU_DEP_2)
	v_add3_u32 v19, v19, v22, v25
	v_and_b32_e32 v22, 1, v18
	v_add3_u32 v18, v19, v23, v24
	s_delay_alu instid0(VALU_DEP_2)
	v_cmpx_eq_u32_e32 1, v22
	s_cbranch_execz .LBB119_60
; %bb.59:                               ;   in Loop: Header=BB119_58 Depth=2
	v_lshl_add_u64 v[22:23], v[0:1], 3, s[36:37]
	s_delay_alu instid0(VALU_DEP_3) | instskip(NEXT) | instid1(VALU_DEP_1)
	v_ashrrev_i32_e32 v19, 31, v18
	v_lshl_add_u64 v[22:23], v[18:19], 3, v[22:23]
	global_store_b64 v[22:23], v[16:17], off offset:-8
.LBB119_60:                             ;   in Loop: Header=BB119_58 Depth=2
	s_wait_xcnt 0x0
	s_or_b32 exec_lo, exec_lo, s11
	s_and_saveexec_b32 s11, s1
	s_cbranch_execz .LBB119_57
; %bb.61:                               ;   in Loop: Header=BB119_58 Depth=2
	ds_store_b32 v7, v18 offset:28
	s_branch .LBB119_57
.LBB119_62:
	s_endpgm
	.section	.rodata,"a",@progbits
	.p2align	6, 0x0
	.amdhsa_kernel _ZN9rocsparseL51csrgemm_numeric_fill_block_per_row_multipass_kernelILj512ELj16ELj2048ELj64ElldEEvT4_PKS1_S3_NS_24const_host_device_scalarIT5_EEPKT3_S3_PKS5_S9_S3_SB_S6_S9_S3_SB_S9_S3_PS5_PS7_21rocsparse_index_base_SE_SE_SE_bbb
		.amdhsa_group_segment_fixed_size 18440
		.amdhsa_private_segment_fixed_size 0
		.amdhsa_kernarg_size 164
		.amdhsa_user_sgpr_count 2
		.amdhsa_user_sgpr_dispatch_ptr 0
		.amdhsa_user_sgpr_queue_ptr 0
		.amdhsa_user_sgpr_kernarg_segment_ptr 1
		.amdhsa_user_sgpr_dispatch_id 0
		.amdhsa_user_sgpr_kernarg_preload_length 0
		.amdhsa_user_sgpr_kernarg_preload_offset 0
		.amdhsa_user_sgpr_private_segment_size 0
		.amdhsa_wavefront_size32 1
		.amdhsa_uses_dynamic_stack 0
		.amdhsa_enable_private_segment 0
		.amdhsa_system_sgpr_workgroup_id_x 1
		.amdhsa_system_sgpr_workgroup_id_y 0
		.amdhsa_system_sgpr_workgroup_id_z 0
		.amdhsa_system_sgpr_workgroup_info 0
		.amdhsa_system_vgpr_workitem_id 0
		.amdhsa_next_free_vgpr 51
		.amdhsa_next_free_sgpr 53
		.amdhsa_named_barrier_count 0
		.amdhsa_reserve_vcc 1
		.amdhsa_float_round_mode_32 0
		.amdhsa_float_round_mode_16_64 0
		.amdhsa_float_denorm_mode_32 3
		.amdhsa_float_denorm_mode_16_64 3
		.amdhsa_fp16_overflow 0
		.amdhsa_memory_ordered 1
		.amdhsa_forward_progress 1
		.amdhsa_inst_pref_size 22
		.amdhsa_round_robin_scheduling 0
		.amdhsa_exception_fp_ieee_invalid_op 0
		.amdhsa_exception_fp_denorm_src 0
		.amdhsa_exception_fp_ieee_div_zero 0
		.amdhsa_exception_fp_ieee_overflow 0
		.amdhsa_exception_fp_ieee_underflow 0
		.amdhsa_exception_fp_ieee_inexact 0
		.amdhsa_exception_int_div_zero 0
	.end_amdhsa_kernel
	.section	.text._ZN9rocsparseL51csrgemm_numeric_fill_block_per_row_multipass_kernelILj512ELj16ELj2048ELj64ElldEEvT4_PKS1_S3_NS_24const_host_device_scalarIT5_EEPKT3_S3_PKS5_S9_S3_SB_S6_S9_S3_SB_S9_S3_PS5_PS7_21rocsparse_index_base_SE_SE_SE_bbb,"axG",@progbits,_ZN9rocsparseL51csrgemm_numeric_fill_block_per_row_multipass_kernelILj512ELj16ELj2048ELj64ElldEEvT4_PKS1_S3_NS_24const_host_device_scalarIT5_EEPKT3_S3_PKS5_S9_S3_SB_S6_S9_S3_SB_S9_S3_PS5_PS7_21rocsparse_index_base_SE_SE_SE_bbb,comdat
.Lfunc_end119:
	.size	_ZN9rocsparseL51csrgemm_numeric_fill_block_per_row_multipass_kernelILj512ELj16ELj2048ELj64ElldEEvT4_PKS1_S3_NS_24const_host_device_scalarIT5_EEPKT3_S3_PKS5_S9_S3_SB_S6_S9_S3_SB_S9_S3_PS5_PS7_21rocsparse_index_base_SE_SE_SE_bbb, .Lfunc_end119-_ZN9rocsparseL51csrgemm_numeric_fill_block_per_row_multipass_kernelILj512ELj16ELj2048ELj64ElldEEvT4_PKS1_S3_NS_24const_host_device_scalarIT5_EEPKT3_S3_PKS5_S9_S3_SB_S6_S9_S3_SB_S9_S3_PS5_PS7_21rocsparse_index_base_SE_SE_SE_bbb
                                        ; -- End function
	.set _ZN9rocsparseL51csrgemm_numeric_fill_block_per_row_multipass_kernelILj512ELj16ELj2048ELj64ElldEEvT4_PKS1_S3_NS_24const_host_device_scalarIT5_EEPKT3_S3_PKS5_S9_S3_SB_S6_S9_S3_SB_S9_S3_PS5_PS7_21rocsparse_index_base_SE_SE_SE_bbb.num_vgpr, 51
	.set _ZN9rocsparseL51csrgemm_numeric_fill_block_per_row_multipass_kernelILj512ELj16ELj2048ELj64ElldEEvT4_PKS1_S3_NS_24const_host_device_scalarIT5_EEPKT3_S3_PKS5_S9_S3_SB_S6_S9_S3_SB_S9_S3_PS5_PS7_21rocsparse_index_base_SE_SE_SE_bbb.num_agpr, 0
	.set _ZN9rocsparseL51csrgemm_numeric_fill_block_per_row_multipass_kernelILj512ELj16ELj2048ELj64ElldEEvT4_PKS1_S3_NS_24const_host_device_scalarIT5_EEPKT3_S3_PKS5_S9_S3_SB_S6_S9_S3_SB_S9_S3_PS5_PS7_21rocsparse_index_base_SE_SE_SE_bbb.numbered_sgpr, 53
	.set _ZN9rocsparseL51csrgemm_numeric_fill_block_per_row_multipass_kernelILj512ELj16ELj2048ELj64ElldEEvT4_PKS1_S3_NS_24const_host_device_scalarIT5_EEPKT3_S3_PKS5_S9_S3_SB_S6_S9_S3_SB_S9_S3_PS5_PS7_21rocsparse_index_base_SE_SE_SE_bbb.num_named_barrier, 0
	.set _ZN9rocsparseL51csrgemm_numeric_fill_block_per_row_multipass_kernelILj512ELj16ELj2048ELj64ElldEEvT4_PKS1_S3_NS_24const_host_device_scalarIT5_EEPKT3_S3_PKS5_S9_S3_SB_S6_S9_S3_SB_S9_S3_PS5_PS7_21rocsparse_index_base_SE_SE_SE_bbb.private_seg_size, 0
	.set _ZN9rocsparseL51csrgemm_numeric_fill_block_per_row_multipass_kernelILj512ELj16ELj2048ELj64ElldEEvT4_PKS1_S3_NS_24const_host_device_scalarIT5_EEPKT3_S3_PKS5_S9_S3_SB_S6_S9_S3_SB_S9_S3_PS5_PS7_21rocsparse_index_base_SE_SE_SE_bbb.uses_vcc, 1
	.set _ZN9rocsparseL51csrgemm_numeric_fill_block_per_row_multipass_kernelILj512ELj16ELj2048ELj64ElldEEvT4_PKS1_S3_NS_24const_host_device_scalarIT5_EEPKT3_S3_PKS5_S9_S3_SB_S6_S9_S3_SB_S9_S3_PS5_PS7_21rocsparse_index_base_SE_SE_SE_bbb.uses_flat_scratch, 0
	.set _ZN9rocsparseL51csrgemm_numeric_fill_block_per_row_multipass_kernelILj512ELj16ELj2048ELj64ElldEEvT4_PKS1_S3_NS_24const_host_device_scalarIT5_EEPKT3_S3_PKS5_S9_S3_SB_S6_S9_S3_SB_S9_S3_PS5_PS7_21rocsparse_index_base_SE_SE_SE_bbb.has_dyn_sized_stack, 0
	.set _ZN9rocsparseL51csrgemm_numeric_fill_block_per_row_multipass_kernelILj512ELj16ELj2048ELj64ElldEEvT4_PKS1_S3_NS_24const_host_device_scalarIT5_EEPKT3_S3_PKS5_S9_S3_SB_S6_S9_S3_SB_S9_S3_PS5_PS7_21rocsparse_index_base_SE_SE_SE_bbb.has_recursion, 0
	.set _ZN9rocsparseL51csrgemm_numeric_fill_block_per_row_multipass_kernelILj512ELj16ELj2048ELj64ElldEEvT4_PKS1_S3_NS_24const_host_device_scalarIT5_EEPKT3_S3_PKS5_S9_S3_SB_S6_S9_S3_SB_S9_S3_PS5_PS7_21rocsparse_index_base_SE_SE_SE_bbb.has_indirect_call, 0
	.section	.AMDGPU.csdata,"",@progbits
; Kernel info:
; codeLenInByte = 2692
; TotalNumSgprs: 55
; NumVgprs: 51
; ScratchSize: 0
; MemoryBound: 0
; FloatMode: 240
; IeeeMode: 1
; LDSByteSize: 18440 bytes/workgroup (compile time only)
; SGPRBlocks: 0
; VGPRBlocks: 3
; NumSGPRsForWavesPerEU: 55
; NumVGPRsForWavesPerEU: 51
; NamedBarCnt: 0
; Occupancy: 16
; WaveLimiterHint : 1
; COMPUTE_PGM_RSRC2:SCRATCH_EN: 0
; COMPUTE_PGM_RSRC2:USER_SGPR: 2
; COMPUTE_PGM_RSRC2:TRAP_HANDLER: 0
; COMPUTE_PGM_RSRC2:TGID_X_EN: 1
; COMPUTE_PGM_RSRC2:TGID_Y_EN: 0
; COMPUTE_PGM_RSRC2:TGID_Z_EN: 0
; COMPUTE_PGM_RSRC2:TIDIG_COMP_CNT: 0
	.section	.text._ZN9rocsparseL38csrgemm_numeric_fill_wf_per_row_kernelILj256ELj8ELj16ELj137Ell21rocsparse_complex_numIfEEEvT4_S3_PKS3_S5_NS_24const_host_device_scalarIT5_EEPKT3_S5_PKS7_SB_S5_SD_S8_SB_S5_SD_SB_S5_PS7_21rocsparse_index_base_SF_SF_SF_bbb,"axG",@progbits,_ZN9rocsparseL38csrgemm_numeric_fill_wf_per_row_kernelILj256ELj8ELj16ELj137Ell21rocsparse_complex_numIfEEEvT4_S3_PKS3_S5_NS_24const_host_device_scalarIT5_EEPKT3_S5_PKS7_SB_S5_SD_S8_SB_S5_SD_SB_S5_PS7_21rocsparse_index_base_SF_SF_SF_bbb,comdat
	.globl	_ZN9rocsparseL38csrgemm_numeric_fill_wf_per_row_kernelILj256ELj8ELj16ELj137Ell21rocsparse_complex_numIfEEEvT4_S3_PKS3_S5_NS_24const_host_device_scalarIT5_EEPKT3_S5_PKS7_SB_S5_SD_S8_SB_S5_SD_SB_S5_PS7_21rocsparse_index_base_SF_SF_SF_bbb ; -- Begin function _ZN9rocsparseL38csrgemm_numeric_fill_wf_per_row_kernelILj256ELj8ELj16ELj137Ell21rocsparse_complex_numIfEEEvT4_S3_PKS3_S5_NS_24const_host_device_scalarIT5_EEPKT3_S5_PKS7_SB_S5_SD_S8_SB_S5_SD_SB_S5_PS7_21rocsparse_index_base_SF_SF_SF_bbb
	.p2align	8
	.type	_ZN9rocsparseL38csrgemm_numeric_fill_wf_per_row_kernelILj256ELj8ELj16ELj137Ell21rocsparse_complex_numIfEEEvT4_S3_PKS3_S5_NS_24const_host_device_scalarIT5_EEPKT3_S5_PKS7_SB_S5_SD_S8_SB_S5_SD_SB_S5_PS7_21rocsparse_index_base_SF_SF_SF_bbb,@function
_ZN9rocsparseL38csrgemm_numeric_fill_wf_per_row_kernelILj256ELj8ELj16ELj137Ell21rocsparse_complex_numIfEEEvT4_S3_PKS3_S5_NS_24const_host_device_scalarIT5_EEPKT3_S5_PKS7_SB_S5_SD_S8_SB_S5_SD_SB_S5_PS7_21rocsparse_index_base_SF_SF_SF_bbb: ; @_ZN9rocsparseL38csrgemm_numeric_fill_wf_per_row_kernelILj256ELj8ELj16ELj137Ell21rocsparse_complex_numIfEEEvT4_S3_PKS3_S5_NS_24const_host_device_scalarIT5_EEPKT3_S5_PKS7_SB_S5_SD_S8_SB_S5_SD_SB_S5_PS7_21rocsparse_index_base_SF_SF_SF_bbb
; %bb.0:
	s_clause 0x3
	s_load_b32 s33, s[0:1], 0xa0
	s_load_b128 s[20:23], s[0:1], 0x90
	s_load_b64 s[34:35], s[0:1], 0x10
	s_load_b64 s[2:3], s[0:1], 0x58
	s_mov_b32 s31, 0
	s_mov_b32 s38, 0
	s_wait_kmcnt 0x0
	s_bitcmp1_b32 s33, 0
	s_cselect_b32 s40, -1, 0
	s_bitcmp1_b32 s33, 16
	s_cselect_b32 s4, -1, 0
	s_delay_alu instid0(SALU_CYCLE_1) | instskip(SKIP_2) | instid1(VALU_DEP_1)
	s_xor_b32 s4, s4, -1
	s_bitcmp0_b32 s33, 0
	v_cndmask_b32_e64 v1, 0, 1, s4
	v_cmp_ne_u32_e32 vcc_lo, 1, v1
	s_cbranch_scc1 .LBB120_5
; %bb.1:
	s_load_b64 s[30:31], s[0:1], 0x20
	s_and_b32 vcc_lo, exec_lo, vcc_lo
	s_wait_kmcnt 0x0
	s_mov_b32 s38, s30
	s_cbranch_vccnz .LBB120_3
; %bb.2:
	s_load_b32 s38, s[30:31], 0x0
.LBB120_3:
	s_and_not1_b32 vcc_lo, exec_lo, s4
	s_cbranch_vccnz .LBB120_5
; %bb.4:
	s_wait_xcnt 0x0
	s_load_b32 s31, s[30:31], 0x4
.LBB120_5:
	s_clause 0x4
	s_load_b64 s[28:29], s[0:1], 0x88
	s_load_b256 s[4:11], s[0:1], 0x60
	s_load_b128 s[24:27], s[0:1], 0x48
	s_load_b64 s[36:37], s[0:1], 0x18
	s_load_b256 s[12:19], s[0:1], 0x28
	s_bitcmp1_b32 s33, 8
	s_wait_xcnt 0x0
	s_mov_b32 s30, 0
	s_cselect_b32 s39, -1, 0
	s_bfe_u32 s33, s33, 0x10008
	s_delay_alu instid0(SALU_CYCLE_1)
	s_cmp_eq_u32 s33, 0
	s_mov_b32 s33, 0
	s_cbranch_scc1 .LBB120_11
; %bb.6:
	v_cmp_ne_u32_e32 vcc_lo, 1, v1
	s_mov_b32 s30, s2
	s_cbranch_vccnz .LBB120_8
; %bb.7:
	s_load_b32 s30, s[2:3], 0x0
.LBB120_8:
	v_cmp_ne_u32_e32 vcc_lo, 1, v1
	s_cbranch_vccnz .LBB120_10
; %bb.9:
	s_wait_xcnt 0x0
	s_load_b32 s3, s[2:3], 0x4
.LBB120_10:
	s_wait_kmcnt 0x0
	s_mov_b32 s33, s3
.LBB120_11:
	s_load_b128 s[0:3], s[0:1], 0x0
	v_dual_lshrrev_b32 v7, 3, v0 :: v_dual_bitop2_b32 v6, 7, v0 bitop3:0x40
	s_mov_b32 s41, 0
	s_delay_alu instid0(VALU_DEP_1) | instskip(NEXT) | instid1(VALU_DEP_1)
	v_dual_lshlrev_b32 v0, 3, v6 :: v_dual_bitop2_b32 v23, -8, v6 bitop3:0x54
	v_lshl_or_b32 v22, v7, 7, v0
	v_mov_b64_e32 v[0:1], 0
	s_delay_alu instid0(VALU_DEP_2)
	v_dual_mov_b32 v5, v23 :: v_dual_mov_b32 v4, v22
	s_wait_kmcnt 0x0
	v_mov_b64_e32 v[2:3], s[2:3]
.LBB120_12:                             ; =>This Inner Loop Header: Depth=1
	s_delay_alu instid0(VALU_DEP_2) | instskip(SKIP_4) | instid1(SALU_CYCLE_1)
	v_add_co_u32 v5, s42, v5, 8
	s_xor_b32 s42, s42, -1
	ds_store_2addr_stride64_b64 v4, v[0:1], v[2:3] offset1:8
	v_add_nc_u32_e32 v4, 64, v4
	s_and_b32 s42, exec_lo, s42
	s_or_b32 s41, s42, s41
	s_delay_alu instid0(SALU_CYCLE_1)
	s_and_not1_b32 exec_lo, exec_lo, s41
	s_cbranch_execnz .LBB120_12
; %bb.13:
	s_or_b32 exec_lo, exec_lo, s41
	s_bfe_u32 s41, ttmp6, 0x4000c
	s_and_b32 s42, ttmp6, 15
	s_add_co_i32 s41, s41, 1
	s_getreg_b32 s43, hwreg(HW_REG_IB_STS2, 6, 4)
	s_mul_i32 s41, ttmp9, s41
	v_mov_b32_e32 v5, 0
	s_add_co_i32 s42, s42, s41
	s_cmp_eq_u32 s43, 0
	s_wait_dscnt 0x0
	s_cselect_b32 s41, ttmp9, s42
	s_delay_alu instid0(SALU_CYCLE_1) | instskip(NEXT) | instid1(SALU_CYCLE_1)
	s_lshl_b32 s41, s41, 5
	v_and_or_b32 v4, 0x1fffffe0, s41, v7
	s_delay_alu instid0(VALU_DEP_1)
	v_cmp_gt_i64_e32 vcc_lo, s[0:1], v[4:5]
	s_and_saveexec_b32 s0, vcc_lo
	s_cbranch_execz .LBB120_57
; %bb.14:
	s_cmp_eq_u64 s[36:37], 0
	s_cbranch_scc1 .LBB120_16
; %bb.15:
	s_load_b64 s[0:1], s[34:35], 0x0
	s_wait_kmcnt 0x0
	s_lshl_b64 s[0:1], s[0:1], 3
	s_delay_alu instid0(SALU_CYCLE_1)
	s_add_nc_u64 s[0:1], s[36:37], s[0:1]
	global_load_b64 v[4:5], v4, s[0:1] scale_offset
.LBB120_16:
	v_lshlrev_b32_e32 v25, 7, v7
	s_and_not1_b32 vcc_lo, exec_lo, s40
	s_delay_alu instid0(VALU_DEP_1)
	v_or_b32_e32 v24, 0x1000, v25
	s_cbranch_vccnz .LBB120_36
; %bb.17:
	s_wait_loadcnt 0x0
	v_lshl_add_u64 v[0:1], v[4:5], 3, s[12:13]
	v_mov_b32_e32 v7, 0
	s_mov_b32 s1, 0
	s_mov_b32 s0, s20
	s_mov_b32 s20, exec_lo
	global_load_b128 v[0:3], v[0:1], off
	v_sub_nc_u64_e64 v[10:11], v[6:7], s[0:1]
	s_wait_loadcnt 0x0
	v_sub_nc_u64_e64 v[8:9], v[2:3], s[0:1]
	s_delay_alu instid0(VALU_DEP_2) | instskip(NEXT) | instid1(VALU_DEP_1)
	v_add_nc_u64_e32 v[10:11], v[0:1], v[10:11]
	v_cmpx_lt_i64_e64 v[10:11], v[8:9]
	s_cbranch_execz .LBB120_35
; %bb.18:
	s_mov_b32 s12, s21
	s_mov_b32 s13, s1
	;; [unrolled: 1-line block ×3, first 2 shown]
	s_branch .LBB120_20
.LBB120_19:                             ;   in Loop: Header=BB120_20 Depth=1
	s_or_b32 exec_lo, exec_lo, s34
	v_add_nc_u64_e32 v[10:11], 8, v[10:11]
	s_delay_alu instid0(VALU_DEP_1) | instskip(SKIP_1) | instid1(SALU_CYCLE_1)
	v_cmp_ge_i64_e32 vcc_lo, v[10:11], v[8:9]
	s_or_b32 s21, vcc_lo, s21
	s_and_not1_b32 exec_lo, exec_lo, s21
	s_cbranch_execz .LBB120_35
.LBB120_20:                             ; =>This Loop Header: Depth=1
                                        ;     Child Loop BB120_24 Depth 2
                                        ;       Child Loop BB120_27 Depth 3
	v_lshl_add_u64 v[0:1], v[10:11], 3, s[14:15]
	s_mov_b32 s34, exec_lo
	global_load_b64 v[0:1], v[0:1], off
	s_wait_loadcnt 0x0
	s_wait_xcnt 0x0
	v_sub_nc_u64_e64 v[0:1], v[0:1], s[0:1]
	s_delay_alu instid0(VALU_DEP_1)
	v_lshl_add_u64 v[0:1], v[0:1], 3, s[18:19]
	global_load_b128 v[0:3], v[0:1], off
	s_wait_loadcnt 0x0
	s_wait_xcnt 0x0
	v_cmpx_lt_i64_e64 v[0:1], v[2:3]
	s_cbranch_execz .LBB120_19
; %bb.21:                               ;   in Loop: Header=BB120_20 Depth=1
	v_lshl_add_u64 v[12:13], v[10:11], 3, s[16:17]
	v_sub_nc_u64_e64 v[2:3], v[2:3], s[12:13]
	v_sub_nc_u64_e64 v[0:1], v[0:1], s[12:13]
	s_mov_b32 s35, 0
	global_load_b64 v[12:13], v[12:13], off
	s_wait_loadcnt 0x0
	v_mul_f32_e64 v7, v13, -s31
	s_delay_alu instid0(VALU_DEP_1) | instskip(NEXT) | instid1(VALU_DEP_1)
	v_dual_mul_f32 v26, s38, v13 :: v_dual_fmac_f32 v7, s38, v12
	v_fmac_f32_e32 v26, s31, v12
	s_branch .LBB120_24
.LBB120_22:                             ;   in Loop: Header=BB120_24 Depth=2
	s_or_b32 exec_lo, exec_lo, s37
.LBB120_23:                             ;   in Loop: Header=BB120_24 Depth=2
	s_delay_alu instid0(SALU_CYCLE_1) | instskip(SKIP_4) | instid1(VALU_DEP_3)
	s_or_b32 exec_lo, exec_lo, s36
	s_wait_loadcnt 0x0
	v_dual_mul_f32 v15, v13, -v26 :: v_dual_mul_f32 v13, v7, v13
	v_lshl_add_u32 v14, v14, 3, v25
	v_add_nc_u64_e32 v[0:1], 1, v[0:1]
	v_dual_fmac_f32 v15, v7, v12 :: v_dual_fmac_f32 v13, v26, v12
	ds_add_f32 v14, v15
	ds_add_f32 v14, v13 offset:4
	v_cmp_ge_i64_e32 vcc_lo, v[0:1], v[2:3]
	s_or_b32 s35, vcc_lo, s35
	s_delay_alu instid0(SALU_CYCLE_1)
	s_and_not1_b32 exec_lo, exec_lo, s35
	s_cbranch_execz .LBB120_19
.LBB120_24:                             ;   Parent Loop BB120_20 Depth=1
                                        ; =>  This Loop Header: Depth=2
                                        ;       Child Loop BB120_27 Depth 3
	s_wait_xcnt 0x0
	v_lshlrev_b64_e32 v[12:13], 3, v[0:1]
	s_mov_b32 s36, exec_lo
	s_delay_alu instid0(VALU_DEP_1)
	v_add_nc_u64_e32 v[14:15], s[24:25], v[12:13]
	v_add_nc_u64_e32 v[12:13], s[26:27], v[12:13]
	global_load_b64 v[14:15], v[14:15], off
	global_load_b64 v[12:13], v[12:13], off
	s_wait_loadcnt 0x1
	v_sub_nc_u64_e64 v[16:17], v[14:15], s[12:13]
	s_wait_xcnt 0x1
	s_delay_alu instid0(VALU_DEP_1) | instskip(NEXT) | instid1(VALU_DEP_1)
	v_lshl_add_u32 v14, v16, 3, v16
	v_and_b32_e32 v14, 15, v14
	s_delay_alu instid0(VALU_DEP_1)
	v_lshl_add_u32 v27, v14, 3, v24
	ds_load_b64 v[20:21], v27
	s_wait_dscnt 0x0
	s_wait_xcnt 0x0
	v_cmpx_ne_u64_e64 v[20:21], v[16:17]
	s_cbranch_execz .LBB120_23
; %bb.25:                               ;   in Loop: Header=BB120_24 Depth=2
	s_mov_b32 s37, 0
                                        ; implicit-def: $sgpr40
                                        ; implicit-def: $sgpr41
	s_branch .LBB120_27
.LBB120_26:                             ;   in Loop: Header=BB120_27 Depth=3
	s_or_b32 exec_lo, exec_lo, s44
	s_delay_alu instid0(SALU_CYCLE_1) | instskip(NEXT) | instid1(SALU_CYCLE_1)
	s_and_b32 s42, exec_lo, s43
	s_or_b32 s37, s42, s37
	s_and_not1_b32 s40, s40, exec_lo
	s_and_b32 s42, s41, exec_lo
	s_delay_alu instid0(SALU_CYCLE_1)
	s_or_b32 s40, s40, s42
	s_and_not1_b32 exec_lo, exec_lo, s37
	s_cbranch_execz .LBB120_33
.LBB120_27:                             ;   Parent Loop BB120_20 Depth=1
                                        ;     Parent Loop BB120_24 Depth=2
                                        ; =>    This Inner Loop Header: Depth=3
	v_mov_b64_e32 v[18:19], v[14:15]
	s_mov_b32 s42, 0
	s_mov_b32 s43, exec_lo
                                        ; implicit-def: $vgpr14_vgpr15
	v_cmpx_ne_u64_e64 s[2:3], v[20:21]
	s_xor_b32 s43, exec_lo, s43
; %bb.28:                               ;   in Loop: Header=BB120_27 Depth=3
	s_delay_alu instid0(VALU_DEP_2) | instskip(SKIP_1) | instid1(VALU_DEP_1)
	v_add_nc_u32_e32 v14, 1, v18
	s_mov_b32 s42, exec_lo
                                        ; implicit-def: $vgpr27
	v_and_b32_e32 v14, 15, v14
; %bb.29:                               ;   in Loop: Header=BB120_27 Depth=3
	s_and_not1_saveexec_b32 s43, s43
	s_cbranch_execz .LBB120_31
; %bb.30:                               ;   in Loop: Header=BB120_27 Depth=3
	v_mov_b64_e32 v[14:15], s[2:3]
	s_and_not1_b32 s42, s42, exec_lo
	ds_cmpstore_rtn_b64 v[14:15], v27, v[16:17], v[14:15]
	s_wait_dscnt 0x0
	v_cmp_ne_u64_e32 vcc_lo, s[2:3], v[14:15]
	v_mov_b64_e32 v[14:15], v[18:19]
	s_and_b32 s44, vcc_lo, exec_lo
	s_delay_alu instid0(SALU_CYCLE_1)
	s_or_b32 s42, s42, s44
.LBB120_31:                             ;   in Loop: Header=BB120_27 Depth=3
	s_or_b32 exec_lo, exec_lo, s43
	s_mov_b32 s43, -1
	s_or_b32 s41, s41, exec_lo
                                        ; implicit-def: $vgpr27
                                        ; implicit-def: $vgpr20_vgpr21
	s_and_saveexec_b32 s44, s42
	s_cbranch_execz .LBB120_26
; %bb.32:                               ;   in Loop: Header=BB120_27 Depth=3
	v_lshl_add_u32 v27, v14, 3, v24
	s_and_not1_b32 s41, s41, exec_lo
	ds_load_b64 v[20:21], v27
	s_wait_dscnt 0x0
	v_cmp_eq_u64_e32 vcc_lo, v[20:21], v[16:17]
	s_or_not1_b32 s43, vcc_lo, exec_lo
	s_branch .LBB120_26
.LBB120_33:                             ;   in Loop: Header=BB120_24 Depth=2
	s_or_b32 exec_lo, exec_lo, s37
	s_and_saveexec_b32 s37, s40
	s_delay_alu instid0(SALU_CYCLE_1)
	s_xor_b32 s37, exec_lo, s37
	s_cbranch_execz .LBB120_22
; %bb.34:                               ;   in Loop: Header=BB120_24 Depth=2
	v_mov_b32_e32 v14, v18
	s_branch .LBB120_22
.LBB120_35:
	s_or_b32 exec_lo, exec_lo, s20
.LBB120_36:
	s_delay_alu instid0(SALU_CYCLE_1)
	s_and_not1_b32 vcc_lo, exec_lo, s39
	s_cbranch_vccnz .LBB120_53
; %bb.37:
	s_wait_loadcnt 0x0
	v_lshl_add_u64 v[0:1], v[4:5], 3, s[4:5]
	v_mov_b32_e32 v7, 0
	s_mov_b32 s1, 0
	s_mov_b32 s0, s23
	s_mov_b32 s4, exec_lo
	global_load_b128 v[8:11], v[0:1], off
	v_sub_nc_u64_e64 v[2:3], v[6:7], s[0:1]
	s_wait_loadcnt 0x0
	v_sub_nc_u64_e64 v[0:1], v[10:11], s[0:1]
	s_delay_alu instid0(VALU_DEP_2) | instskip(NEXT) | instid1(VALU_DEP_1)
	v_add_nc_u64_e32 v[2:3], v[8:9], v[2:3]
	v_cmpx_lt_i64_e64 v[2:3], v[0:1]
	s_cbranch_execz .LBB120_52
; %bb.38:
	s_mov_b32 s5, s1
	s_branch .LBB120_41
.LBB120_39:                             ;   in Loop: Header=BB120_41 Depth=1
	s_or_b32 exec_lo, exec_lo, s13
.LBB120_40:                             ;   in Loop: Header=BB120_41 Depth=1
	s_delay_alu instid0(SALU_CYCLE_1)
	s_or_b32 exec_lo, exec_lo, s12
	s_wait_loadcnt 0x0
	v_mul_f32_e64 v9, v7, -s33
	v_mul_f32_e32 v7, s30, v7
	v_lshl_add_u32 v8, v8, 3, v25
	v_add_nc_u64_e32 v[2:3], 8, v[2:3]
	s_delay_alu instid0(VALU_DEP_3) | instskip(SKIP_4) | instid1(SALU_CYCLE_1)
	v_dual_fmac_f32 v9, s30, v6 :: v_dual_fmac_f32 v7, s33, v6
	ds_add_f32 v8, v9
	ds_add_f32 v8, v7 offset:4
	v_cmp_ge_i64_e32 vcc_lo, v[2:3], v[0:1]
	s_or_b32 s5, vcc_lo, s5
	s_and_not1_b32 exec_lo, exec_lo, s5
	s_cbranch_execz .LBB120_52
.LBB120_41:                             ; =>This Loop Header: Depth=1
                                        ;     Child Loop BB120_44 Depth 2
	v_lshlrev_b64_e32 v[6:7], 3, v[2:3]
	s_mov_b32 s12, exec_lo
	s_delay_alu instid0(VALU_DEP_1)
	v_add_nc_u64_e32 v[8:9], s[6:7], v[6:7]
	v_add_nc_u64_e32 v[6:7], s[8:9], v[6:7]
	global_load_b64 v[8:9], v[8:9], off
	global_load_b64 v[6:7], v[6:7], off
	s_wait_loadcnt 0x1
	v_sub_nc_u64_e64 v[10:11], v[8:9], s[0:1]
	s_delay_alu instid0(VALU_DEP_1) | instskip(NEXT) | instid1(VALU_DEP_1)
	v_lshl_add_u32 v8, v10, 3, v10
	v_and_b32_e32 v8, 15, v8
	s_delay_alu instid0(VALU_DEP_1)
	v_lshl_add_u32 v16, v8, 3, v24
	ds_load_b64 v[14:15], v16
	s_wait_dscnt 0x0
	s_wait_xcnt 0x0
	v_cmpx_ne_u64_e64 v[14:15], v[10:11]
	s_cbranch_execz .LBB120_40
; %bb.42:                               ;   in Loop: Header=BB120_41 Depth=1
	s_mov_b32 s13, 0
                                        ; implicit-def: $sgpr14
                                        ; implicit-def: $sgpr15
	s_branch .LBB120_44
.LBB120_43:                             ;   in Loop: Header=BB120_44 Depth=2
	s_or_b32 exec_lo, exec_lo, s18
	s_delay_alu instid0(SALU_CYCLE_1) | instskip(NEXT) | instid1(SALU_CYCLE_1)
	s_and_b32 s16, exec_lo, s17
	s_or_b32 s13, s16, s13
	s_and_not1_b32 s14, s14, exec_lo
	s_and_b32 s16, s15, exec_lo
	s_delay_alu instid0(SALU_CYCLE_1)
	s_or_b32 s14, s14, s16
	s_and_not1_b32 exec_lo, exec_lo, s13
	s_cbranch_execz .LBB120_50
.LBB120_44:                             ;   Parent Loop BB120_41 Depth=1
                                        ; =>  This Inner Loop Header: Depth=2
	v_mov_b64_e32 v[12:13], v[8:9]
	s_mov_b32 s16, 0
	s_mov_b32 s17, exec_lo
                                        ; implicit-def: $vgpr8_vgpr9
	v_cmpx_ne_u64_e64 s[2:3], v[14:15]
	s_xor_b32 s17, exec_lo, s17
; %bb.45:                               ;   in Loop: Header=BB120_44 Depth=2
	s_delay_alu instid0(VALU_DEP_2) | instskip(SKIP_1) | instid1(VALU_DEP_1)
	v_add_nc_u32_e32 v8, 1, v12
	s_mov_b32 s16, exec_lo
                                        ; implicit-def: $vgpr16
	v_and_b32_e32 v8, 15, v8
; %bb.46:                               ;   in Loop: Header=BB120_44 Depth=2
	s_and_not1_saveexec_b32 s17, s17
	s_cbranch_execz .LBB120_48
; %bb.47:                               ;   in Loop: Header=BB120_44 Depth=2
	v_mov_b64_e32 v[8:9], s[2:3]
	s_and_not1_b32 s16, s16, exec_lo
	ds_cmpstore_rtn_b64 v[8:9], v16, v[10:11], v[8:9]
	s_wait_dscnt 0x0
	v_cmp_ne_u64_e32 vcc_lo, s[2:3], v[8:9]
	v_mov_b64_e32 v[8:9], v[12:13]
	s_and_b32 s18, vcc_lo, exec_lo
	s_delay_alu instid0(SALU_CYCLE_1)
	s_or_b32 s16, s16, s18
.LBB120_48:                             ;   in Loop: Header=BB120_44 Depth=2
	s_or_b32 exec_lo, exec_lo, s17
	s_mov_b32 s17, -1
	s_or_b32 s15, s15, exec_lo
                                        ; implicit-def: $vgpr16
                                        ; implicit-def: $vgpr14_vgpr15
	s_and_saveexec_b32 s18, s16
	s_cbranch_execz .LBB120_43
; %bb.49:                               ;   in Loop: Header=BB120_44 Depth=2
	v_lshl_add_u32 v16, v8, 3, v24
	s_and_not1_b32 s15, s15, exec_lo
	ds_load_b64 v[14:15], v16
	s_wait_dscnt 0x0
	v_cmp_eq_u64_e32 vcc_lo, v[14:15], v[10:11]
	s_or_not1_b32 s17, vcc_lo, exec_lo
	s_branch .LBB120_43
.LBB120_50:                             ;   in Loop: Header=BB120_41 Depth=1
	s_or_b32 exec_lo, exec_lo, s13
	s_and_saveexec_b32 s13, s14
	s_delay_alu instid0(SALU_CYCLE_1)
	s_xor_b32 s13, exec_lo, s13
	s_cbranch_execz .LBB120_39
; %bb.51:                               ;   in Loop: Header=BB120_41 Depth=1
	v_mov_b32_e32 v8, v12
	s_branch .LBB120_39
.LBB120_52:
	s_or_b32 exec_lo, exec_lo, s4
.LBB120_53:
	s_wait_loadcnt 0x0
	v_lshl_add_u64 v[0:1], v[4:5], 3, s[10:11]
	s_wait_dscnt 0x0
	s_mov_b32 s23, 0
	v_mov_b32_e32 v3, 0
	global_load_b64 v[0:1], v[0:1], off
	s_wait_loadcnt 0x0
	v_sub_nc_u64_e64 v[0:1], v[0:1], s[22:23]
	s_delay_alu instid0(VALU_DEP_1)
	v_lshl_add_u64 v[0:1], v[0:1], 3, s[28:29]
	s_branch .LBB120_55
.LBB120_54:                             ;   in Loop: Header=BB120_55 Depth=1
	s_wait_xcnt 0x0
	s_or_b32 exec_lo, exec_lo, s0
	v_add_co_u32 v23, s0, v23, 8
	s_xor_b32 s0, s0, -1
	v_add_nc_u32_e32 v22, 64, v22
	s_and_b32 s0, exec_lo, s0
	s_delay_alu instid0(SALU_CYCLE_1) | instskip(NEXT) | instid1(SALU_CYCLE_1)
	s_or_b32 s23, s0, s23
	s_and_not1_b32 exec_lo, exec_lo, s23
	s_cbranch_execz .LBB120_57
.LBB120_55:                             ; =>This Inner Loop Header: Depth=1
	ds_load_b64 v[4:5], v22 offset:4096
	s_mov_b32 s0, exec_lo
	s_wait_dscnt 0x0
	v_cmpx_gt_i64_e64 s[2:3], v[4:5]
	s_cbranch_execz .LBB120_54
; %bb.56:                               ;   in Loop: Header=BB120_55 Depth=1
	ds_load_b128 v[6:9], v24
	ds_load_b128 v[10:13], v24 offset:16
	ds_load_b128 v[14:17], v24 offset:32
	s_wait_dscnt 0x2
	v_cmp_gt_i64_e32 vcc_lo, v[4:5], v[6:7]
	v_cndmask_b32_e64 v2, 0, 1, vcc_lo
	v_cmp_gt_i64_e32 vcc_lo, v[4:5], v[8:9]
	s_delay_alu instid0(VALU_DEP_2) | instskip(SKIP_3) | instid1(VALU_DEP_3)
	v_lshlrev_b32_e32 v2, 3, v2
	v_cndmask_b32_e64 v8, 0, 1, vcc_lo
	s_wait_dscnt 0x1
	v_cmp_gt_i64_e32 vcc_lo, v[4:5], v[10:11]
	v_add_nc_u64_e32 v[6:7], v[0:1], v[2:3]
	s_delay_alu instid0(VALU_DEP_3) | instskip(SKIP_2) | instid1(VALU_DEP_3)
	v_lshlrev_b32_e32 v2, 3, v8
	v_cndmask_b32_e64 v18, 0, 1, vcc_lo
	v_cmp_gt_i64_e32 vcc_lo, v[4:5], v[12:13]
	v_add_nc_u64_e32 v[10:11], v[6:7], v[2:3]
	ds_load_b128 v[6:9], v24 offset:48
	v_lshlrev_b32_e32 v2, 3, v18
	v_cndmask_b32_e64 v12, 0, 1, vcc_lo
	s_wait_dscnt 0x1
	v_cmp_gt_i64_e32 vcc_lo, v[4:5], v[14:15]
	s_delay_alu instid0(VALU_DEP_3) | instskip(NEXT) | instid1(VALU_DEP_3)
	v_add_nc_u64_e32 v[10:11], v[10:11], v[2:3]
	v_lshlrev_b32_e32 v2, 3, v12
	v_cndmask_b32_e64 v18, 0, 1, vcc_lo
	v_cmp_gt_i64_e32 vcc_lo, v[4:5], v[16:17]
	s_delay_alu instid0(VALU_DEP_3)
	v_add_nc_u64_e32 v[14:15], v[10:11], v[2:3]
	ds_load_b128 v[10:13], v24 offset:64
	v_lshlrev_b32_e32 v2, 3, v18
	v_cndmask_b32_e64 v16, 0, 1, vcc_lo
	s_wait_dscnt 0x1
	v_cmp_gt_i64_e32 vcc_lo, v[4:5], v[6:7]
	s_delay_alu instid0(VALU_DEP_3) | instskip(NEXT) | instid1(VALU_DEP_3)
	v_add_nc_u64_e32 v[14:15], v[14:15], v[2:3]
	v_lshlrev_b32_e32 v2, 3, v16
	v_cndmask_b32_e64 v18, 0, 1, vcc_lo
	v_cmp_gt_i64_e32 vcc_lo, v[4:5], v[8:9]
	s_delay_alu instid0(VALU_DEP_3)
	;; [unrolled: 12-line block ×4, first 2 shown]
	v_add_nc_u64_e32 v[14:15], v[10:11], v[2:3]
	ds_load_b128 v[10:13], v24 offset:112
	v_lshlrev_b32_e32 v2, 3, v18
	v_cndmask_b32_e64 v16, 0, 1, vcc_lo
	s_wait_dscnt 0x1
	v_cmp_gt_i64_e32 vcc_lo, v[4:5], v[6:7]
	s_delay_alu instid0(VALU_DEP_3) | instskip(NEXT) | instid1(VALU_DEP_3)
	v_add_nc_u64_e32 v[14:15], v[14:15], v[2:3]
	v_lshlrev_b32_e32 v2, 3, v16
	v_cndmask_b32_e64 v16, 0, 1, vcc_lo
	v_cmp_gt_i64_e32 vcc_lo, v[4:5], v[8:9]
	s_delay_alu instid0(VALU_DEP_3) | instskip(NEXT) | instid1(VALU_DEP_3)
	v_add_nc_u64_e32 v[6:7], v[14:15], v[2:3]
	v_lshlrev_b32_e32 v2, 3, v16
	v_cndmask_b32_e64 v8, 0, 1, vcc_lo
	s_wait_dscnt 0x0
	v_cmp_gt_i64_e32 vcc_lo, v[4:5], v[10:11]
	s_delay_alu instid0(VALU_DEP_3) | instskip(NEXT) | instid1(VALU_DEP_3)
	v_add_nc_u64_e32 v[6:7], v[6:7], v[2:3]
	v_lshlrev_b32_e32 v2, 3, v8
	ds_load_b64 v[8:9], v22
	v_cndmask_b32_e64 v10, 0, 1, vcc_lo
	v_cmp_gt_i64_e32 vcc_lo, v[4:5], v[12:13]
	v_add_nc_u64_e32 v[6:7], v[6:7], v[2:3]
	s_delay_alu instid0(VALU_DEP_3) | instskip(SKIP_1) | instid1(VALU_DEP_2)
	v_lshlrev_b32_e32 v2, 3, v10
	v_cndmask_b32_e64 v10, 0, 1, vcc_lo
	v_add_nc_u64_e32 v[4:5], v[6:7], v[2:3]
	s_delay_alu instid0(VALU_DEP_2) | instskip(NEXT) | instid1(VALU_DEP_1)
	v_lshlrev_b32_e32 v2, 3, v10
	v_add_nc_u64_e32 v[4:5], v[4:5], v[2:3]
	s_wait_dscnt 0x0
	global_store_b64 v[4:5], v[8:9], off
	s_branch .LBB120_54
.LBB120_57:
	s_endpgm
	.section	.rodata,"a",@progbits
	.p2align	6, 0x0
	.amdhsa_kernel _ZN9rocsparseL38csrgemm_numeric_fill_wf_per_row_kernelILj256ELj8ELj16ELj137Ell21rocsparse_complex_numIfEEEvT4_S3_PKS3_S5_NS_24const_host_device_scalarIT5_EEPKT3_S5_PKS7_SB_S5_SD_S8_SB_S5_SD_SB_S5_PS7_21rocsparse_index_base_SF_SF_SF_bbb
		.amdhsa_group_segment_fixed_size 8192
		.amdhsa_private_segment_fixed_size 0
		.amdhsa_kernarg_size 164
		.amdhsa_user_sgpr_count 2
		.amdhsa_user_sgpr_dispatch_ptr 0
		.amdhsa_user_sgpr_queue_ptr 0
		.amdhsa_user_sgpr_kernarg_segment_ptr 1
		.amdhsa_user_sgpr_dispatch_id 0
		.amdhsa_user_sgpr_kernarg_preload_length 0
		.amdhsa_user_sgpr_kernarg_preload_offset 0
		.amdhsa_user_sgpr_private_segment_size 0
		.amdhsa_wavefront_size32 1
		.amdhsa_uses_dynamic_stack 0
		.amdhsa_enable_private_segment 0
		.amdhsa_system_sgpr_workgroup_id_x 1
		.amdhsa_system_sgpr_workgroup_id_y 0
		.amdhsa_system_sgpr_workgroup_id_z 0
		.amdhsa_system_sgpr_workgroup_info 0
		.amdhsa_system_vgpr_workitem_id 0
		.amdhsa_next_free_vgpr 28
		.amdhsa_next_free_sgpr 45
		.amdhsa_named_barrier_count 0
		.amdhsa_reserve_vcc 1
		.amdhsa_float_round_mode_32 0
		.amdhsa_float_round_mode_16_64 0
		.amdhsa_float_denorm_mode_32 3
		.amdhsa_float_denorm_mode_16_64 3
		.amdhsa_fp16_overflow 0
		.amdhsa_memory_ordered 1
		.amdhsa_forward_progress 1
		.amdhsa_inst_pref_size 19
		.amdhsa_round_robin_scheduling 0
		.amdhsa_exception_fp_ieee_invalid_op 0
		.amdhsa_exception_fp_denorm_src 0
		.amdhsa_exception_fp_ieee_div_zero 0
		.amdhsa_exception_fp_ieee_overflow 0
		.amdhsa_exception_fp_ieee_underflow 0
		.amdhsa_exception_fp_ieee_inexact 0
		.amdhsa_exception_int_div_zero 0
	.end_amdhsa_kernel
	.section	.text._ZN9rocsparseL38csrgemm_numeric_fill_wf_per_row_kernelILj256ELj8ELj16ELj137Ell21rocsparse_complex_numIfEEEvT4_S3_PKS3_S5_NS_24const_host_device_scalarIT5_EEPKT3_S5_PKS7_SB_S5_SD_S8_SB_S5_SD_SB_S5_PS7_21rocsparse_index_base_SF_SF_SF_bbb,"axG",@progbits,_ZN9rocsparseL38csrgemm_numeric_fill_wf_per_row_kernelILj256ELj8ELj16ELj137Ell21rocsparse_complex_numIfEEEvT4_S3_PKS3_S5_NS_24const_host_device_scalarIT5_EEPKT3_S5_PKS7_SB_S5_SD_S8_SB_S5_SD_SB_S5_PS7_21rocsparse_index_base_SF_SF_SF_bbb,comdat
.Lfunc_end120:
	.size	_ZN9rocsparseL38csrgemm_numeric_fill_wf_per_row_kernelILj256ELj8ELj16ELj137Ell21rocsparse_complex_numIfEEEvT4_S3_PKS3_S5_NS_24const_host_device_scalarIT5_EEPKT3_S5_PKS7_SB_S5_SD_S8_SB_S5_SD_SB_S5_PS7_21rocsparse_index_base_SF_SF_SF_bbb, .Lfunc_end120-_ZN9rocsparseL38csrgemm_numeric_fill_wf_per_row_kernelILj256ELj8ELj16ELj137Ell21rocsparse_complex_numIfEEEvT4_S3_PKS3_S5_NS_24const_host_device_scalarIT5_EEPKT3_S5_PKS7_SB_S5_SD_S8_SB_S5_SD_SB_S5_PS7_21rocsparse_index_base_SF_SF_SF_bbb
                                        ; -- End function
	.set _ZN9rocsparseL38csrgemm_numeric_fill_wf_per_row_kernelILj256ELj8ELj16ELj137Ell21rocsparse_complex_numIfEEEvT4_S3_PKS3_S5_NS_24const_host_device_scalarIT5_EEPKT3_S5_PKS7_SB_S5_SD_S8_SB_S5_SD_SB_S5_PS7_21rocsparse_index_base_SF_SF_SF_bbb.num_vgpr, 28
	.set _ZN9rocsparseL38csrgemm_numeric_fill_wf_per_row_kernelILj256ELj8ELj16ELj137Ell21rocsparse_complex_numIfEEEvT4_S3_PKS3_S5_NS_24const_host_device_scalarIT5_EEPKT3_S5_PKS7_SB_S5_SD_S8_SB_S5_SD_SB_S5_PS7_21rocsparse_index_base_SF_SF_SF_bbb.num_agpr, 0
	.set _ZN9rocsparseL38csrgemm_numeric_fill_wf_per_row_kernelILj256ELj8ELj16ELj137Ell21rocsparse_complex_numIfEEEvT4_S3_PKS3_S5_NS_24const_host_device_scalarIT5_EEPKT3_S5_PKS7_SB_S5_SD_S8_SB_S5_SD_SB_S5_PS7_21rocsparse_index_base_SF_SF_SF_bbb.numbered_sgpr, 45
	.set _ZN9rocsparseL38csrgemm_numeric_fill_wf_per_row_kernelILj256ELj8ELj16ELj137Ell21rocsparse_complex_numIfEEEvT4_S3_PKS3_S5_NS_24const_host_device_scalarIT5_EEPKT3_S5_PKS7_SB_S5_SD_S8_SB_S5_SD_SB_S5_PS7_21rocsparse_index_base_SF_SF_SF_bbb.num_named_barrier, 0
	.set _ZN9rocsparseL38csrgemm_numeric_fill_wf_per_row_kernelILj256ELj8ELj16ELj137Ell21rocsparse_complex_numIfEEEvT4_S3_PKS3_S5_NS_24const_host_device_scalarIT5_EEPKT3_S5_PKS7_SB_S5_SD_S8_SB_S5_SD_SB_S5_PS7_21rocsparse_index_base_SF_SF_SF_bbb.private_seg_size, 0
	.set _ZN9rocsparseL38csrgemm_numeric_fill_wf_per_row_kernelILj256ELj8ELj16ELj137Ell21rocsparse_complex_numIfEEEvT4_S3_PKS3_S5_NS_24const_host_device_scalarIT5_EEPKT3_S5_PKS7_SB_S5_SD_S8_SB_S5_SD_SB_S5_PS7_21rocsparse_index_base_SF_SF_SF_bbb.uses_vcc, 1
	.set _ZN9rocsparseL38csrgemm_numeric_fill_wf_per_row_kernelILj256ELj8ELj16ELj137Ell21rocsparse_complex_numIfEEEvT4_S3_PKS3_S5_NS_24const_host_device_scalarIT5_EEPKT3_S5_PKS7_SB_S5_SD_S8_SB_S5_SD_SB_S5_PS7_21rocsparse_index_base_SF_SF_SF_bbb.uses_flat_scratch, 0
	.set _ZN9rocsparseL38csrgemm_numeric_fill_wf_per_row_kernelILj256ELj8ELj16ELj137Ell21rocsparse_complex_numIfEEEvT4_S3_PKS3_S5_NS_24const_host_device_scalarIT5_EEPKT3_S5_PKS7_SB_S5_SD_S8_SB_S5_SD_SB_S5_PS7_21rocsparse_index_base_SF_SF_SF_bbb.has_dyn_sized_stack, 0
	.set _ZN9rocsparseL38csrgemm_numeric_fill_wf_per_row_kernelILj256ELj8ELj16ELj137Ell21rocsparse_complex_numIfEEEvT4_S3_PKS3_S5_NS_24const_host_device_scalarIT5_EEPKT3_S5_PKS7_SB_S5_SD_S8_SB_S5_SD_SB_S5_PS7_21rocsparse_index_base_SF_SF_SF_bbb.has_recursion, 0
	.set _ZN9rocsparseL38csrgemm_numeric_fill_wf_per_row_kernelILj256ELj8ELj16ELj137Ell21rocsparse_complex_numIfEEEvT4_S3_PKS3_S5_NS_24const_host_device_scalarIT5_EEPKT3_S5_PKS7_SB_S5_SD_S8_SB_S5_SD_SB_S5_PS7_21rocsparse_index_base_SF_SF_SF_bbb.has_indirect_call, 0
	.section	.AMDGPU.csdata,"",@progbits
; Kernel info:
; codeLenInByte = 2428
; TotalNumSgprs: 47
; NumVgprs: 28
; ScratchSize: 0
; MemoryBound: 0
; FloatMode: 240
; IeeeMode: 1
; LDSByteSize: 8192 bytes/workgroup (compile time only)
; SGPRBlocks: 0
; VGPRBlocks: 1
; NumSGPRsForWavesPerEU: 47
; NumVGPRsForWavesPerEU: 28
; NamedBarCnt: 0
; Occupancy: 16
; WaveLimiterHint : 1
; COMPUTE_PGM_RSRC2:SCRATCH_EN: 0
; COMPUTE_PGM_RSRC2:USER_SGPR: 2
; COMPUTE_PGM_RSRC2:TRAP_HANDLER: 0
; COMPUTE_PGM_RSRC2:TGID_X_EN: 1
; COMPUTE_PGM_RSRC2:TGID_Y_EN: 0
; COMPUTE_PGM_RSRC2:TGID_Z_EN: 0
; COMPUTE_PGM_RSRC2:TIDIG_COMP_CNT: 0
	.section	.text._ZN9rocsparseL38csrgemm_numeric_fill_wf_per_row_kernelILj256ELj16ELj32ELj137Ell21rocsparse_complex_numIfEEEvT4_S3_PKS3_S5_NS_24const_host_device_scalarIT5_EEPKT3_S5_PKS7_SB_S5_SD_S8_SB_S5_SD_SB_S5_PS7_21rocsparse_index_base_SF_SF_SF_bbb,"axG",@progbits,_ZN9rocsparseL38csrgemm_numeric_fill_wf_per_row_kernelILj256ELj16ELj32ELj137Ell21rocsparse_complex_numIfEEEvT4_S3_PKS3_S5_NS_24const_host_device_scalarIT5_EEPKT3_S5_PKS7_SB_S5_SD_S8_SB_S5_SD_SB_S5_PS7_21rocsparse_index_base_SF_SF_SF_bbb,comdat
	.globl	_ZN9rocsparseL38csrgemm_numeric_fill_wf_per_row_kernelILj256ELj16ELj32ELj137Ell21rocsparse_complex_numIfEEEvT4_S3_PKS3_S5_NS_24const_host_device_scalarIT5_EEPKT3_S5_PKS7_SB_S5_SD_S8_SB_S5_SD_SB_S5_PS7_21rocsparse_index_base_SF_SF_SF_bbb ; -- Begin function _ZN9rocsparseL38csrgemm_numeric_fill_wf_per_row_kernelILj256ELj16ELj32ELj137Ell21rocsparse_complex_numIfEEEvT4_S3_PKS3_S5_NS_24const_host_device_scalarIT5_EEPKT3_S5_PKS7_SB_S5_SD_S8_SB_S5_SD_SB_S5_PS7_21rocsparse_index_base_SF_SF_SF_bbb
	.p2align	8
	.type	_ZN9rocsparseL38csrgemm_numeric_fill_wf_per_row_kernelILj256ELj16ELj32ELj137Ell21rocsparse_complex_numIfEEEvT4_S3_PKS3_S5_NS_24const_host_device_scalarIT5_EEPKT3_S5_PKS7_SB_S5_SD_S8_SB_S5_SD_SB_S5_PS7_21rocsparse_index_base_SF_SF_SF_bbb,@function
_ZN9rocsparseL38csrgemm_numeric_fill_wf_per_row_kernelILj256ELj16ELj32ELj137Ell21rocsparse_complex_numIfEEEvT4_S3_PKS3_S5_NS_24const_host_device_scalarIT5_EEPKT3_S5_PKS7_SB_S5_SD_S8_SB_S5_SD_SB_S5_PS7_21rocsparse_index_base_SF_SF_SF_bbb: ; @_ZN9rocsparseL38csrgemm_numeric_fill_wf_per_row_kernelILj256ELj16ELj32ELj137Ell21rocsparse_complex_numIfEEEvT4_S3_PKS3_S5_NS_24const_host_device_scalarIT5_EEPKT3_S5_PKS7_SB_S5_SD_S8_SB_S5_SD_SB_S5_PS7_21rocsparse_index_base_SF_SF_SF_bbb
; %bb.0:
	s_clause 0x3
	s_load_b32 s33, s[0:1], 0xa0
	s_load_b128 s[20:23], s[0:1], 0x90
	s_load_b64 s[34:35], s[0:1], 0x10
	s_load_b64 s[2:3], s[0:1], 0x58
	s_mov_b32 s31, 0
	s_mov_b32 s38, 0
	s_wait_kmcnt 0x0
	s_bitcmp1_b32 s33, 0
	s_cselect_b32 s40, -1, 0
	s_bitcmp1_b32 s33, 16
	s_cselect_b32 s4, -1, 0
	s_delay_alu instid0(SALU_CYCLE_1) | instskip(SKIP_2) | instid1(VALU_DEP_1)
	s_xor_b32 s4, s4, -1
	s_bitcmp0_b32 s33, 0
	v_cndmask_b32_e64 v1, 0, 1, s4
	v_cmp_ne_u32_e32 vcc_lo, 1, v1
	s_cbranch_scc1 .LBB121_5
; %bb.1:
	s_load_b64 s[30:31], s[0:1], 0x20
	s_and_b32 vcc_lo, exec_lo, vcc_lo
	s_wait_kmcnt 0x0
	s_mov_b32 s38, s30
	s_cbranch_vccnz .LBB121_3
; %bb.2:
	s_load_b32 s38, s[30:31], 0x0
.LBB121_3:
	s_and_not1_b32 vcc_lo, exec_lo, s4
	s_cbranch_vccnz .LBB121_5
; %bb.4:
	s_wait_xcnt 0x0
	s_load_b32 s31, s[30:31], 0x4
.LBB121_5:
	s_clause 0x4
	s_load_b64 s[28:29], s[0:1], 0x88
	s_load_b256 s[4:11], s[0:1], 0x60
	s_load_b128 s[24:27], s[0:1], 0x48
	s_load_b64 s[36:37], s[0:1], 0x18
	s_load_b256 s[12:19], s[0:1], 0x28
	s_bitcmp1_b32 s33, 8
	s_wait_xcnt 0x0
	s_mov_b32 s30, 0
	s_cselect_b32 s39, -1, 0
	s_bfe_u32 s33, s33, 0x10008
	s_delay_alu instid0(SALU_CYCLE_1)
	s_cmp_eq_u32 s33, 0
	s_mov_b32 s33, 0
	s_cbranch_scc1 .LBB121_11
; %bb.6:
	v_cmp_ne_u32_e32 vcc_lo, 1, v1
	s_mov_b32 s30, s2
	s_cbranch_vccnz .LBB121_8
; %bb.7:
	s_load_b32 s30, s[2:3], 0x0
.LBB121_8:
	v_cmp_ne_u32_e32 vcc_lo, 1, v1
	s_cbranch_vccnz .LBB121_10
; %bb.9:
	s_wait_xcnt 0x0
	s_load_b32 s3, s[2:3], 0x4
.LBB121_10:
	s_wait_kmcnt 0x0
	s_mov_b32 s33, s3
.LBB121_11:
	s_load_b128 s[0:3], s[0:1], 0x0
	v_dual_lshrrev_b32 v7, 4, v0 :: v_dual_bitop2_b32 v6, 15, v0 bitop3:0x40
	s_mov_b32 s41, 0
	s_delay_alu instid0(VALU_DEP_1) | instskip(NEXT) | instid1(VALU_DEP_1)
	v_dual_lshlrev_b32 v0, 3, v6 :: v_dual_bitop2_b32 v23, -16, v6 bitop3:0x54
	v_lshl_or_b32 v22, v7, 8, v0
	v_mov_b64_e32 v[0:1], 0
	s_delay_alu instid0(VALU_DEP_2)
	v_dual_mov_b32 v5, v23 :: v_dual_mov_b32 v4, v22
	s_wait_kmcnt 0x0
	v_mov_b64_e32 v[2:3], s[2:3]
.LBB121_12:                             ; =>This Inner Loop Header: Depth=1
	s_delay_alu instid0(VALU_DEP_2) | instskip(SKIP_4) | instid1(SALU_CYCLE_1)
	v_add_co_u32 v5, s42, v5, 16
	s_xor_b32 s42, s42, -1
	ds_store_2addr_stride64_b64 v4, v[0:1], v[2:3] offset1:8
	v_add_nc_u32_e32 v4, 0x80, v4
	s_and_b32 s42, exec_lo, s42
	s_or_b32 s41, s42, s41
	s_delay_alu instid0(SALU_CYCLE_1)
	s_and_not1_b32 exec_lo, exec_lo, s41
	s_cbranch_execnz .LBB121_12
; %bb.13:
	s_or_b32 exec_lo, exec_lo, s41
	s_bfe_u32 s41, ttmp6, 0x4000c
	s_and_b32 s42, ttmp6, 15
	s_add_co_i32 s41, s41, 1
	s_getreg_b32 s43, hwreg(HW_REG_IB_STS2, 6, 4)
	s_mul_i32 s41, ttmp9, s41
	v_mov_b32_e32 v5, 0
	s_add_co_i32 s42, s42, s41
	s_cmp_eq_u32 s43, 0
	s_wait_dscnt 0x0
	s_cselect_b32 s41, ttmp9, s42
	s_delay_alu instid0(SALU_CYCLE_1) | instskip(NEXT) | instid1(SALU_CYCLE_1)
	s_lshl_b32 s41, s41, 4
	v_and_or_b32 v4, 0xffffff0, s41, v7
	s_delay_alu instid0(VALU_DEP_1)
	v_cmp_gt_i64_e32 vcc_lo, s[0:1], v[4:5]
	s_and_saveexec_b32 s0, vcc_lo
	s_cbranch_execz .LBB121_57
; %bb.14:
	s_cmp_eq_u64 s[36:37], 0
	s_cbranch_scc1 .LBB121_16
; %bb.15:
	s_load_b64 s[0:1], s[34:35], 0x0
	s_wait_kmcnt 0x0
	s_lshl_b64 s[0:1], s[0:1], 3
	s_delay_alu instid0(SALU_CYCLE_1)
	s_add_nc_u64 s[0:1], s[36:37], s[0:1]
	global_load_b64 v[4:5], v4, s[0:1] scale_offset
.LBB121_16:
	v_lshlrev_b32_e32 v25, 8, v7
	s_and_not1_b32 vcc_lo, exec_lo, s40
	s_delay_alu instid0(VALU_DEP_1)
	v_or_b32_e32 v24, 0x1000, v25
	s_cbranch_vccnz .LBB121_36
; %bb.17:
	s_wait_loadcnt 0x0
	v_lshl_add_u64 v[0:1], v[4:5], 3, s[12:13]
	v_mov_b32_e32 v7, 0
	s_mov_b32 s1, 0
	s_mov_b32 s0, s20
	s_mov_b32 s20, exec_lo
	global_load_b128 v[0:3], v[0:1], off
	v_sub_nc_u64_e64 v[10:11], v[6:7], s[0:1]
	s_wait_loadcnt 0x0
	v_sub_nc_u64_e64 v[8:9], v[2:3], s[0:1]
	s_delay_alu instid0(VALU_DEP_2) | instskip(NEXT) | instid1(VALU_DEP_1)
	v_add_nc_u64_e32 v[10:11], v[0:1], v[10:11]
	v_cmpx_lt_i64_e64 v[10:11], v[8:9]
	s_cbranch_execz .LBB121_35
; %bb.18:
	s_mov_b32 s12, s21
	s_mov_b32 s13, s1
	;; [unrolled: 1-line block ×3, first 2 shown]
	s_branch .LBB121_20
.LBB121_19:                             ;   in Loop: Header=BB121_20 Depth=1
	s_or_b32 exec_lo, exec_lo, s34
	v_add_nc_u64_e32 v[10:11], 16, v[10:11]
	s_delay_alu instid0(VALU_DEP_1) | instskip(SKIP_1) | instid1(SALU_CYCLE_1)
	v_cmp_ge_i64_e32 vcc_lo, v[10:11], v[8:9]
	s_or_b32 s21, vcc_lo, s21
	s_and_not1_b32 exec_lo, exec_lo, s21
	s_cbranch_execz .LBB121_35
.LBB121_20:                             ; =>This Loop Header: Depth=1
                                        ;     Child Loop BB121_24 Depth 2
                                        ;       Child Loop BB121_27 Depth 3
	v_lshl_add_u64 v[0:1], v[10:11], 3, s[14:15]
	s_mov_b32 s34, exec_lo
	global_load_b64 v[0:1], v[0:1], off
	s_wait_loadcnt 0x0
	s_wait_xcnt 0x0
	v_sub_nc_u64_e64 v[0:1], v[0:1], s[0:1]
	s_delay_alu instid0(VALU_DEP_1)
	v_lshl_add_u64 v[0:1], v[0:1], 3, s[18:19]
	global_load_b128 v[0:3], v[0:1], off
	s_wait_loadcnt 0x0
	s_wait_xcnt 0x0
	v_cmpx_lt_i64_e64 v[0:1], v[2:3]
	s_cbranch_execz .LBB121_19
; %bb.21:                               ;   in Loop: Header=BB121_20 Depth=1
	v_lshl_add_u64 v[12:13], v[10:11], 3, s[16:17]
	v_sub_nc_u64_e64 v[2:3], v[2:3], s[12:13]
	v_sub_nc_u64_e64 v[0:1], v[0:1], s[12:13]
	s_mov_b32 s35, 0
	global_load_b64 v[12:13], v[12:13], off
	s_wait_loadcnt 0x0
	v_mul_f32_e64 v7, v13, -s31
	s_delay_alu instid0(VALU_DEP_1) | instskip(NEXT) | instid1(VALU_DEP_1)
	v_dual_mul_f32 v26, s38, v13 :: v_dual_fmac_f32 v7, s38, v12
	v_fmac_f32_e32 v26, s31, v12
	s_branch .LBB121_24
.LBB121_22:                             ;   in Loop: Header=BB121_24 Depth=2
	s_or_b32 exec_lo, exec_lo, s37
.LBB121_23:                             ;   in Loop: Header=BB121_24 Depth=2
	s_delay_alu instid0(SALU_CYCLE_1) | instskip(SKIP_4) | instid1(VALU_DEP_3)
	s_or_b32 exec_lo, exec_lo, s36
	s_wait_loadcnt 0x0
	v_dual_mul_f32 v15, v13, -v26 :: v_dual_mul_f32 v13, v7, v13
	v_lshl_add_u32 v14, v14, 3, v25
	v_add_nc_u64_e32 v[0:1], 1, v[0:1]
	v_dual_fmac_f32 v15, v7, v12 :: v_dual_fmac_f32 v13, v26, v12
	ds_add_f32 v14, v15
	ds_add_f32 v14, v13 offset:4
	v_cmp_ge_i64_e32 vcc_lo, v[0:1], v[2:3]
	s_or_b32 s35, vcc_lo, s35
	s_delay_alu instid0(SALU_CYCLE_1)
	s_and_not1_b32 exec_lo, exec_lo, s35
	s_cbranch_execz .LBB121_19
.LBB121_24:                             ;   Parent Loop BB121_20 Depth=1
                                        ; =>  This Loop Header: Depth=2
                                        ;       Child Loop BB121_27 Depth 3
	s_wait_xcnt 0x0
	v_lshlrev_b64_e32 v[12:13], 3, v[0:1]
	s_mov_b32 s36, exec_lo
	s_delay_alu instid0(VALU_DEP_1)
	v_add_nc_u64_e32 v[14:15], s[24:25], v[12:13]
	v_add_nc_u64_e32 v[12:13], s[26:27], v[12:13]
	global_load_b64 v[14:15], v[14:15], off
	global_load_b64 v[12:13], v[12:13], off
	s_wait_loadcnt 0x1
	v_sub_nc_u64_e64 v[16:17], v[14:15], s[12:13]
	s_wait_xcnt 0x1
	s_delay_alu instid0(VALU_DEP_1) | instskip(NEXT) | instid1(VALU_DEP_1)
	v_lshl_add_u32 v14, v16, 3, v16
	v_and_b32_e32 v14, 31, v14
	s_delay_alu instid0(VALU_DEP_1)
	v_lshl_add_u32 v27, v14, 3, v24
	ds_load_b64 v[20:21], v27
	s_wait_dscnt 0x0
	s_wait_xcnt 0x0
	v_cmpx_ne_u64_e64 v[20:21], v[16:17]
	s_cbranch_execz .LBB121_23
; %bb.25:                               ;   in Loop: Header=BB121_24 Depth=2
	s_mov_b32 s37, 0
                                        ; implicit-def: $sgpr40
                                        ; implicit-def: $sgpr41
	s_branch .LBB121_27
.LBB121_26:                             ;   in Loop: Header=BB121_27 Depth=3
	s_or_b32 exec_lo, exec_lo, s44
	s_delay_alu instid0(SALU_CYCLE_1) | instskip(NEXT) | instid1(SALU_CYCLE_1)
	s_and_b32 s42, exec_lo, s43
	s_or_b32 s37, s42, s37
	s_and_not1_b32 s40, s40, exec_lo
	s_and_b32 s42, s41, exec_lo
	s_delay_alu instid0(SALU_CYCLE_1)
	s_or_b32 s40, s40, s42
	s_and_not1_b32 exec_lo, exec_lo, s37
	s_cbranch_execz .LBB121_33
.LBB121_27:                             ;   Parent Loop BB121_20 Depth=1
                                        ;     Parent Loop BB121_24 Depth=2
                                        ; =>    This Inner Loop Header: Depth=3
	v_mov_b64_e32 v[18:19], v[14:15]
	s_mov_b32 s42, 0
	s_mov_b32 s43, exec_lo
                                        ; implicit-def: $vgpr14_vgpr15
	v_cmpx_ne_u64_e64 s[2:3], v[20:21]
	s_xor_b32 s43, exec_lo, s43
; %bb.28:                               ;   in Loop: Header=BB121_27 Depth=3
	s_delay_alu instid0(VALU_DEP_2) | instskip(SKIP_1) | instid1(VALU_DEP_1)
	v_add_nc_u32_e32 v14, 1, v18
	s_mov_b32 s42, exec_lo
                                        ; implicit-def: $vgpr27
	v_and_b32_e32 v14, 31, v14
; %bb.29:                               ;   in Loop: Header=BB121_27 Depth=3
	s_and_not1_saveexec_b32 s43, s43
	s_cbranch_execz .LBB121_31
; %bb.30:                               ;   in Loop: Header=BB121_27 Depth=3
	v_mov_b64_e32 v[14:15], s[2:3]
	s_and_not1_b32 s42, s42, exec_lo
	ds_cmpstore_rtn_b64 v[14:15], v27, v[16:17], v[14:15]
	s_wait_dscnt 0x0
	v_cmp_ne_u64_e32 vcc_lo, s[2:3], v[14:15]
	v_mov_b64_e32 v[14:15], v[18:19]
	s_and_b32 s44, vcc_lo, exec_lo
	s_delay_alu instid0(SALU_CYCLE_1)
	s_or_b32 s42, s42, s44
.LBB121_31:                             ;   in Loop: Header=BB121_27 Depth=3
	s_or_b32 exec_lo, exec_lo, s43
	s_mov_b32 s43, -1
	s_or_b32 s41, s41, exec_lo
                                        ; implicit-def: $vgpr27
                                        ; implicit-def: $vgpr20_vgpr21
	s_and_saveexec_b32 s44, s42
	s_cbranch_execz .LBB121_26
; %bb.32:                               ;   in Loop: Header=BB121_27 Depth=3
	v_lshl_add_u32 v27, v14, 3, v24
	s_and_not1_b32 s41, s41, exec_lo
	ds_load_b64 v[20:21], v27
	s_wait_dscnt 0x0
	v_cmp_eq_u64_e32 vcc_lo, v[20:21], v[16:17]
	s_or_not1_b32 s43, vcc_lo, exec_lo
	s_branch .LBB121_26
.LBB121_33:                             ;   in Loop: Header=BB121_24 Depth=2
	s_or_b32 exec_lo, exec_lo, s37
	s_and_saveexec_b32 s37, s40
	s_delay_alu instid0(SALU_CYCLE_1)
	s_xor_b32 s37, exec_lo, s37
	s_cbranch_execz .LBB121_22
; %bb.34:                               ;   in Loop: Header=BB121_24 Depth=2
	v_mov_b32_e32 v14, v18
	s_branch .LBB121_22
.LBB121_35:
	s_or_b32 exec_lo, exec_lo, s20
.LBB121_36:
	s_delay_alu instid0(SALU_CYCLE_1)
	s_and_not1_b32 vcc_lo, exec_lo, s39
	s_cbranch_vccnz .LBB121_53
; %bb.37:
	s_wait_loadcnt 0x0
	v_lshl_add_u64 v[0:1], v[4:5], 3, s[4:5]
	v_mov_b32_e32 v7, 0
	s_mov_b32 s1, 0
	s_mov_b32 s0, s23
	s_mov_b32 s4, exec_lo
	global_load_b128 v[8:11], v[0:1], off
	v_sub_nc_u64_e64 v[2:3], v[6:7], s[0:1]
	s_wait_loadcnt 0x0
	v_sub_nc_u64_e64 v[0:1], v[10:11], s[0:1]
	s_delay_alu instid0(VALU_DEP_2) | instskip(NEXT) | instid1(VALU_DEP_1)
	v_add_nc_u64_e32 v[2:3], v[8:9], v[2:3]
	v_cmpx_lt_i64_e64 v[2:3], v[0:1]
	s_cbranch_execz .LBB121_52
; %bb.38:
	s_mov_b32 s5, s1
	s_branch .LBB121_41
.LBB121_39:                             ;   in Loop: Header=BB121_41 Depth=1
	s_or_b32 exec_lo, exec_lo, s13
.LBB121_40:                             ;   in Loop: Header=BB121_41 Depth=1
	s_delay_alu instid0(SALU_CYCLE_1)
	s_or_b32 exec_lo, exec_lo, s12
	s_wait_loadcnt 0x0
	v_mul_f32_e64 v9, v7, -s33
	v_mul_f32_e32 v7, s30, v7
	v_lshl_add_u32 v8, v8, 3, v25
	v_add_nc_u64_e32 v[2:3], 16, v[2:3]
	s_delay_alu instid0(VALU_DEP_3) | instskip(SKIP_4) | instid1(SALU_CYCLE_1)
	v_dual_fmac_f32 v9, s30, v6 :: v_dual_fmac_f32 v7, s33, v6
	ds_add_f32 v8, v9
	ds_add_f32 v8, v7 offset:4
	v_cmp_ge_i64_e32 vcc_lo, v[2:3], v[0:1]
	s_or_b32 s5, vcc_lo, s5
	s_and_not1_b32 exec_lo, exec_lo, s5
	s_cbranch_execz .LBB121_52
.LBB121_41:                             ; =>This Loop Header: Depth=1
                                        ;     Child Loop BB121_44 Depth 2
	v_lshlrev_b64_e32 v[6:7], 3, v[2:3]
	s_mov_b32 s12, exec_lo
	s_delay_alu instid0(VALU_DEP_1)
	v_add_nc_u64_e32 v[8:9], s[6:7], v[6:7]
	v_add_nc_u64_e32 v[6:7], s[8:9], v[6:7]
	global_load_b64 v[8:9], v[8:9], off
	global_load_b64 v[6:7], v[6:7], off
	s_wait_loadcnt 0x1
	v_sub_nc_u64_e64 v[10:11], v[8:9], s[0:1]
	s_delay_alu instid0(VALU_DEP_1) | instskip(NEXT) | instid1(VALU_DEP_1)
	v_lshl_add_u32 v8, v10, 3, v10
	v_and_b32_e32 v8, 31, v8
	s_delay_alu instid0(VALU_DEP_1)
	v_lshl_add_u32 v16, v8, 3, v24
	ds_load_b64 v[14:15], v16
	s_wait_dscnt 0x0
	s_wait_xcnt 0x0
	v_cmpx_ne_u64_e64 v[14:15], v[10:11]
	s_cbranch_execz .LBB121_40
; %bb.42:                               ;   in Loop: Header=BB121_41 Depth=1
	s_mov_b32 s13, 0
                                        ; implicit-def: $sgpr14
                                        ; implicit-def: $sgpr15
	s_branch .LBB121_44
.LBB121_43:                             ;   in Loop: Header=BB121_44 Depth=2
	s_or_b32 exec_lo, exec_lo, s18
	s_delay_alu instid0(SALU_CYCLE_1) | instskip(NEXT) | instid1(SALU_CYCLE_1)
	s_and_b32 s16, exec_lo, s17
	s_or_b32 s13, s16, s13
	s_and_not1_b32 s14, s14, exec_lo
	s_and_b32 s16, s15, exec_lo
	s_delay_alu instid0(SALU_CYCLE_1)
	s_or_b32 s14, s14, s16
	s_and_not1_b32 exec_lo, exec_lo, s13
	s_cbranch_execz .LBB121_50
.LBB121_44:                             ;   Parent Loop BB121_41 Depth=1
                                        ; =>  This Inner Loop Header: Depth=2
	v_mov_b64_e32 v[12:13], v[8:9]
	s_mov_b32 s16, 0
	s_mov_b32 s17, exec_lo
                                        ; implicit-def: $vgpr8_vgpr9
	v_cmpx_ne_u64_e64 s[2:3], v[14:15]
	s_xor_b32 s17, exec_lo, s17
; %bb.45:                               ;   in Loop: Header=BB121_44 Depth=2
	s_delay_alu instid0(VALU_DEP_2) | instskip(SKIP_1) | instid1(VALU_DEP_1)
	v_add_nc_u32_e32 v8, 1, v12
	s_mov_b32 s16, exec_lo
                                        ; implicit-def: $vgpr16
	v_and_b32_e32 v8, 31, v8
; %bb.46:                               ;   in Loop: Header=BB121_44 Depth=2
	s_and_not1_saveexec_b32 s17, s17
	s_cbranch_execz .LBB121_48
; %bb.47:                               ;   in Loop: Header=BB121_44 Depth=2
	v_mov_b64_e32 v[8:9], s[2:3]
	s_and_not1_b32 s16, s16, exec_lo
	ds_cmpstore_rtn_b64 v[8:9], v16, v[10:11], v[8:9]
	s_wait_dscnt 0x0
	v_cmp_ne_u64_e32 vcc_lo, s[2:3], v[8:9]
	v_mov_b64_e32 v[8:9], v[12:13]
	s_and_b32 s18, vcc_lo, exec_lo
	s_delay_alu instid0(SALU_CYCLE_1)
	s_or_b32 s16, s16, s18
.LBB121_48:                             ;   in Loop: Header=BB121_44 Depth=2
	s_or_b32 exec_lo, exec_lo, s17
	s_mov_b32 s17, -1
	s_or_b32 s15, s15, exec_lo
                                        ; implicit-def: $vgpr16
                                        ; implicit-def: $vgpr14_vgpr15
	s_and_saveexec_b32 s18, s16
	s_cbranch_execz .LBB121_43
; %bb.49:                               ;   in Loop: Header=BB121_44 Depth=2
	v_lshl_add_u32 v16, v8, 3, v24
	s_and_not1_b32 s15, s15, exec_lo
	ds_load_b64 v[14:15], v16
	s_wait_dscnt 0x0
	v_cmp_eq_u64_e32 vcc_lo, v[14:15], v[10:11]
	s_or_not1_b32 s17, vcc_lo, exec_lo
	s_branch .LBB121_43
.LBB121_50:                             ;   in Loop: Header=BB121_41 Depth=1
	s_or_b32 exec_lo, exec_lo, s13
	s_and_saveexec_b32 s13, s14
	s_delay_alu instid0(SALU_CYCLE_1)
	s_xor_b32 s13, exec_lo, s13
	s_cbranch_execz .LBB121_39
; %bb.51:                               ;   in Loop: Header=BB121_41 Depth=1
	v_mov_b32_e32 v8, v12
	s_branch .LBB121_39
.LBB121_52:
	s_or_b32 exec_lo, exec_lo, s4
.LBB121_53:
	s_wait_loadcnt 0x0
	v_lshl_add_u64 v[0:1], v[4:5], 3, s[10:11]
	s_wait_dscnt 0x0
	s_mov_b32 s23, 0
	v_mov_b32_e32 v3, 0
	global_load_b64 v[0:1], v[0:1], off
	s_wait_loadcnt 0x0
	v_sub_nc_u64_e64 v[0:1], v[0:1], s[22:23]
	s_delay_alu instid0(VALU_DEP_1)
	v_lshl_add_u64 v[0:1], v[0:1], 3, s[28:29]
	s_branch .LBB121_55
.LBB121_54:                             ;   in Loop: Header=BB121_55 Depth=1
	s_wait_xcnt 0x0
	s_or_b32 exec_lo, exec_lo, s0
	v_add_co_u32 v23, s0, v23, 16
	s_xor_b32 s0, s0, -1
	v_add_nc_u32_e32 v22, 0x80, v22
	s_and_b32 s0, exec_lo, s0
	s_delay_alu instid0(SALU_CYCLE_1) | instskip(NEXT) | instid1(SALU_CYCLE_1)
	s_or_b32 s23, s0, s23
	s_and_not1_b32 exec_lo, exec_lo, s23
	s_cbranch_execz .LBB121_57
.LBB121_55:                             ; =>This Inner Loop Header: Depth=1
	ds_load_b64 v[4:5], v22 offset:4096
	s_mov_b32 s0, exec_lo
	s_wait_dscnt 0x0
	v_cmpx_gt_i64_e64 s[2:3], v[4:5]
	s_cbranch_execz .LBB121_54
; %bb.56:                               ;   in Loop: Header=BB121_55 Depth=1
	ds_load_b128 v[6:9], v24
	ds_load_b128 v[10:13], v24 offset:16
	ds_load_b128 v[14:17], v24 offset:32
	s_wait_dscnt 0x2
	v_cmp_gt_i64_e32 vcc_lo, v[4:5], v[6:7]
	v_cndmask_b32_e64 v2, 0, 1, vcc_lo
	v_cmp_gt_i64_e32 vcc_lo, v[4:5], v[8:9]
	s_delay_alu instid0(VALU_DEP_2) | instskip(SKIP_3) | instid1(VALU_DEP_3)
	v_lshlrev_b32_e32 v2, 3, v2
	v_cndmask_b32_e64 v8, 0, 1, vcc_lo
	s_wait_dscnt 0x1
	v_cmp_gt_i64_e32 vcc_lo, v[4:5], v[10:11]
	v_add_nc_u64_e32 v[6:7], v[0:1], v[2:3]
	s_delay_alu instid0(VALU_DEP_3) | instskip(SKIP_2) | instid1(VALU_DEP_3)
	v_lshlrev_b32_e32 v2, 3, v8
	v_cndmask_b32_e64 v18, 0, 1, vcc_lo
	v_cmp_gt_i64_e32 vcc_lo, v[4:5], v[12:13]
	v_add_nc_u64_e32 v[10:11], v[6:7], v[2:3]
	ds_load_b128 v[6:9], v24 offset:48
	v_lshlrev_b32_e32 v2, 3, v18
	v_cndmask_b32_e64 v12, 0, 1, vcc_lo
	s_wait_dscnt 0x1
	v_cmp_gt_i64_e32 vcc_lo, v[4:5], v[14:15]
	s_delay_alu instid0(VALU_DEP_3) | instskip(NEXT) | instid1(VALU_DEP_3)
	v_add_nc_u64_e32 v[10:11], v[10:11], v[2:3]
	v_lshlrev_b32_e32 v2, 3, v12
	v_cndmask_b32_e64 v18, 0, 1, vcc_lo
	v_cmp_gt_i64_e32 vcc_lo, v[4:5], v[16:17]
	s_delay_alu instid0(VALU_DEP_3)
	v_add_nc_u64_e32 v[14:15], v[10:11], v[2:3]
	ds_load_b128 v[10:13], v24 offset:64
	v_lshlrev_b32_e32 v2, 3, v18
	v_cndmask_b32_e64 v16, 0, 1, vcc_lo
	s_wait_dscnt 0x1
	v_cmp_gt_i64_e32 vcc_lo, v[4:5], v[6:7]
	s_delay_alu instid0(VALU_DEP_3) | instskip(NEXT) | instid1(VALU_DEP_3)
	v_add_nc_u64_e32 v[14:15], v[14:15], v[2:3]
	v_lshlrev_b32_e32 v2, 3, v16
	v_cndmask_b32_e64 v18, 0, 1, vcc_lo
	v_cmp_gt_i64_e32 vcc_lo, v[4:5], v[8:9]
	s_delay_alu instid0(VALU_DEP_3)
	;; [unrolled: 12-line block ×12, first 2 shown]
	v_add_nc_u64_e32 v[10:11], v[6:7], v[2:3]
	ds_load_b128 v[6:9], v24 offset:240
	v_lshlrev_b32_e32 v2, 3, v18
	v_cndmask_b32_e64 v12, 0, 1, vcc_lo
	s_wait_dscnt 0x1
	v_cmp_gt_i64_e32 vcc_lo, v[4:5], v[14:15]
	s_delay_alu instid0(VALU_DEP_3) | instskip(NEXT) | instid1(VALU_DEP_3)
	v_add_nc_u64_e32 v[10:11], v[10:11], v[2:3]
	v_lshlrev_b32_e32 v2, 3, v12
	v_cndmask_b32_e64 v12, 0, 1, vcc_lo
	v_cmp_gt_i64_e32 vcc_lo, v[4:5], v[16:17]
	s_delay_alu instid0(VALU_DEP_3) | instskip(NEXT) | instid1(VALU_DEP_3)
	v_add_nc_u64_e32 v[10:11], v[10:11], v[2:3]
	v_lshlrev_b32_e32 v2, 3, v12
	v_cndmask_b32_e64 v12, 0, 1, vcc_lo
	s_wait_dscnt 0x0
	v_cmp_gt_i64_e32 vcc_lo, v[4:5], v[6:7]
	s_delay_alu instid0(VALU_DEP_3) | instskip(NEXT) | instid1(VALU_DEP_3)
	v_add_nc_u64_e32 v[10:11], v[10:11], v[2:3]
	v_lshlrev_b32_e32 v2, 3, v12
	v_cndmask_b32_e64 v12, 0, 1, vcc_lo
	v_cmp_gt_i64_e32 vcc_lo, v[4:5], v[8:9]
	s_delay_alu instid0(VALU_DEP_3) | instskip(SKIP_3) | instid1(VALU_DEP_2)
	v_add_nc_u64_e32 v[6:7], v[10:11], v[2:3]
	ds_load_b64 v[10:11], v22
	v_lshlrev_b32_e32 v2, 3, v12
	v_cndmask_b32_e64 v8, 0, 1, vcc_lo
	v_add_nc_u64_e32 v[4:5], v[6:7], v[2:3]
	s_delay_alu instid0(VALU_DEP_2) | instskip(NEXT) | instid1(VALU_DEP_1)
	v_lshlrev_b32_e32 v2, 3, v8
	v_add_nc_u64_e32 v[4:5], v[4:5], v[2:3]
	s_wait_dscnt 0x0
	global_store_b64 v[4:5], v[10:11], off
	s_branch .LBB121_54
.LBB121_57:
	s_endpgm
	.section	.rodata,"a",@progbits
	.p2align	6, 0x0
	.amdhsa_kernel _ZN9rocsparseL38csrgemm_numeric_fill_wf_per_row_kernelILj256ELj16ELj32ELj137Ell21rocsparse_complex_numIfEEEvT4_S3_PKS3_S5_NS_24const_host_device_scalarIT5_EEPKT3_S5_PKS7_SB_S5_SD_S8_SB_S5_SD_SB_S5_PS7_21rocsparse_index_base_SF_SF_SF_bbb
		.amdhsa_group_segment_fixed_size 8192
		.amdhsa_private_segment_fixed_size 0
		.amdhsa_kernarg_size 164
		.amdhsa_user_sgpr_count 2
		.amdhsa_user_sgpr_dispatch_ptr 0
		.amdhsa_user_sgpr_queue_ptr 0
		.amdhsa_user_sgpr_kernarg_segment_ptr 1
		.amdhsa_user_sgpr_dispatch_id 0
		.amdhsa_user_sgpr_kernarg_preload_length 0
		.amdhsa_user_sgpr_kernarg_preload_offset 0
		.amdhsa_user_sgpr_private_segment_size 0
		.amdhsa_wavefront_size32 1
		.amdhsa_uses_dynamic_stack 0
		.amdhsa_enable_private_segment 0
		.amdhsa_system_sgpr_workgroup_id_x 1
		.amdhsa_system_sgpr_workgroup_id_y 0
		.amdhsa_system_sgpr_workgroup_id_z 0
		.amdhsa_system_sgpr_workgroup_info 0
		.amdhsa_system_vgpr_workitem_id 0
		.amdhsa_next_free_vgpr 28
		.amdhsa_next_free_sgpr 45
		.amdhsa_named_barrier_count 0
		.amdhsa_reserve_vcc 1
		.amdhsa_float_round_mode_32 0
		.amdhsa_float_round_mode_16_64 0
		.amdhsa_float_denorm_mode_32 3
		.amdhsa_float_denorm_mode_16_64 3
		.amdhsa_fp16_overflow 0
		.amdhsa_memory_ordered 1
		.amdhsa_forward_progress 1
		.amdhsa_inst_pref_size 23
		.amdhsa_round_robin_scheduling 0
		.amdhsa_exception_fp_ieee_invalid_op 0
		.amdhsa_exception_fp_denorm_src 0
		.amdhsa_exception_fp_ieee_div_zero 0
		.amdhsa_exception_fp_ieee_overflow 0
		.amdhsa_exception_fp_ieee_underflow 0
		.amdhsa_exception_fp_ieee_inexact 0
		.amdhsa_exception_int_div_zero 0
	.end_amdhsa_kernel
	.section	.text._ZN9rocsparseL38csrgemm_numeric_fill_wf_per_row_kernelILj256ELj16ELj32ELj137Ell21rocsparse_complex_numIfEEEvT4_S3_PKS3_S5_NS_24const_host_device_scalarIT5_EEPKT3_S5_PKS7_SB_S5_SD_S8_SB_S5_SD_SB_S5_PS7_21rocsparse_index_base_SF_SF_SF_bbb,"axG",@progbits,_ZN9rocsparseL38csrgemm_numeric_fill_wf_per_row_kernelILj256ELj16ELj32ELj137Ell21rocsparse_complex_numIfEEEvT4_S3_PKS3_S5_NS_24const_host_device_scalarIT5_EEPKT3_S5_PKS7_SB_S5_SD_S8_SB_S5_SD_SB_S5_PS7_21rocsparse_index_base_SF_SF_SF_bbb,comdat
.Lfunc_end121:
	.size	_ZN9rocsparseL38csrgemm_numeric_fill_wf_per_row_kernelILj256ELj16ELj32ELj137Ell21rocsparse_complex_numIfEEEvT4_S3_PKS3_S5_NS_24const_host_device_scalarIT5_EEPKT3_S5_PKS7_SB_S5_SD_S8_SB_S5_SD_SB_S5_PS7_21rocsparse_index_base_SF_SF_SF_bbb, .Lfunc_end121-_ZN9rocsparseL38csrgemm_numeric_fill_wf_per_row_kernelILj256ELj16ELj32ELj137Ell21rocsparse_complex_numIfEEEvT4_S3_PKS3_S5_NS_24const_host_device_scalarIT5_EEPKT3_S5_PKS7_SB_S5_SD_S8_SB_S5_SD_SB_S5_PS7_21rocsparse_index_base_SF_SF_SF_bbb
                                        ; -- End function
	.set _ZN9rocsparseL38csrgemm_numeric_fill_wf_per_row_kernelILj256ELj16ELj32ELj137Ell21rocsparse_complex_numIfEEEvT4_S3_PKS3_S5_NS_24const_host_device_scalarIT5_EEPKT3_S5_PKS7_SB_S5_SD_S8_SB_S5_SD_SB_S5_PS7_21rocsparse_index_base_SF_SF_SF_bbb.num_vgpr, 28
	.set _ZN9rocsparseL38csrgemm_numeric_fill_wf_per_row_kernelILj256ELj16ELj32ELj137Ell21rocsparse_complex_numIfEEEvT4_S3_PKS3_S5_NS_24const_host_device_scalarIT5_EEPKT3_S5_PKS7_SB_S5_SD_S8_SB_S5_SD_SB_S5_PS7_21rocsparse_index_base_SF_SF_SF_bbb.num_agpr, 0
	.set _ZN9rocsparseL38csrgemm_numeric_fill_wf_per_row_kernelILj256ELj16ELj32ELj137Ell21rocsparse_complex_numIfEEEvT4_S3_PKS3_S5_NS_24const_host_device_scalarIT5_EEPKT3_S5_PKS7_SB_S5_SD_S8_SB_S5_SD_SB_S5_PS7_21rocsparse_index_base_SF_SF_SF_bbb.numbered_sgpr, 45
	.set _ZN9rocsparseL38csrgemm_numeric_fill_wf_per_row_kernelILj256ELj16ELj32ELj137Ell21rocsparse_complex_numIfEEEvT4_S3_PKS3_S5_NS_24const_host_device_scalarIT5_EEPKT3_S5_PKS7_SB_S5_SD_S8_SB_S5_SD_SB_S5_PS7_21rocsparse_index_base_SF_SF_SF_bbb.num_named_barrier, 0
	.set _ZN9rocsparseL38csrgemm_numeric_fill_wf_per_row_kernelILj256ELj16ELj32ELj137Ell21rocsparse_complex_numIfEEEvT4_S3_PKS3_S5_NS_24const_host_device_scalarIT5_EEPKT3_S5_PKS7_SB_S5_SD_S8_SB_S5_SD_SB_S5_PS7_21rocsparse_index_base_SF_SF_SF_bbb.private_seg_size, 0
	.set _ZN9rocsparseL38csrgemm_numeric_fill_wf_per_row_kernelILj256ELj16ELj32ELj137Ell21rocsparse_complex_numIfEEEvT4_S3_PKS3_S5_NS_24const_host_device_scalarIT5_EEPKT3_S5_PKS7_SB_S5_SD_S8_SB_S5_SD_SB_S5_PS7_21rocsparse_index_base_SF_SF_SF_bbb.uses_vcc, 1
	.set _ZN9rocsparseL38csrgemm_numeric_fill_wf_per_row_kernelILj256ELj16ELj32ELj137Ell21rocsparse_complex_numIfEEEvT4_S3_PKS3_S5_NS_24const_host_device_scalarIT5_EEPKT3_S5_PKS7_SB_S5_SD_S8_SB_S5_SD_SB_S5_PS7_21rocsparse_index_base_SF_SF_SF_bbb.uses_flat_scratch, 0
	.set _ZN9rocsparseL38csrgemm_numeric_fill_wf_per_row_kernelILj256ELj16ELj32ELj137Ell21rocsparse_complex_numIfEEEvT4_S3_PKS3_S5_NS_24const_host_device_scalarIT5_EEPKT3_S5_PKS7_SB_S5_SD_S8_SB_S5_SD_SB_S5_PS7_21rocsparse_index_base_SF_SF_SF_bbb.has_dyn_sized_stack, 0
	.set _ZN9rocsparseL38csrgemm_numeric_fill_wf_per_row_kernelILj256ELj16ELj32ELj137Ell21rocsparse_complex_numIfEEEvT4_S3_PKS3_S5_NS_24const_host_device_scalarIT5_EEPKT3_S5_PKS7_SB_S5_SD_S8_SB_S5_SD_SB_S5_PS7_21rocsparse_index_base_SF_SF_SF_bbb.has_recursion, 0
	.set _ZN9rocsparseL38csrgemm_numeric_fill_wf_per_row_kernelILj256ELj16ELj32ELj137Ell21rocsparse_complex_numIfEEEvT4_S3_PKS3_S5_NS_24const_host_device_scalarIT5_EEPKT3_S5_PKS7_SB_S5_SD_S8_SB_S5_SD_SB_S5_PS7_21rocsparse_index_base_SF_SF_SF_bbb.has_indirect_call, 0
	.section	.AMDGPU.csdata,"",@progbits
; Kernel info:
; codeLenInByte = 2916
; TotalNumSgprs: 47
; NumVgprs: 28
; ScratchSize: 0
; MemoryBound: 0
; FloatMode: 240
; IeeeMode: 1
; LDSByteSize: 8192 bytes/workgroup (compile time only)
; SGPRBlocks: 0
; VGPRBlocks: 1
; NumSGPRsForWavesPerEU: 47
; NumVGPRsForWavesPerEU: 28
; NamedBarCnt: 0
; Occupancy: 16
; WaveLimiterHint : 1
; COMPUTE_PGM_RSRC2:SCRATCH_EN: 0
; COMPUTE_PGM_RSRC2:USER_SGPR: 2
; COMPUTE_PGM_RSRC2:TRAP_HANDLER: 0
; COMPUTE_PGM_RSRC2:TGID_X_EN: 1
; COMPUTE_PGM_RSRC2:TGID_Y_EN: 0
; COMPUTE_PGM_RSRC2:TGID_Z_EN: 0
; COMPUTE_PGM_RSRC2:TIDIG_COMP_CNT: 0
	.section	.text._ZN9rocsparseL41csrgemm_numeric_fill_block_per_row_kernelILj128ELj16ELj256ELj137ELj32Ell21rocsparse_complex_numIfEEEvT5_PKS3_S5_NS_24const_host_device_scalarIT6_EEPKT4_S5_PKS7_SB_S5_SD_S8_SB_S5_SD_SB_S5_PS7_21rocsparse_index_base_SF_SF_SF_bbb,"axG",@progbits,_ZN9rocsparseL41csrgemm_numeric_fill_block_per_row_kernelILj128ELj16ELj256ELj137ELj32Ell21rocsparse_complex_numIfEEEvT5_PKS3_S5_NS_24const_host_device_scalarIT6_EEPKT4_S5_PKS7_SB_S5_SD_S8_SB_S5_SD_SB_S5_PS7_21rocsparse_index_base_SF_SF_SF_bbb,comdat
	.globl	_ZN9rocsparseL41csrgemm_numeric_fill_block_per_row_kernelILj128ELj16ELj256ELj137ELj32Ell21rocsparse_complex_numIfEEEvT5_PKS3_S5_NS_24const_host_device_scalarIT6_EEPKT4_S5_PKS7_SB_S5_SD_S8_SB_S5_SD_SB_S5_PS7_21rocsparse_index_base_SF_SF_SF_bbb ; -- Begin function _ZN9rocsparseL41csrgemm_numeric_fill_block_per_row_kernelILj128ELj16ELj256ELj137ELj32Ell21rocsparse_complex_numIfEEEvT5_PKS3_S5_NS_24const_host_device_scalarIT6_EEPKT4_S5_PKS7_SB_S5_SD_S8_SB_S5_SD_SB_S5_PS7_21rocsparse_index_base_SF_SF_SF_bbb
	.p2align	8
	.type	_ZN9rocsparseL41csrgemm_numeric_fill_block_per_row_kernelILj128ELj16ELj256ELj137ELj32Ell21rocsparse_complex_numIfEEEvT5_PKS3_S5_NS_24const_host_device_scalarIT6_EEPKT4_S5_PKS7_SB_S5_SD_S8_SB_S5_SD_SB_S5_PS7_21rocsparse_index_base_SF_SF_SF_bbb,@function
_ZN9rocsparseL41csrgemm_numeric_fill_block_per_row_kernelILj128ELj16ELj256ELj137ELj32Ell21rocsparse_complex_numIfEEEvT5_PKS3_S5_NS_24const_host_device_scalarIT6_EEPKT4_S5_PKS7_SB_S5_SD_S8_SB_S5_SD_SB_S5_PS7_21rocsparse_index_base_SF_SF_SF_bbb: ; @_ZN9rocsparseL41csrgemm_numeric_fill_block_per_row_kernelILj128ELj16ELj256ELj137ELj32Ell21rocsparse_complex_numIfEEEvT5_PKS3_S5_NS_24const_host_device_scalarIT6_EEPKT4_S5_PKS7_SB_S5_SD_S8_SB_S5_SD_SB_S5_PS7_21rocsparse_index_base_SF_SF_SF_bbb
; %bb.0:
	s_clause 0x3
	s_load_b32 s33, s[0:1], 0x98
	s_load_b128 s[20:23], s[0:1], 0x88
	s_load_b64 s[34:35], s[0:1], 0x8
	s_load_b64 s[30:31], s[0:1], 0x50
	s_mov_b32 s3, 0
	s_mov_b32 s41, 0
	s_wait_kmcnt 0x0
	s_bitcmp1_b32 s33, 0
	s_cselect_b32 s38, -1, 0
	s_bitcmp1_b32 s33, 16
	s_cselect_b32 s2, -1, 0
	s_delay_alu instid0(SALU_CYCLE_1) | instskip(SKIP_2) | instid1(VALU_DEP_1)
	s_xor_b32 s4, s2, -1
	s_bitcmp0_b32 s33, 0
	v_cndmask_b32_e64 v1, 0, 1, s4
	v_cmp_ne_u32_e32 vcc_lo, 1, v1
	s_cbranch_scc1 .LBB122_5
; %bb.1:
	s_load_b64 s[2:3], s[0:1], 0x18
	s_and_b32 vcc_lo, exec_lo, vcc_lo
	s_wait_kmcnt 0x0
	s_mov_b32 s41, s2
	s_cbranch_vccnz .LBB122_3
; %bb.2:
	s_load_b32 s41, s[2:3], 0x0
.LBB122_3:
	s_and_not1_b32 vcc_lo, exec_lo, s4
	s_cbranch_vccnz .LBB122_5
; %bb.4:
	s_wait_xcnt 0x0
	s_load_b32 s3, s[2:3], 0x4
.LBB122_5:
	s_clause 0x4
	s_load_b64 s[28:29], s[0:1], 0x80
	s_load_b256 s[4:11], s[0:1], 0x58
	s_load_b128 s[24:27], s[0:1], 0x40
	s_load_b64 s[36:37], s[0:1], 0x10
	s_load_b256 s[12:19], s[0:1], 0x20
	s_bitcmp1_b32 s33, 8
	s_mov_b32 s40, 0
	s_wait_xcnt 0x0
	s_cselect_b32 s2, -1, 0
	s_bfe_u32 s39, s33, 0x10008
	s_mov_b32 s33, 0
	s_cmp_eq_u32 s39, 0
	s_cbranch_scc1 .LBB122_11
; %bb.6:
	v_cmp_ne_u32_e32 vcc_lo, 1, v1
	s_mov_b32 s33, s30
	s_cbranch_vccnz .LBB122_8
; %bb.7:
	s_load_b32 s33, s[30:31], 0x0
.LBB122_8:
	v_cmp_ne_u32_e32 vcc_lo, 1, v1
	s_cbranch_vccnz .LBB122_10
; %bb.9:
	s_wait_xcnt 0x0
	s_load_b32 s31, s[30:31], 0x4
.LBB122_10:
	s_wait_kmcnt 0x0
	s_mov_b32 s40, s31
.LBB122_11:
	s_load_b64 s[30:31], s[0:1], 0x0
	s_wait_xcnt 0x0
	v_cmp_gt_u32_e64 s0, 0x100, v0
	v_or_b32_e32 v20, 0xffffff80, v0
	v_lshl_add_u32 v21, v0, 3, 0
	s_and_saveexec_b32 s1, s0
	s_cbranch_execz .LBB122_14
; %bb.12:
	s_wait_kmcnt 0x0
	v_mov_b64_e32 v[2:3], s[30:31]
	v_or_b32_e32 v1, 0xffffff80, v0
	v_lshl_add_u32 v4, v0, 3, 0
	v_mov_b32_e32 v5, 0
	s_mov_b32 s39, 0
.LBB122_13:                             ; =>This Inner Loop Header: Depth=1
	s_delay_alu instid0(VALU_DEP_3)
	v_add_co_u32 v1, s42, 0x80, v1
	s_xor_b32 s42, s42, -1
	v_add_nc_u32_e32 v6, 0x800, v4
	ds_store_b64 v4, v[2:3]
	v_add_nc_u32_e32 v4, 0x400, v4
	s_and_b32 s42, exec_lo, s42
	s_delay_alu instid0(SALU_CYCLE_1)
	s_or_b32 s39, s42, s39
	ds_store_2addr_b32 v6, v5, v5 offset1:1
	s_and_not1_b32 exec_lo, exec_lo, s39
	s_cbranch_execnz .LBB122_13
.LBB122_14:
	s_or_b32 exec_lo, exec_lo, s1
	s_wait_dscnt 0x0
	s_barrier_signal -1
	s_barrier_wait -1
	s_load_b64 s[34:35], s[34:35], 0x0
	s_bfe_u32 s1, ttmp6, 0x4000c
	s_and_b32 s39, ttmp6, 15
	s_add_co_i32 s1, s1, 1
	s_getreg_b32 s42, hwreg(HW_REG_IB_STS2, 6, 4)
	s_mul_i32 s1, ttmp9, s1
	s_delay_alu instid0(SALU_CYCLE_1)
	s_add_co_i32 s39, s39, s1
	s_wait_kmcnt 0x0
	s_lshl_b64 s[34:35], s[34:35], 3
	s_cmp_eq_u32 s42, 0
	s_add_nc_u64 s[34:35], s[36:37], s[34:35]
	s_cselect_b32 s1, ttmp9, s39
	s_and_b32 vcc_lo, exec_lo, s38
	s_load_b64 s[34:35], s[34:35], s1 offset:0x0 scale_offset
	s_mov_b32 s37, 0
	s_cbranch_vccz .LBB122_34
; %bb.15:
	s_wait_kmcnt 0x0
	s_lshl_b64 s[38:39], s[34:35], 3
	v_dual_mov_b32 v5, 0 :: v_dual_lshrrev_b32 v4, 4, v0
	s_add_nc_u64 s[12:13], s[12:13], s[38:39]
	s_mov_b32 s36, s20
	s_load_b128 s[44:47], s[12:13], 0x0
	s_mov_b32 s1, exec_lo
	v_sub_nc_u64_e64 v[2:3], v[4:5], s[36:37]
	s_wait_kmcnt 0x0
	s_delay_alu instid0(VALU_DEP_1)
	v_add_nc_u64_e32 v[2:3], s[44:45], v[2:3]
	s_sub_nc_u64 s[12:13], s[46:47], s[36:37]
	s_delay_alu instid0(VALU_DEP_1) | instid1(SALU_CYCLE_1)
	v_cmpx_gt_i64_e64 s[12:13], v[2:3]
	s_cbranch_execz .LBB122_33
; %bb.16:
	v_and_b32_e32 v4, 15, v0
	s_mov_b32 s39, 0
	s_mov_b32 s38, s21
	;; [unrolled: 1-line block ×3, first 2 shown]
	s_delay_alu instid0(VALU_DEP_1)
	v_sub_nc_u64_e64 v[4:5], v[4:5], s[38:39]
	s_branch .LBB122_18
.LBB122_17:                             ;   in Loop: Header=BB122_18 Depth=1
	s_or_b32 exec_lo, exec_lo, s21
	v_add_nc_u64_e32 v[2:3], 8, v[2:3]
	s_delay_alu instid0(VALU_DEP_1) | instskip(SKIP_1) | instid1(SALU_CYCLE_1)
	v_cmp_le_i64_e32 vcc_lo, s[12:13], v[2:3]
	s_or_b32 s20, vcc_lo, s20
	s_and_not1_b32 exec_lo, exec_lo, s20
	s_cbranch_execz .LBB122_33
.LBB122_18:                             ; =>This Loop Header: Depth=1
                                        ;     Child Loop BB122_22 Depth 2
                                        ;       Child Loop BB122_25 Depth 3
	v_lshl_add_u64 v[6:7], v[2:3], 3, s[14:15]
	s_mov_b32 s21, exec_lo
	global_load_b64 v[6:7], v[6:7], off
	s_wait_loadcnt 0x0
	s_wait_xcnt 0x0
	v_sub_nc_u64_e64 v[6:7], v[6:7], s[36:37]
	s_delay_alu instid0(VALU_DEP_1)
	v_lshl_add_u64 v[6:7], v[6:7], 3, s[18:19]
	global_load_b128 v[8:11], v[6:7], off
	s_wait_loadcnt 0x0
	s_wait_xcnt 0x0
	v_sub_nc_u64_e64 v[6:7], v[10:11], s[38:39]
	v_add_nc_u64_e32 v[8:9], v[8:9], v[4:5]
	s_delay_alu instid0(VALU_DEP_1)
	v_cmpx_lt_i64_e64 v[8:9], v[6:7]
	s_cbranch_execz .LBB122_17
; %bb.19:                               ;   in Loop: Header=BB122_18 Depth=1
	v_lshl_add_u64 v[10:11], v[2:3], 3, s[16:17]
	s_mov_b32 s42, 0
	global_load_b64 v[10:11], v[10:11], off
	s_wait_loadcnt 0x0
	v_mul_f32_e64 v1, v11, -s3
	s_delay_alu instid0(VALU_DEP_1) | instskip(NEXT) | instid1(VALU_DEP_1)
	v_dual_mul_f32 v22, s41, v11 :: v_dual_fmac_f32 v1, s41, v10
	v_fmac_f32_e32 v22, s3, v10
	s_branch .LBB122_22
.LBB122_20:                             ;   in Loop: Header=BB122_22 Depth=2
	s_or_b32 exec_lo, exec_lo, s44
.LBB122_21:                             ;   in Loop: Header=BB122_22 Depth=2
	s_delay_alu instid0(SALU_CYCLE_1) | instskip(SKIP_4) | instid1(VALU_DEP_3)
	s_or_b32 exec_lo, exec_lo, s43
	s_wait_loadcnt 0x0
	v_dual_mul_f32 v13, v11, -v22 :: v_dual_mul_f32 v11, v1, v11
	v_lshl_add_u32 v12, v12, 3, 0
	v_add_nc_u64_e32 v[8:9], 16, v[8:9]
	v_dual_fmac_f32 v13, v1, v10 :: v_dual_fmac_f32 v11, v22, v10
	ds_add_f32 v12, v13 offset:2048
	ds_add_f32 v12, v11 offset:2052
	v_cmp_ge_i64_e32 vcc_lo, v[8:9], v[6:7]
	s_or_b32 s42, vcc_lo, s42
	s_delay_alu instid0(SALU_CYCLE_1)
	s_and_not1_b32 exec_lo, exec_lo, s42
	s_cbranch_execz .LBB122_17
.LBB122_22:                             ;   Parent Loop BB122_18 Depth=1
                                        ; =>  This Loop Header: Depth=2
                                        ;       Child Loop BB122_25 Depth 3
	s_wait_xcnt 0x0
	v_lshlrev_b64_e32 v[10:11], 3, v[8:9]
	s_mov_b32 s43, exec_lo
	s_delay_alu instid0(VALU_DEP_1)
	v_add_nc_u64_e32 v[12:13], s[24:25], v[10:11]
	v_add_nc_u64_e32 v[10:11], s[26:27], v[10:11]
	global_load_b64 v[12:13], v[12:13], off
	global_load_b64 v[10:11], v[10:11], off
	s_wait_loadcnt 0x1
	v_sub_nc_u64_e64 v[14:15], v[12:13], s[38:39]
	s_wait_xcnt 0x1
	s_delay_alu instid0(VALU_DEP_1) | instskip(NEXT) | instid1(VALU_DEP_1)
	v_mul_lo_u32 v12, 0x89, v14
	v_and_b32_e32 v12, 0xff, v12
	s_delay_alu instid0(VALU_DEP_1)
	v_lshl_add_u32 v23, v12, 3, 0
	ds_load_b64 v[18:19], v23
	s_wait_dscnt 0x0
	s_wait_xcnt 0x0
	v_cmpx_ne_u64_e64 v[18:19], v[14:15]
	s_cbranch_execz .LBB122_21
; %bb.23:                               ;   in Loop: Header=BB122_22 Depth=2
	s_mov_b32 s44, 0
                                        ; implicit-def: $sgpr45
                                        ; implicit-def: $sgpr46
	s_branch .LBB122_25
.LBB122_24:                             ;   in Loop: Header=BB122_25 Depth=3
	s_or_b32 exec_lo, exec_lo, s49
	s_delay_alu instid0(SALU_CYCLE_1) | instskip(NEXT) | instid1(SALU_CYCLE_1)
	s_and_b32 s47, exec_lo, s48
	s_or_b32 s44, s47, s44
	s_and_not1_b32 s45, s45, exec_lo
	s_and_b32 s47, s46, exec_lo
	s_delay_alu instid0(SALU_CYCLE_1)
	s_or_b32 s45, s45, s47
	s_and_not1_b32 exec_lo, exec_lo, s44
	s_cbranch_execz .LBB122_31
.LBB122_25:                             ;   Parent Loop BB122_18 Depth=1
                                        ;     Parent Loop BB122_22 Depth=2
                                        ; =>    This Inner Loop Header: Depth=3
	v_mov_b64_e32 v[16:17], v[12:13]
	s_mov_b32 s47, 0
	s_mov_b32 s48, exec_lo
                                        ; implicit-def: $vgpr12_vgpr13
	v_cmpx_ne_u64_e64 s[30:31], v[18:19]
	s_xor_b32 s48, exec_lo, s48
; %bb.26:                               ;   in Loop: Header=BB122_25 Depth=3
	s_delay_alu instid0(VALU_DEP_2) | instskip(SKIP_1) | instid1(VALU_DEP_1)
	v_add_nc_u32_e32 v12, 1, v16
	s_mov_b32 s47, exec_lo
                                        ; implicit-def: $vgpr23
	v_and_b32_e32 v12, 0xff, v12
; %bb.27:                               ;   in Loop: Header=BB122_25 Depth=3
	s_and_not1_saveexec_b32 s48, s48
	s_cbranch_execz .LBB122_29
; %bb.28:                               ;   in Loop: Header=BB122_25 Depth=3
	v_mov_b64_e32 v[12:13], s[30:31]
	s_and_not1_b32 s47, s47, exec_lo
	ds_cmpstore_rtn_b64 v[12:13], v23, v[14:15], v[12:13]
	s_wait_dscnt 0x0
	v_cmp_ne_u64_e32 vcc_lo, s[30:31], v[12:13]
	v_mov_b64_e32 v[12:13], v[16:17]
	s_and_b32 s49, vcc_lo, exec_lo
	s_delay_alu instid0(SALU_CYCLE_1)
	s_or_b32 s47, s47, s49
.LBB122_29:                             ;   in Loop: Header=BB122_25 Depth=3
	s_or_b32 exec_lo, exec_lo, s48
	s_mov_b32 s48, -1
	s_or_b32 s46, s46, exec_lo
                                        ; implicit-def: $vgpr23
                                        ; implicit-def: $vgpr18_vgpr19
	s_and_saveexec_b32 s49, s47
	s_cbranch_execz .LBB122_24
; %bb.30:                               ;   in Loop: Header=BB122_25 Depth=3
	v_lshl_add_u32 v23, v12, 3, 0
	s_and_not1_b32 s46, s46, exec_lo
	ds_load_b64 v[18:19], v23
	s_wait_dscnt 0x0
	v_cmp_eq_u64_e32 vcc_lo, v[18:19], v[14:15]
	s_or_not1_b32 s48, vcc_lo, exec_lo
	s_branch .LBB122_24
.LBB122_31:                             ;   in Loop: Header=BB122_22 Depth=2
	s_or_b32 exec_lo, exec_lo, s44
	s_and_saveexec_b32 s44, s45
	s_delay_alu instid0(SALU_CYCLE_1)
	s_xor_b32 s44, exec_lo, s44
	s_cbranch_execz .LBB122_20
; %bb.32:                               ;   in Loop: Header=BB122_22 Depth=2
	v_mov_b32_e32 v12, v16
	s_branch .LBB122_20
.LBB122_33:
	s_or_b32 exec_lo, exec_lo, s1
.LBB122_34:
	s_delay_alu instid0(SALU_CYCLE_1)
	s_and_not1_b32 vcc_lo, exec_lo, s2
	s_cbranch_vccnz .LBB122_51
; %bb.35:
	s_wait_kmcnt 0x0
	s_lshl_b64 s[2:3], s[34:35], 3
	v_mov_b32_e32 v1, 0
	s_add_nc_u64 s[2:3], s[4:5], s[2:3]
	s_mov_b32 s1, exec_lo
	s_load_b128 s[12:15], s[2:3], 0x0
	s_wait_xcnt 0x0
	s_mov_b32 s3, 0
	s_mov_b32 s2, s23
	s_delay_alu instid0(SALU_CYCLE_1) | instskip(SKIP_1) | instid1(VALU_DEP_1)
	v_sub_nc_u64_e64 v[2:3], v[0:1], s[2:3]
	s_wait_kmcnt 0x0
	v_add_nc_u64_e32 v[2:3], s[12:13], v[2:3]
	s_sub_nc_u64 s[4:5], s[14:15], s[2:3]
	s_delay_alu instid0(VALU_DEP_1) | instid1(SALU_CYCLE_1)
	v_cmpx_gt_i64_e64 s[4:5], v[2:3]
	s_cbranch_execz .LBB122_50
; %bb.36:
	s_mov_b32 s12, s3
	s_branch .LBB122_39
.LBB122_37:                             ;   in Loop: Header=BB122_39 Depth=1
	s_or_b32 exec_lo, exec_lo, s14
.LBB122_38:                             ;   in Loop: Header=BB122_39 Depth=1
	s_delay_alu instid0(SALU_CYCLE_1)
	s_or_b32 exec_lo, exec_lo, s13
	s_wait_loadcnt 0x0
	v_mul_f32_e64 v1, v5, -s40
	v_mul_f32_e32 v5, s33, v5
	v_lshl_add_u32 v6, v6, 3, 0
	v_add_nc_u64_e32 v[2:3], 0x80, v[2:3]
	s_delay_alu instid0(VALU_DEP_4) | instskip(NEXT) | instid1(VALU_DEP_4)
	v_fmac_f32_e32 v1, s33, v4
	v_fmac_f32_e32 v5, s40, v4
	ds_add_f32 v6, v1 offset:2048
	ds_add_f32 v6, v5 offset:2052
	v_cmp_le_i64_e32 vcc_lo, s[4:5], v[2:3]
	s_or_b32 s12, vcc_lo, s12
	s_delay_alu instid0(SALU_CYCLE_1)
	s_and_not1_b32 exec_lo, exec_lo, s12
	s_cbranch_execz .LBB122_50
.LBB122_39:                             ; =>This Loop Header: Depth=1
                                        ;     Child Loop BB122_42 Depth 2
	v_lshlrev_b64_e32 v[4:5], 3, v[2:3]
	s_mov_b32 s13, exec_lo
	s_delay_alu instid0(VALU_DEP_1)
	v_add_nc_u64_e32 v[6:7], s[6:7], v[4:5]
	v_add_nc_u64_e32 v[4:5], s[8:9], v[4:5]
	global_load_b64 v[6:7], v[6:7], off
	global_load_b64 v[4:5], v[4:5], off
	s_wait_loadcnt 0x1
	v_sub_nc_u64_e64 v[8:9], v[6:7], s[2:3]
	s_delay_alu instid0(VALU_DEP_1) | instskip(NEXT) | instid1(VALU_DEP_1)
	v_mul_lo_u32 v1, 0x89, v8
	v_and_b32_e32 v6, 0xff, v1
	s_delay_alu instid0(VALU_DEP_1)
	v_lshl_add_u32 v1, v6, 3, 0
	ds_load_b64 v[12:13], v1
	s_wait_dscnt 0x0
	s_wait_xcnt 0x0
	v_cmpx_ne_u64_e64 v[12:13], v[8:9]
	s_cbranch_execz .LBB122_38
; %bb.40:                               ;   in Loop: Header=BB122_39 Depth=1
	s_mov_b32 s14, 0
                                        ; implicit-def: $sgpr15
                                        ; implicit-def: $sgpr16
	s_branch .LBB122_42
.LBB122_41:                             ;   in Loop: Header=BB122_42 Depth=2
	s_or_b32 exec_lo, exec_lo, s19
	s_delay_alu instid0(SALU_CYCLE_1) | instskip(NEXT) | instid1(SALU_CYCLE_1)
	s_and_b32 s17, exec_lo, s18
	s_or_b32 s14, s17, s14
	s_and_not1_b32 s15, s15, exec_lo
	s_and_b32 s17, s16, exec_lo
	s_delay_alu instid0(SALU_CYCLE_1)
	s_or_b32 s15, s15, s17
	s_and_not1_b32 exec_lo, exec_lo, s14
	s_cbranch_execz .LBB122_48
.LBB122_42:                             ;   Parent Loop BB122_39 Depth=1
                                        ; =>  This Inner Loop Header: Depth=2
	v_mov_b64_e32 v[10:11], v[6:7]
	s_mov_b32 s17, 0
	s_mov_b32 s18, exec_lo
                                        ; implicit-def: $vgpr6_vgpr7
	v_cmpx_ne_u64_e64 s[30:31], v[12:13]
	s_xor_b32 s18, exec_lo, s18
; %bb.43:                               ;   in Loop: Header=BB122_42 Depth=2
	s_delay_alu instid0(VALU_DEP_2) | instskip(SKIP_1) | instid1(VALU_DEP_1)
	v_add_nc_u32_e32 v1, 1, v10
	s_mov_b32 s17, exec_lo
	v_and_b32_e32 v6, 0xff, v1
                                        ; implicit-def: $vgpr1
; %bb.44:                               ;   in Loop: Header=BB122_42 Depth=2
	s_and_not1_saveexec_b32 s18, s18
	s_cbranch_execz .LBB122_46
; %bb.45:                               ;   in Loop: Header=BB122_42 Depth=2
	v_mov_b64_e32 v[6:7], s[30:31]
	s_and_not1_b32 s17, s17, exec_lo
	ds_cmpstore_rtn_b64 v[6:7], v1, v[8:9], v[6:7]
	s_wait_dscnt 0x0
	v_cmp_ne_u64_e32 vcc_lo, s[30:31], v[6:7]
	v_mov_b64_e32 v[6:7], v[10:11]
	s_and_b32 s19, vcc_lo, exec_lo
	s_delay_alu instid0(SALU_CYCLE_1)
	s_or_b32 s17, s17, s19
.LBB122_46:                             ;   in Loop: Header=BB122_42 Depth=2
	s_or_b32 exec_lo, exec_lo, s18
	s_mov_b32 s18, -1
	s_or_b32 s16, s16, exec_lo
                                        ; implicit-def: $vgpr1
                                        ; implicit-def: $vgpr12_vgpr13
	s_and_saveexec_b32 s19, s17
	s_cbranch_execz .LBB122_41
; %bb.47:                               ;   in Loop: Header=BB122_42 Depth=2
	v_lshl_add_u32 v1, v6, 3, 0
	s_and_not1_b32 s16, s16, exec_lo
	ds_load_b64 v[12:13], v1
	s_wait_dscnt 0x0
	v_cmp_eq_u64_e32 vcc_lo, v[12:13], v[8:9]
	s_or_not1_b32 s18, vcc_lo, exec_lo
	s_branch .LBB122_41
.LBB122_48:                             ;   in Loop: Header=BB122_39 Depth=1
	s_or_b32 exec_lo, exec_lo, s14
	s_and_saveexec_b32 s14, s15
	s_delay_alu instid0(SALU_CYCLE_1)
	s_xor_b32 s14, exec_lo, s14
	s_cbranch_execz .LBB122_37
; %bb.49:                               ;   in Loop: Header=BB122_39 Depth=1
	v_mov_b32_e32 v6, v10
	s_branch .LBB122_37
.LBB122_50:
	s_or_b32 exec_lo, exec_lo, s1
.LBB122_51:
	s_wait_dscnt 0x0
	s_barrier_signal -1
	s_barrier_wait -1
	s_and_saveexec_b32 s4, s0
	s_cbranch_execz .LBB122_64
; %bb.52:
	v_mbcnt_lo_u32_b32 v1, -1, 0
	v_dual_mov_b32 v3, 0 :: v_dual_lshrrev_b32 v2, 2, v0
	v_mov_b64_e32 v[4:5], 0
	v_cmp_lt_u32_e64 s0, 31, v0
	s_delay_alu instid0(VALU_DEP_4) | instskip(NEXT) | instid1(VALU_DEP_4)
	v_xor_b32_e32 v1, 31, v1
	v_and_b32_e32 v2, 24, v2
	s_wait_xcnt 0x0
	v_cmp_lt_u32_e64 s1, 63, v0
	v_cmp_lt_u32_e64 s2, 0x5f, v0
	s_mov_b32 s5, 0
	v_lshrrev_b32_e64 v6, v1, -1
	v_add_nc_u32_e32 v1, 0, v2
	v_cmp_eq_u32_e32 vcc_lo, 0x7f, v0
	s_branch .LBB122_54
.LBB122_53:                             ;   in Loop: Header=BB122_54 Depth=1
	s_or_b32 exec_lo, exec_lo, s3
	s_wait_dscnt 0x0
	s_barrier_signal -1
	s_barrier_wait -1
	ds_load_b64 v[8:9], v3 offset:4120
	v_add_co_u32 v20, s3, 0x80, v20
	s_xor_b32 s3, s3, -1
	v_add_nc_u32_e32 v21, 0x400, v21
	s_and_b32 s3, exec_lo, s3
	s_delay_alu instid0(SALU_CYCLE_1)
	s_or_b32 s5, s3, s5
	s_wait_dscnt 0x0
	v_add_nc_u64_e32 v[4:5], v[8:9], v[4:5]
	s_and_not1_b32 exec_lo, exec_lo, s5
	s_cbranch_execz .LBB122_64
.LBB122_54:                             ; =>This Inner Loop Header: Depth=1
	ds_load_b64 v[8:9], v21
	v_add_nc_u32_e32 v2, 0x800, v21
	ds_load_2addr_b32 v[10:11], v2 offset1:1
	s_wait_dscnt 0x0
	s_barrier_signal -1
	s_barrier_wait -1
	v_cmp_gt_i64_e64 s3, s[30:31], v[8:9]
	s_bcnt1_i32_b32 s6, s3
	s_delay_alu instid0(SALU_CYCLE_1) | instskip(NEXT) | instid1(VALU_DEP_1)
	v_dual_mov_b32 v2, s6 :: v_dual_bitop2_b32 v7, s3, v6 bitop3:0x40
	v_bcnt_u32_b32 v12, v7, 0
	ds_store_b64 v1, v[2:3] offset:4096
	s_wait_dscnt 0x0
	s_barrier_signal -1
	s_barrier_wait -1
	s_and_saveexec_b32 s6, s0
	s_cbranch_execnz .LBB122_59
; %bb.55:                               ;   in Loop: Header=BB122_54 Depth=1
	s_or_b32 exec_lo, exec_lo, s6
	s_and_saveexec_b32 s6, s1
	s_cbranch_execnz .LBB122_60
.LBB122_56:                             ;   in Loop: Header=BB122_54 Depth=1
	s_or_b32 exec_lo, exec_lo, s6
	s_and_saveexec_b32 s6, s2
	s_cbranch_execnz .LBB122_61
.LBB122_57:                             ;   in Loop: Header=BB122_54 Depth=1
	s_or_b32 exec_lo, exec_lo, s6
	v_ashrrev_i32_e32 v13, 31, v12
	s_and_saveexec_b32 s6, s3
	s_cbranch_execnz .LBB122_62
.LBB122_58:                             ;   in Loop: Header=BB122_54 Depth=1
	s_or_b32 exec_lo, exec_lo, s6
	s_and_saveexec_b32 s3, vcc_lo
	s_cbranch_execz .LBB122_53
	s_branch .LBB122_63
.LBB122_59:                             ;   in Loop: Header=BB122_54 Depth=1
	ds_load_b32 v2, v3 offset:4096
	s_wait_dscnt 0x0
	v_add_nc_u32_e32 v12, v2, v12
	s_or_b32 exec_lo, exec_lo, s6
	s_and_saveexec_b32 s6, s1
	s_cbranch_execz .LBB122_56
.LBB122_60:                             ;   in Loop: Header=BB122_54 Depth=1
	ds_load_b32 v2, v3 offset:4104
	s_wait_dscnt 0x0
	v_add_nc_u32_e32 v12, v12, v2
	s_or_b32 exec_lo, exec_lo, s6
	s_and_saveexec_b32 s6, s2
	s_cbranch_execz .LBB122_57
.LBB122_61:                             ;   in Loop: Header=BB122_54 Depth=1
	ds_load_b32 v2, v3 offset:4112
	s_wait_dscnt 0x0
	v_add_nc_u32_e32 v12, v12, v2
	s_or_b32 exec_lo, exec_lo, s6
	s_delay_alu instid0(VALU_DEP_1)
	v_ashrrev_i32_e32 v13, 31, v12
	s_and_saveexec_b32 s6, s3
	s_cbranch_execz .LBB122_58
.LBB122_62:                             ;   in Loop: Header=BB122_54 Depth=1
	v_add3_u32 v2, v4, -1, v12
	v_add_lshl_u32 v7, v4, v12, 3
	s_delay_alu instid0(VALU_DEP_2) | instskip(NEXT) | instid1(VALU_DEP_2)
	v_lshl_add_u32 v2, v2, 3, 0
	v_add3_u32 v7, 0, v7, 0x7f8
	ds_store_b64 v2, v[8:9]
	ds_store_2addr_b32 v7, v10, v11 offset1:1
	s_or_b32 exec_lo, exec_lo, s6
	s_and_saveexec_b32 s3, vcc_lo
	s_cbranch_execz .LBB122_53
.LBB122_63:                             ;   in Loop: Header=BB122_54 Depth=1
	ds_store_b64 v3, v[12:13] offset:4120
	s_branch .LBB122_53
.LBB122_64:
	s_or_b32 exec_lo, exec_lo, s4
	s_wait_kmcnt 0x0
	s_lshl_b64 s[0:1], s[34:35], 3
	v_mov_b32_e32 v1, 0
	s_add_nc_u64 s[4:5], s[10:11], s[0:1]
	s_mov_b32 s6, exec_lo
	s_load_b128 s[0:3], s[4:5], 0x0
	s_wait_kmcnt 0x0
	s_sub_nc_u64 s[4:5], s[2:3], s[0:1]
	s_delay_alu instid0(SALU_CYCLE_1)
	v_cmpx_gt_i64_e64 s[4:5], v[0:1]
	s_cbranch_execz .LBB122_74
; %bb.65:
	s_sub_nc_u64 s[8:9], s[0:1], s[2:3]
	s_and_b64 s[6:7], s[4:5], 7
	v_cmp_lt_u64_e64 s10, s[8:9], -7
	s_and_b64 s[2:3], s[4:5], -8
	s_mov_b32 s23, 0
	s_cmp_lg_u64 s[6:7], 0
	s_sub_nc_u64 s[0:1], s[0:1], s[22:23]
	s_cselect_b32 s11, -1, 0
	s_mov_b32 s12, 0
	s_branch .LBB122_67
.LBB122_66:                             ;   in Loop: Header=BB122_67 Depth=1
	v_add_nc_u64_e32 v[0:1], 0x80, v[0:1]
	s_wait_dscnt 0x1
	s_delay_alu instid0(VALU_DEP_2)
	v_lshl_add_u64 v[4:5], v[6:7], 3, s[28:29]
	s_wait_dscnt 0x0
	global_store_b64 v[4:5], v[2:3], off
	v_cmp_le_i64_e32 vcc_lo, s[4:5], v[0:1]
	s_or_b32 s12, vcc_lo, s12
	s_wait_xcnt 0x0
	s_and_not1_b32 exec_lo, exec_lo, s12
	s_cbranch_execz .LBB122_74
.LBB122_67:                             ; =>This Loop Header: Depth=1
                                        ;     Child Loop BB122_69 Depth 2
                                        ;     Child Loop BB122_73 Depth 2
	v_lshl_add_u32 v2, v0, 3, 0
	v_mov_b64_e32 v[6:7], s[0:1]
	s_and_not1_b32 vcc_lo, exec_lo, s10
	s_mov_b64 s[8:9], 0
	s_delay_alu instid0(VALU_DEP_2)
	v_add_nc_u32_e32 v3, 0x800, v2
	ds_load_b64 v[4:5], v2
	ds_load_2addr_b32 v[2:3], v3 offset1:1
	s_cbranch_vccnz .LBB122_71
; %bb.68:                               ;   in Loop: Header=BB122_67 Depth=1
	v_mov_b64_e32 v[6:7], s[0:1]
	s_mov_b32 s13, 0
.LBB122_69:                             ;   Parent Loop BB122_67 Depth=1
                                        ; =>  This Inner Loop Header: Depth=2
	s_delay_alu instid0(SALU_CYCLE_1)
	v_dual_mov_b32 v20, s13 :: v_dual_mov_b32 v17, s23
	v_mov_b32_e32 v19, s23
	s_add_nc_u64 s[8:9], s[8:9], 8
	s_add_co_i32 s13, s13, 64
	ds_load_2addr_b64 v[8:11], v20 offset1:1
	ds_load_2addr_b64 v[12:15], v20 offset0:2 offset1:3
	s_cmp_eq_u64 s[2:3], s[8:9]
	s_wait_dscnt 0x1
	v_cmp_gt_i64_e32 vcc_lo, v[4:5], v[8:9]
	v_cndmask_b32_e64 v16, 0, 1, vcc_lo
	v_cmp_gt_i64_e32 vcc_lo, v[4:5], v[10:11]
	s_delay_alu instid0(VALU_DEP_2) | instskip(SKIP_4) | instid1(VALU_DEP_2)
	v_add_nc_u64_e32 v[10:11], v[6:7], v[16:17]
	ds_load_2addr_b64 v[6:9], v20 offset0:4 offset1:5
	v_cndmask_b32_e64 v18, 0, 1, vcc_lo
	s_wait_dscnt 0x1
	v_cmp_gt_i64_e32 vcc_lo, v[4:5], v[12:13]
	v_add_nc_u64_e32 v[10:11], v[10:11], v[18:19]
	v_cndmask_b32_e64 v16, 0, 1, vcc_lo
	v_cmp_gt_i64_e32 vcc_lo, v[4:5], v[14:15]
	s_delay_alu instid0(VALU_DEP_2)
	v_add_nc_u64_e32 v[14:15], v[10:11], v[16:17]
	ds_load_2addr_b64 v[10:13], v20 offset0:6 offset1:7
	v_cndmask_b32_e64 v18, 0, 1, vcc_lo
	s_wait_dscnt 0x1
	v_cmp_gt_i64_e32 vcc_lo, v[4:5], v[6:7]
	v_mov_b32_e32 v7, s23
	s_delay_alu instid0(VALU_DEP_3) | instskip(SKIP_3) | instid1(VALU_DEP_3)
	v_add_nc_u64_e32 v[14:15], v[14:15], v[18:19]
	v_cndmask_b32_e64 v16, 0, 1, vcc_lo
	v_cmp_gt_i64_e32 vcc_lo, v[4:5], v[8:9]
	v_mov_b32_e32 v9, s23
	v_add_nc_u64_e32 v[14:15], v[14:15], v[16:17]
	v_cndmask_b32_e64 v6, 0, 1, vcc_lo
	s_wait_dscnt 0x0
	v_cmp_gt_i64_e32 vcc_lo, v[4:5], v[10:11]
	v_mov_b32_e32 v11, s23
	s_delay_alu instid0(VALU_DEP_3) | instskip(SKIP_2) | instid1(VALU_DEP_2)
	v_add_nc_u64_e32 v[6:7], v[14:15], v[6:7]
	v_cndmask_b32_e64 v8, 0, 1, vcc_lo
	v_cmp_gt_i64_e32 vcc_lo, v[4:5], v[12:13]
	v_add_nc_u64_e32 v[6:7], v[6:7], v[8:9]
	v_cndmask_b32_e64 v10, 0, 1, vcc_lo
	s_delay_alu instid0(VALU_DEP_1)
	v_add_nc_u64_e32 v[6:7], v[6:7], v[10:11]
	s_cbranch_scc0 .LBB122_69
; %bb.70:                               ;   in Loop: Header=BB122_67 Depth=1
	s_mov_b64 s[8:9], s[2:3]
.LBB122_71:                             ;   in Loop: Header=BB122_67 Depth=1
	s_and_not1_b32 vcc_lo, exec_lo, s11
	s_cbranch_vccnz .LBB122_66
; %bb.72:                               ;   in Loop: Header=BB122_67 Depth=1
	s_lshl_b32 s8, s8, 3
	s_delay_alu instid0(SALU_CYCLE_1)
	s_add_co_i32 s13, s8, 0
	s_mov_b64 s[8:9], s[6:7]
.LBB122_73:                             ;   Parent Loop BB122_67 Depth=1
                                        ; =>  This Inner Loop Header: Depth=2
	v_dual_mov_b32 v8, s13 :: v_dual_mov_b32 v11, s23
	s_add_nc_u64 s[8:9], s[8:9], -1
	s_add_co_i32 s13, s13, 8
	s_cmp_lg_u64 s[8:9], 0
	ds_load_b64 v[8:9], v8
	s_wait_dscnt 0x0
	v_cmp_gt_i64_e32 vcc_lo, v[4:5], v[8:9]
	v_cndmask_b32_e64 v10, 0, 1, vcc_lo
	s_delay_alu instid0(VALU_DEP_1)
	v_add_nc_u64_e32 v[6:7], v[6:7], v[10:11]
	s_cbranch_scc1 .LBB122_73
	s_branch .LBB122_66
.LBB122_74:
	s_endpgm
	.section	.rodata,"a",@progbits
	.p2align	6, 0x0
	.amdhsa_kernel _ZN9rocsparseL41csrgemm_numeric_fill_block_per_row_kernelILj128ELj16ELj256ELj137ELj32Ell21rocsparse_complex_numIfEEEvT5_PKS3_S5_NS_24const_host_device_scalarIT6_EEPKT4_S5_PKS7_SB_S5_SD_S8_SB_S5_SD_SB_S5_PS7_21rocsparse_index_base_SF_SF_SF_bbb
		.amdhsa_group_segment_fixed_size 0
		.amdhsa_private_segment_fixed_size 0
		.amdhsa_kernarg_size 156
		.amdhsa_user_sgpr_count 2
		.amdhsa_user_sgpr_dispatch_ptr 0
		.amdhsa_user_sgpr_queue_ptr 0
		.amdhsa_user_sgpr_kernarg_segment_ptr 1
		.amdhsa_user_sgpr_dispatch_id 0
		.amdhsa_user_sgpr_kernarg_preload_length 0
		.amdhsa_user_sgpr_kernarg_preload_offset 0
		.amdhsa_user_sgpr_private_segment_size 0
		.amdhsa_wavefront_size32 1
		.amdhsa_uses_dynamic_stack 0
		.amdhsa_enable_private_segment 0
		.amdhsa_system_sgpr_workgroup_id_x 1
		.amdhsa_system_sgpr_workgroup_id_y 0
		.amdhsa_system_sgpr_workgroup_id_z 0
		.amdhsa_system_sgpr_workgroup_info 0
		.amdhsa_system_vgpr_workitem_id 0
		.amdhsa_next_free_vgpr 24
		.amdhsa_next_free_sgpr 50
		.amdhsa_named_barrier_count 0
		.amdhsa_reserve_vcc 1
		.amdhsa_float_round_mode_32 0
		.amdhsa_float_round_mode_16_64 0
		.amdhsa_float_denorm_mode_32 3
		.amdhsa_float_denorm_mode_16_64 3
		.amdhsa_fp16_overflow 0
		.amdhsa_memory_ordered 1
		.amdhsa_forward_progress 1
		.amdhsa_inst_pref_size 23
		.amdhsa_round_robin_scheduling 0
		.amdhsa_exception_fp_ieee_invalid_op 0
		.amdhsa_exception_fp_denorm_src 0
		.amdhsa_exception_fp_ieee_div_zero 0
		.amdhsa_exception_fp_ieee_overflow 0
		.amdhsa_exception_fp_ieee_underflow 0
		.amdhsa_exception_fp_ieee_inexact 0
		.amdhsa_exception_int_div_zero 0
	.end_amdhsa_kernel
	.section	.text._ZN9rocsparseL41csrgemm_numeric_fill_block_per_row_kernelILj128ELj16ELj256ELj137ELj32Ell21rocsparse_complex_numIfEEEvT5_PKS3_S5_NS_24const_host_device_scalarIT6_EEPKT4_S5_PKS7_SB_S5_SD_S8_SB_S5_SD_SB_S5_PS7_21rocsparse_index_base_SF_SF_SF_bbb,"axG",@progbits,_ZN9rocsparseL41csrgemm_numeric_fill_block_per_row_kernelILj128ELj16ELj256ELj137ELj32Ell21rocsparse_complex_numIfEEEvT5_PKS3_S5_NS_24const_host_device_scalarIT6_EEPKT4_S5_PKS7_SB_S5_SD_S8_SB_S5_SD_SB_S5_PS7_21rocsparse_index_base_SF_SF_SF_bbb,comdat
.Lfunc_end122:
	.size	_ZN9rocsparseL41csrgemm_numeric_fill_block_per_row_kernelILj128ELj16ELj256ELj137ELj32Ell21rocsparse_complex_numIfEEEvT5_PKS3_S5_NS_24const_host_device_scalarIT6_EEPKT4_S5_PKS7_SB_S5_SD_S8_SB_S5_SD_SB_S5_PS7_21rocsparse_index_base_SF_SF_SF_bbb, .Lfunc_end122-_ZN9rocsparseL41csrgemm_numeric_fill_block_per_row_kernelILj128ELj16ELj256ELj137ELj32Ell21rocsparse_complex_numIfEEEvT5_PKS3_S5_NS_24const_host_device_scalarIT6_EEPKT4_S5_PKS7_SB_S5_SD_S8_SB_S5_SD_SB_S5_PS7_21rocsparse_index_base_SF_SF_SF_bbb
                                        ; -- End function
	.set _ZN9rocsparseL41csrgemm_numeric_fill_block_per_row_kernelILj128ELj16ELj256ELj137ELj32Ell21rocsparse_complex_numIfEEEvT5_PKS3_S5_NS_24const_host_device_scalarIT6_EEPKT4_S5_PKS7_SB_S5_SD_S8_SB_S5_SD_SB_S5_PS7_21rocsparse_index_base_SF_SF_SF_bbb.num_vgpr, 24
	.set _ZN9rocsparseL41csrgemm_numeric_fill_block_per_row_kernelILj128ELj16ELj256ELj137ELj32Ell21rocsparse_complex_numIfEEEvT5_PKS3_S5_NS_24const_host_device_scalarIT6_EEPKT4_S5_PKS7_SB_S5_SD_S8_SB_S5_SD_SB_S5_PS7_21rocsparse_index_base_SF_SF_SF_bbb.num_agpr, 0
	.set _ZN9rocsparseL41csrgemm_numeric_fill_block_per_row_kernelILj128ELj16ELj256ELj137ELj32Ell21rocsparse_complex_numIfEEEvT5_PKS3_S5_NS_24const_host_device_scalarIT6_EEPKT4_S5_PKS7_SB_S5_SD_S8_SB_S5_SD_SB_S5_PS7_21rocsparse_index_base_SF_SF_SF_bbb.numbered_sgpr, 50
	.set _ZN9rocsparseL41csrgemm_numeric_fill_block_per_row_kernelILj128ELj16ELj256ELj137ELj32Ell21rocsparse_complex_numIfEEEvT5_PKS3_S5_NS_24const_host_device_scalarIT6_EEPKT4_S5_PKS7_SB_S5_SD_S8_SB_S5_SD_SB_S5_PS7_21rocsparse_index_base_SF_SF_SF_bbb.num_named_barrier, 0
	.set _ZN9rocsparseL41csrgemm_numeric_fill_block_per_row_kernelILj128ELj16ELj256ELj137ELj32Ell21rocsparse_complex_numIfEEEvT5_PKS3_S5_NS_24const_host_device_scalarIT6_EEPKT4_S5_PKS7_SB_S5_SD_S8_SB_S5_SD_SB_S5_PS7_21rocsparse_index_base_SF_SF_SF_bbb.private_seg_size, 0
	.set _ZN9rocsparseL41csrgemm_numeric_fill_block_per_row_kernelILj128ELj16ELj256ELj137ELj32Ell21rocsparse_complex_numIfEEEvT5_PKS3_S5_NS_24const_host_device_scalarIT6_EEPKT4_S5_PKS7_SB_S5_SD_S8_SB_S5_SD_SB_S5_PS7_21rocsparse_index_base_SF_SF_SF_bbb.uses_vcc, 1
	.set _ZN9rocsparseL41csrgemm_numeric_fill_block_per_row_kernelILj128ELj16ELj256ELj137ELj32Ell21rocsparse_complex_numIfEEEvT5_PKS3_S5_NS_24const_host_device_scalarIT6_EEPKT4_S5_PKS7_SB_S5_SD_S8_SB_S5_SD_SB_S5_PS7_21rocsparse_index_base_SF_SF_SF_bbb.uses_flat_scratch, 0
	.set _ZN9rocsparseL41csrgemm_numeric_fill_block_per_row_kernelILj128ELj16ELj256ELj137ELj32Ell21rocsparse_complex_numIfEEEvT5_PKS3_S5_NS_24const_host_device_scalarIT6_EEPKT4_S5_PKS7_SB_S5_SD_S8_SB_S5_SD_SB_S5_PS7_21rocsparse_index_base_SF_SF_SF_bbb.has_dyn_sized_stack, 0
	.set _ZN9rocsparseL41csrgemm_numeric_fill_block_per_row_kernelILj128ELj16ELj256ELj137ELj32Ell21rocsparse_complex_numIfEEEvT5_PKS3_S5_NS_24const_host_device_scalarIT6_EEPKT4_S5_PKS7_SB_S5_SD_S8_SB_S5_SD_SB_S5_PS7_21rocsparse_index_base_SF_SF_SF_bbb.has_recursion, 0
	.set _ZN9rocsparseL41csrgemm_numeric_fill_block_per_row_kernelILj128ELj16ELj256ELj137ELj32Ell21rocsparse_complex_numIfEEEvT5_PKS3_S5_NS_24const_host_device_scalarIT6_EEPKT4_S5_PKS7_SB_S5_SD_S8_SB_S5_SD_SB_S5_PS7_21rocsparse_index_base_SF_SF_SF_bbb.has_indirect_call, 0
	.section	.AMDGPU.csdata,"",@progbits
; Kernel info:
; codeLenInByte = 2864
; TotalNumSgprs: 52
; NumVgprs: 24
; ScratchSize: 0
; MemoryBound: 0
; FloatMode: 240
; IeeeMode: 1
; LDSByteSize: 0 bytes/workgroup (compile time only)
; SGPRBlocks: 0
; VGPRBlocks: 1
; NumSGPRsForWavesPerEU: 52
; NumVGPRsForWavesPerEU: 24
; NamedBarCnt: 0
; Occupancy: 16
; WaveLimiterHint : 1
; COMPUTE_PGM_RSRC2:SCRATCH_EN: 0
; COMPUTE_PGM_RSRC2:USER_SGPR: 2
; COMPUTE_PGM_RSRC2:TRAP_HANDLER: 0
; COMPUTE_PGM_RSRC2:TGID_X_EN: 1
; COMPUTE_PGM_RSRC2:TGID_Y_EN: 0
; COMPUTE_PGM_RSRC2:TGID_Z_EN: 0
; COMPUTE_PGM_RSRC2:TIDIG_COMP_CNT: 0
	.section	.text._ZN9rocsparseL41csrgemm_numeric_fill_block_per_row_kernelILj128ELj16ELj256ELj137ELj64Ell21rocsparse_complex_numIfEEEvT5_PKS3_S5_NS_24const_host_device_scalarIT6_EEPKT4_S5_PKS7_SB_S5_SD_S8_SB_S5_SD_SB_S5_PS7_21rocsparse_index_base_SF_SF_SF_bbb,"axG",@progbits,_ZN9rocsparseL41csrgemm_numeric_fill_block_per_row_kernelILj128ELj16ELj256ELj137ELj64Ell21rocsparse_complex_numIfEEEvT5_PKS3_S5_NS_24const_host_device_scalarIT6_EEPKT4_S5_PKS7_SB_S5_SD_S8_SB_S5_SD_SB_S5_PS7_21rocsparse_index_base_SF_SF_SF_bbb,comdat
	.globl	_ZN9rocsparseL41csrgemm_numeric_fill_block_per_row_kernelILj128ELj16ELj256ELj137ELj64Ell21rocsparse_complex_numIfEEEvT5_PKS3_S5_NS_24const_host_device_scalarIT6_EEPKT4_S5_PKS7_SB_S5_SD_S8_SB_S5_SD_SB_S5_PS7_21rocsparse_index_base_SF_SF_SF_bbb ; -- Begin function _ZN9rocsparseL41csrgemm_numeric_fill_block_per_row_kernelILj128ELj16ELj256ELj137ELj64Ell21rocsparse_complex_numIfEEEvT5_PKS3_S5_NS_24const_host_device_scalarIT6_EEPKT4_S5_PKS7_SB_S5_SD_S8_SB_S5_SD_SB_S5_PS7_21rocsparse_index_base_SF_SF_SF_bbb
	.p2align	8
	.type	_ZN9rocsparseL41csrgemm_numeric_fill_block_per_row_kernelILj128ELj16ELj256ELj137ELj64Ell21rocsparse_complex_numIfEEEvT5_PKS3_S5_NS_24const_host_device_scalarIT6_EEPKT4_S5_PKS7_SB_S5_SD_S8_SB_S5_SD_SB_S5_PS7_21rocsparse_index_base_SF_SF_SF_bbb,@function
_ZN9rocsparseL41csrgemm_numeric_fill_block_per_row_kernelILj128ELj16ELj256ELj137ELj64Ell21rocsparse_complex_numIfEEEvT5_PKS3_S5_NS_24const_host_device_scalarIT6_EEPKT4_S5_PKS7_SB_S5_SD_S8_SB_S5_SD_SB_S5_PS7_21rocsparse_index_base_SF_SF_SF_bbb: ; @_ZN9rocsparseL41csrgemm_numeric_fill_block_per_row_kernelILj128ELj16ELj256ELj137ELj64Ell21rocsparse_complex_numIfEEEvT5_PKS3_S5_NS_24const_host_device_scalarIT6_EEPKT4_S5_PKS7_SB_S5_SD_S8_SB_S5_SD_SB_S5_PS7_21rocsparse_index_base_SF_SF_SF_bbb
; %bb.0:
	s_clause 0x3
	s_load_b32 s33, s[0:1], 0x98
	s_load_b128 s[20:23], s[0:1], 0x88
	s_load_b64 s[30:31], s[0:1], 0x8
	s_load_b64 s[2:3], s[0:1], 0x50
	s_mov_b32 s35, 0
	s_mov_b32 s40, 0
	s_wait_kmcnt 0x0
	s_bitcmp1_b32 s33, 0
	s_cselect_b32 s38, -1, 0
	s_bitcmp1_b32 s33, 16
	s_cselect_b32 s4, -1, 0
	s_delay_alu instid0(SALU_CYCLE_1) | instskip(SKIP_2) | instid1(VALU_DEP_1)
	s_xor_b32 s4, s4, -1
	s_bitcmp0_b32 s33, 0
	v_cndmask_b32_e64 v1, 0, 1, s4
	v_cmp_ne_u32_e32 vcc_lo, 1, v1
	s_cbranch_scc1 .LBB123_5
; %bb.1:
	s_load_b64 s[34:35], s[0:1], 0x18
	s_and_b32 vcc_lo, exec_lo, vcc_lo
	s_wait_kmcnt 0x0
	s_mov_b32 s40, s34
	s_cbranch_vccnz .LBB123_3
; %bb.2:
	s_load_b32 s40, s[34:35], 0x0
.LBB123_3:
	s_and_not1_b32 vcc_lo, exec_lo, s4
	s_cbranch_vccnz .LBB123_5
; %bb.4:
	s_wait_xcnt 0x0
	s_load_b32 s35, s[34:35], 0x4
.LBB123_5:
	s_clause 0x4
	s_load_b64 s[28:29], s[0:1], 0x80
	s_load_b256 s[4:11], s[0:1], 0x58
	s_load_b128 s[24:27], s[0:1], 0x40
	s_load_b64 s[36:37], s[0:1], 0x10
	s_load_b256 s[12:19], s[0:1], 0x20
	s_bitcmp1_b32 s33, 8
	s_cselect_b32 s41, -1, 0
	s_wait_xcnt 0x0
	s_bfe_u32 s34, s33, 0x10008
	s_mov_b32 s33, 0
	s_cmp_eq_u32 s34, 0
	s_mov_b32 s34, 0
	s_cbranch_scc1 .LBB123_11
; %bb.6:
	v_cmp_ne_u32_e32 vcc_lo, 1, v1
	s_mov_b32 s33, s2
	s_cbranch_vccnz .LBB123_8
; %bb.7:
	s_load_b32 s33, s[2:3], 0x0
.LBB123_8:
	v_cmp_ne_u32_e32 vcc_lo, 1, v1
	s_cbranch_vccnz .LBB123_10
; %bb.9:
	s_wait_xcnt 0x0
	s_load_b32 s3, s[2:3], 0x4
.LBB123_10:
	s_wait_kmcnt 0x0
	s_mov_b32 s34, s3
.LBB123_11:
	s_load_b64 s[2:3], s[0:1], 0x0
	s_wait_xcnt 0x0
	v_cmp_gt_u32_e64 s0, 0x100, v0
	v_or_b32_e32 v20, 0xffffff80, v0
	v_lshl_add_u32 v21, v0, 3, 0
	s_and_saveexec_b32 s1, s0
	s_cbranch_execz .LBB123_14
; %bb.12:
	s_wait_kmcnt 0x0
	v_mov_b64_e32 v[2:3], s[2:3]
	v_or_b32_e32 v1, 0xffffff80, v0
	v_lshl_add_u32 v4, v0, 3, 0
	v_mov_b32_e32 v5, 0
	s_mov_b32 s39, 0
.LBB123_13:                             ; =>This Inner Loop Header: Depth=1
	s_delay_alu instid0(VALU_DEP_3)
	v_add_co_u32 v1, s42, 0x80, v1
	s_xor_b32 s42, s42, -1
	v_add_nc_u32_e32 v6, 0x800, v4
	ds_store_b64 v4, v[2:3]
	v_add_nc_u32_e32 v4, 0x400, v4
	s_and_b32 s42, exec_lo, s42
	s_delay_alu instid0(SALU_CYCLE_1)
	s_or_b32 s39, s42, s39
	ds_store_2addr_b32 v6, v5, v5 offset1:1
	s_and_not1_b32 exec_lo, exec_lo, s39
	s_cbranch_execnz .LBB123_13
.LBB123_14:
	s_or_b32 exec_lo, exec_lo, s1
	s_wait_dscnt 0x0
	s_barrier_signal -1
	s_barrier_wait -1
	s_load_b64 s[30:31], s[30:31], 0x0
	s_bfe_u32 s1, ttmp6, 0x4000c
	s_and_b32 s39, ttmp6, 15
	s_add_co_i32 s1, s1, 1
	s_getreg_b32 s42, hwreg(HW_REG_IB_STS2, 6, 4)
	s_mul_i32 s1, ttmp9, s1
	s_delay_alu instid0(SALU_CYCLE_1)
	s_add_co_i32 s39, s39, s1
	s_wait_kmcnt 0x0
	s_lshl_b64 s[30:31], s[30:31], 3
	s_cmp_eq_u32 s42, 0
	s_add_nc_u64 s[30:31], s[36:37], s[30:31]
	s_cselect_b32 s1, ttmp9, s39
	s_and_b32 vcc_lo, exec_lo, s38
	s_load_b64 s[30:31], s[30:31], s1 offset:0x0 scale_offset
	s_mov_b32 s37, 0
	s_cbranch_vccz .LBB123_34
; %bb.15:
	s_wait_kmcnt 0x0
	s_lshl_b64 s[38:39], s[30:31], 3
	v_dual_mov_b32 v5, 0 :: v_dual_lshrrev_b32 v4, 4, v0
	s_add_nc_u64 s[12:13], s[12:13], s[38:39]
	s_mov_b32 s36, s20
	s_load_b128 s[44:47], s[12:13], 0x0
	s_mov_b32 s1, exec_lo
	v_sub_nc_u64_e64 v[2:3], v[4:5], s[36:37]
	s_wait_kmcnt 0x0
	s_delay_alu instid0(VALU_DEP_1)
	v_add_nc_u64_e32 v[2:3], s[44:45], v[2:3]
	s_sub_nc_u64 s[12:13], s[46:47], s[36:37]
	s_delay_alu instid0(VALU_DEP_1) | instid1(SALU_CYCLE_1)
	v_cmpx_gt_i64_e64 s[12:13], v[2:3]
	s_cbranch_execz .LBB123_33
; %bb.16:
	v_and_b32_e32 v4, 15, v0
	s_mov_b32 s39, 0
	s_mov_b32 s38, s21
	s_mov_b32 s20, s39
	s_delay_alu instid0(VALU_DEP_1)
	v_sub_nc_u64_e64 v[4:5], v[4:5], s[38:39]
	s_branch .LBB123_18
.LBB123_17:                             ;   in Loop: Header=BB123_18 Depth=1
	s_or_b32 exec_lo, exec_lo, s21
	v_add_nc_u64_e32 v[2:3], 8, v[2:3]
	s_delay_alu instid0(VALU_DEP_1) | instskip(SKIP_1) | instid1(SALU_CYCLE_1)
	v_cmp_le_i64_e32 vcc_lo, s[12:13], v[2:3]
	s_or_b32 s20, vcc_lo, s20
	s_and_not1_b32 exec_lo, exec_lo, s20
	s_cbranch_execz .LBB123_33
.LBB123_18:                             ; =>This Loop Header: Depth=1
                                        ;     Child Loop BB123_22 Depth 2
                                        ;       Child Loop BB123_25 Depth 3
	v_lshl_add_u64 v[6:7], v[2:3], 3, s[14:15]
	s_mov_b32 s21, exec_lo
	global_load_b64 v[6:7], v[6:7], off
	s_wait_loadcnt 0x0
	s_wait_xcnt 0x0
	v_sub_nc_u64_e64 v[6:7], v[6:7], s[36:37]
	s_delay_alu instid0(VALU_DEP_1)
	v_lshl_add_u64 v[6:7], v[6:7], 3, s[18:19]
	global_load_b128 v[8:11], v[6:7], off
	s_wait_loadcnt 0x0
	s_wait_xcnt 0x0
	v_sub_nc_u64_e64 v[6:7], v[10:11], s[38:39]
	v_add_nc_u64_e32 v[8:9], v[8:9], v[4:5]
	s_delay_alu instid0(VALU_DEP_1)
	v_cmpx_lt_i64_e64 v[8:9], v[6:7]
	s_cbranch_execz .LBB123_17
; %bb.19:                               ;   in Loop: Header=BB123_18 Depth=1
	v_lshl_add_u64 v[10:11], v[2:3], 3, s[16:17]
	s_mov_b32 s42, 0
	global_load_b64 v[10:11], v[10:11], off
	s_wait_loadcnt 0x0
	v_mul_f32_e64 v1, v11, -s35
	s_delay_alu instid0(VALU_DEP_1) | instskip(NEXT) | instid1(VALU_DEP_1)
	v_dual_mul_f32 v22, s40, v11 :: v_dual_fmac_f32 v1, s40, v10
	v_fmac_f32_e32 v22, s35, v10
	s_branch .LBB123_22
.LBB123_20:                             ;   in Loop: Header=BB123_22 Depth=2
	s_or_b32 exec_lo, exec_lo, s44
.LBB123_21:                             ;   in Loop: Header=BB123_22 Depth=2
	s_delay_alu instid0(SALU_CYCLE_1) | instskip(SKIP_4) | instid1(VALU_DEP_3)
	s_or_b32 exec_lo, exec_lo, s43
	s_wait_loadcnt 0x0
	v_dual_mul_f32 v13, v11, -v22 :: v_dual_mul_f32 v11, v1, v11
	v_lshl_add_u32 v12, v12, 3, 0
	v_add_nc_u64_e32 v[8:9], 16, v[8:9]
	v_dual_fmac_f32 v13, v1, v10 :: v_dual_fmac_f32 v11, v22, v10
	ds_add_f32 v12, v13 offset:2048
	ds_add_f32 v12, v11 offset:2052
	v_cmp_ge_i64_e32 vcc_lo, v[8:9], v[6:7]
	s_or_b32 s42, vcc_lo, s42
	s_delay_alu instid0(SALU_CYCLE_1)
	s_and_not1_b32 exec_lo, exec_lo, s42
	s_cbranch_execz .LBB123_17
.LBB123_22:                             ;   Parent Loop BB123_18 Depth=1
                                        ; =>  This Loop Header: Depth=2
                                        ;       Child Loop BB123_25 Depth 3
	s_wait_xcnt 0x0
	v_lshlrev_b64_e32 v[10:11], 3, v[8:9]
	s_mov_b32 s43, exec_lo
	s_delay_alu instid0(VALU_DEP_1)
	v_add_nc_u64_e32 v[12:13], s[24:25], v[10:11]
	v_add_nc_u64_e32 v[10:11], s[26:27], v[10:11]
	global_load_b64 v[12:13], v[12:13], off
	global_load_b64 v[10:11], v[10:11], off
	s_wait_loadcnt 0x1
	v_sub_nc_u64_e64 v[14:15], v[12:13], s[38:39]
	s_wait_xcnt 0x1
	s_delay_alu instid0(VALU_DEP_1) | instskip(NEXT) | instid1(VALU_DEP_1)
	v_mul_lo_u32 v12, 0x89, v14
	v_and_b32_e32 v12, 0xff, v12
	s_delay_alu instid0(VALU_DEP_1)
	v_lshl_add_u32 v23, v12, 3, 0
	ds_load_b64 v[18:19], v23
	s_wait_dscnt 0x0
	s_wait_xcnt 0x0
	v_cmpx_ne_u64_e64 v[18:19], v[14:15]
	s_cbranch_execz .LBB123_21
; %bb.23:                               ;   in Loop: Header=BB123_22 Depth=2
	s_mov_b32 s44, 0
                                        ; implicit-def: $sgpr45
                                        ; implicit-def: $sgpr46
	s_branch .LBB123_25
.LBB123_24:                             ;   in Loop: Header=BB123_25 Depth=3
	s_or_b32 exec_lo, exec_lo, s49
	s_delay_alu instid0(SALU_CYCLE_1) | instskip(NEXT) | instid1(SALU_CYCLE_1)
	s_and_b32 s47, exec_lo, s48
	s_or_b32 s44, s47, s44
	s_and_not1_b32 s45, s45, exec_lo
	s_and_b32 s47, s46, exec_lo
	s_delay_alu instid0(SALU_CYCLE_1)
	s_or_b32 s45, s45, s47
	s_and_not1_b32 exec_lo, exec_lo, s44
	s_cbranch_execz .LBB123_31
.LBB123_25:                             ;   Parent Loop BB123_18 Depth=1
                                        ;     Parent Loop BB123_22 Depth=2
                                        ; =>    This Inner Loop Header: Depth=3
	v_mov_b64_e32 v[16:17], v[12:13]
	s_mov_b32 s47, 0
	s_mov_b32 s48, exec_lo
                                        ; implicit-def: $vgpr12_vgpr13
	v_cmpx_ne_u64_e64 s[2:3], v[18:19]
	s_xor_b32 s48, exec_lo, s48
; %bb.26:                               ;   in Loop: Header=BB123_25 Depth=3
	s_delay_alu instid0(VALU_DEP_2) | instskip(SKIP_1) | instid1(VALU_DEP_1)
	v_add_nc_u32_e32 v12, 1, v16
	s_mov_b32 s47, exec_lo
                                        ; implicit-def: $vgpr23
	v_and_b32_e32 v12, 0xff, v12
; %bb.27:                               ;   in Loop: Header=BB123_25 Depth=3
	s_and_not1_saveexec_b32 s48, s48
	s_cbranch_execz .LBB123_29
; %bb.28:                               ;   in Loop: Header=BB123_25 Depth=3
	v_mov_b64_e32 v[12:13], s[2:3]
	s_and_not1_b32 s47, s47, exec_lo
	ds_cmpstore_rtn_b64 v[12:13], v23, v[14:15], v[12:13]
	s_wait_dscnt 0x0
	v_cmp_ne_u64_e32 vcc_lo, s[2:3], v[12:13]
	v_mov_b64_e32 v[12:13], v[16:17]
	s_and_b32 s49, vcc_lo, exec_lo
	s_delay_alu instid0(SALU_CYCLE_1)
	s_or_b32 s47, s47, s49
.LBB123_29:                             ;   in Loop: Header=BB123_25 Depth=3
	s_or_b32 exec_lo, exec_lo, s48
	s_mov_b32 s48, -1
	s_or_b32 s46, s46, exec_lo
                                        ; implicit-def: $vgpr23
                                        ; implicit-def: $vgpr18_vgpr19
	s_and_saveexec_b32 s49, s47
	s_cbranch_execz .LBB123_24
; %bb.30:                               ;   in Loop: Header=BB123_25 Depth=3
	v_lshl_add_u32 v23, v12, 3, 0
	s_and_not1_b32 s46, s46, exec_lo
	ds_load_b64 v[18:19], v23
	s_wait_dscnt 0x0
	v_cmp_eq_u64_e32 vcc_lo, v[18:19], v[14:15]
	s_or_not1_b32 s48, vcc_lo, exec_lo
	s_branch .LBB123_24
.LBB123_31:                             ;   in Loop: Header=BB123_22 Depth=2
	s_or_b32 exec_lo, exec_lo, s44
	s_and_saveexec_b32 s44, s45
	s_delay_alu instid0(SALU_CYCLE_1)
	s_xor_b32 s44, exec_lo, s44
	s_cbranch_execz .LBB123_20
; %bb.32:                               ;   in Loop: Header=BB123_22 Depth=2
	v_mov_b32_e32 v12, v16
	s_branch .LBB123_20
.LBB123_33:
	s_or_b32 exec_lo, exec_lo, s1
.LBB123_34:
	s_delay_alu instid0(SALU_CYCLE_1)
	s_and_not1_b32 vcc_lo, exec_lo, s41
	s_cbranch_vccnz .LBB123_51
; %bb.35:
	s_wait_kmcnt 0x0
	s_lshl_b64 s[12:13], s[30:31], 3
	v_mov_b32_e32 v1, 0
	s_add_nc_u64 s[4:5], s[4:5], s[12:13]
	s_mov_b32 s1, exec_lo
	s_load_b128 s[12:15], s[4:5], 0x0
	s_wait_xcnt 0x0
	s_mov_b32 s5, 0
	s_mov_b32 s4, s23
	s_delay_alu instid0(SALU_CYCLE_1) | instskip(SKIP_1) | instid1(VALU_DEP_1)
	v_sub_nc_u64_e64 v[2:3], v[0:1], s[4:5]
	s_wait_kmcnt 0x0
	v_add_nc_u64_e32 v[2:3], s[12:13], v[2:3]
	s_sub_nc_u64 s[12:13], s[14:15], s[4:5]
	s_delay_alu instid0(VALU_DEP_1) | instid1(SALU_CYCLE_1)
	v_cmpx_gt_i64_e64 s[12:13], v[2:3]
	s_cbranch_execz .LBB123_50
; %bb.36:
	s_mov_b32 s14, s5
	s_branch .LBB123_39
.LBB123_37:                             ;   in Loop: Header=BB123_39 Depth=1
	s_or_b32 exec_lo, exec_lo, s16
.LBB123_38:                             ;   in Loop: Header=BB123_39 Depth=1
	s_delay_alu instid0(SALU_CYCLE_1)
	s_or_b32 exec_lo, exec_lo, s15
	s_wait_loadcnt 0x0
	v_mul_f32_e64 v1, v5, -s34
	v_mul_f32_e32 v5, s33, v5
	v_lshl_add_u32 v6, v6, 3, 0
	v_add_nc_u64_e32 v[2:3], 0x80, v[2:3]
	s_delay_alu instid0(VALU_DEP_4) | instskip(NEXT) | instid1(VALU_DEP_4)
	v_fmac_f32_e32 v1, s33, v4
	v_fmac_f32_e32 v5, s34, v4
	ds_add_f32 v6, v1 offset:2048
	ds_add_f32 v6, v5 offset:2052
	v_cmp_le_i64_e32 vcc_lo, s[12:13], v[2:3]
	s_or_b32 s14, vcc_lo, s14
	s_delay_alu instid0(SALU_CYCLE_1)
	s_and_not1_b32 exec_lo, exec_lo, s14
	s_cbranch_execz .LBB123_50
.LBB123_39:                             ; =>This Loop Header: Depth=1
                                        ;     Child Loop BB123_42 Depth 2
	v_lshlrev_b64_e32 v[4:5], 3, v[2:3]
	s_mov_b32 s15, exec_lo
	s_delay_alu instid0(VALU_DEP_1)
	v_add_nc_u64_e32 v[6:7], s[6:7], v[4:5]
	v_add_nc_u64_e32 v[4:5], s[8:9], v[4:5]
	global_load_b64 v[6:7], v[6:7], off
	global_load_b64 v[4:5], v[4:5], off
	s_wait_loadcnt 0x1
	v_sub_nc_u64_e64 v[8:9], v[6:7], s[4:5]
	s_delay_alu instid0(VALU_DEP_1) | instskip(NEXT) | instid1(VALU_DEP_1)
	v_mul_lo_u32 v1, 0x89, v8
	v_and_b32_e32 v6, 0xff, v1
	s_delay_alu instid0(VALU_DEP_1)
	v_lshl_add_u32 v1, v6, 3, 0
	ds_load_b64 v[12:13], v1
	s_wait_dscnt 0x0
	s_wait_xcnt 0x0
	v_cmpx_ne_u64_e64 v[12:13], v[8:9]
	s_cbranch_execz .LBB123_38
; %bb.40:                               ;   in Loop: Header=BB123_39 Depth=1
	s_mov_b32 s16, 0
                                        ; implicit-def: $sgpr17
                                        ; implicit-def: $sgpr18
	s_branch .LBB123_42
.LBB123_41:                             ;   in Loop: Header=BB123_42 Depth=2
	s_or_b32 exec_lo, exec_lo, s21
	s_delay_alu instid0(SALU_CYCLE_1) | instskip(NEXT) | instid1(SALU_CYCLE_1)
	s_and_b32 s19, exec_lo, s20
	s_or_b32 s16, s19, s16
	s_and_not1_b32 s17, s17, exec_lo
	s_and_b32 s19, s18, exec_lo
	s_delay_alu instid0(SALU_CYCLE_1)
	s_or_b32 s17, s17, s19
	s_and_not1_b32 exec_lo, exec_lo, s16
	s_cbranch_execz .LBB123_48
.LBB123_42:                             ;   Parent Loop BB123_39 Depth=1
                                        ; =>  This Inner Loop Header: Depth=2
	v_mov_b64_e32 v[10:11], v[6:7]
	s_mov_b32 s19, 0
	s_mov_b32 s20, exec_lo
                                        ; implicit-def: $vgpr6_vgpr7
	v_cmpx_ne_u64_e64 s[2:3], v[12:13]
	s_xor_b32 s20, exec_lo, s20
; %bb.43:                               ;   in Loop: Header=BB123_42 Depth=2
	s_delay_alu instid0(VALU_DEP_2) | instskip(SKIP_1) | instid1(VALU_DEP_1)
	v_add_nc_u32_e32 v1, 1, v10
	s_mov_b32 s19, exec_lo
	v_and_b32_e32 v6, 0xff, v1
                                        ; implicit-def: $vgpr1
; %bb.44:                               ;   in Loop: Header=BB123_42 Depth=2
	s_and_not1_saveexec_b32 s20, s20
	s_cbranch_execz .LBB123_46
; %bb.45:                               ;   in Loop: Header=BB123_42 Depth=2
	v_mov_b64_e32 v[6:7], s[2:3]
	s_and_not1_b32 s19, s19, exec_lo
	ds_cmpstore_rtn_b64 v[6:7], v1, v[8:9], v[6:7]
	s_wait_dscnt 0x0
	v_cmp_ne_u64_e32 vcc_lo, s[2:3], v[6:7]
	v_mov_b64_e32 v[6:7], v[10:11]
	s_and_b32 s21, vcc_lo, exec_lo
	s_delay_alu instid0(SALU_CYCLE_1)
	s_or_b32 s19, s19, s21
.LBB123_46:                             ;   in Loop: Header=BB123_42 Depth=2
	s_or_b32 exec_lo, exec_lo, s20
	s_mov_b32 s20, -1
	s_or_b32 s18, s18, exec_lo
                                        ; implicit-def: $vgpr1
                                        ; implicit-def: $vgpr12_vgpr13
	s_and_saveexec_b32 s21, s19
	s_cbranch_execz .LBB123_41
; %bb.47:                               ;   in Loop: Header=BB123_42 Depth=2
	v_lshl_add_u32 v1, v6, 3, 0
	s_and_not1_b32 s18, s18, exec_lo
	ds_load_b64 v[12:13], v1
	s_wait_dscnt 0x0
	v_cmp_eq_u64_e32 vcc_lo, v[12:13], v[8:9]
	s_or_not1_b32 s20, vcc_lo, exec_lo
	s_branch .LBB123_41
.LBB123_48:                             ;   in Loop: Header=BB123_39 Depth=1
	s_or_b32 exec_lo, exec_lo, s16
	s_and_saveexec_b32 s16, s17
	s_delay_alu instid0(SALU_CYCLE_1)
	s_xor_b32 s16, exec_lo, s16
	s_cbranch_execz .LBB123_37
; %bb.49:                               ;   in Loop: Header=BB123_39 Depth=1
	v_mov_b32_e32 v6, v10
	s_branch .LBB123_37
.LBB123_50:
	s_or_b32 exec_lo, exec_lo, s1
.LBB123_51:
	s_wait_dscnt 0x0
	s_barrier_signal -1
	s_barrier_wait -1
	s_and_saveexec_b32 s4, s0
	s_cbranch_execz .LBB123_60
; %bb.52:
	v_mbcnt_lo_u32_b32 v1, -1, 0
	v_lshrrev_b32_e32 v2, 3, v0
	v_mov_b64_e32 v[4:5], 0
	v_cmp_eq_u32_e64 s0, 0x7f, v0
	s_mov_b32 s5, 0
	v_xor_b32_e32 v1, 31, v1
	v_dual_mov_b32 v3, 0 :: v_dual_bitop2_b32 v2, 8, v2 bitop3:0x40
	v_cmp_lt_u32_e32 vcc_lo, 63, v0
	s_delay_alu instid0(VALU_DEP_3) | instskip(NEXT) | instid1(VALU_DEP_3)
	v_lshrrev_b32_e64 v6, v1, -1
	v_add_nc_u32_e32 v1, 0, v2
	s_branch .LBB123_54
.LBB123_53:                             ;   in Loop: Header=BB123_54 Depth=1
	s_or_b32 exec_lo, exec_lo, s1
	s_wait_dscnt 0x0
	s_barrier_signal -1
	s_barrier_wait -1
	ds_load_b64 v[8:9], v3 offset:4104
	v_add_co_u32 v20, s1, 0x80, v20
	s_xor_b32 s1, s1, -1
	v_add_nc_u32_e32 v21, 0x400, v21
	s_and_b32 s1, exec_lo, s1
	s_delay_alu instid0(SALU_CYCLE_1)
	s_or_b32 s5, s1, s5
	s_wait_dscnt 0x0
	v_add_nc_u64_e32 v[4:5], v[8:9], v[4:5]
	s_and_not1_b32 exec_lo, exec_lo, s5
	s_cbranch_execz .LBB123_60
.LBB123_54:                             ; =>This Inner Loop Header: Depth=1
	ds_load_b64 v[8:9], v21
	v_dual_mov_b32 v13, v3 :: v_dual_add_nc_u32 v2, 0x800, v21
	ds_load_2addr_b32 v[10:11], v2 offset1:1
	s_wait_dscnt 0x0
	s_barrier_signal -1
	s_barrier_wait -1
	s_wait_xcnt 0x0
	v_cmp_gt_i64_e64 s1, s[2:3], v[8:9]
	s_bcnt1_i32_b32 s6, s1
	s_delay_alu instid0(SALU_CYCLE_1) | instskip(NEXT) | instid1(VALU_DEP_1)
	v_dual_mov_b32 v12, s6 :: v_dual_bitop2_b32 v2, s1, v6 bitop3:0x40
	v_bcnt_u32_b32 v2, v2, 0
	ds_store_b64 v1, v[12:13] offset:4096
	s_wait_dscnt 0x0
	s_barrier_signal -1
	s_barrier_wait -1
	v_mov_b64_e32 v[12:13], v[2:3]
	s_and_saveexec_b32 s6, vcc_lo
	s_cbranch_execnz .LBB123_57
; %bb.55:                               ;   in Loop: Header=BB123_54 Depth=1
	s_or_b32 exec_lo, exec_lo, s6
	s_and_saveexec_b32 s6, s1
	s_cbranch_execnz .LBB123_58
.LBB123_56:                             ;   in Loop: Header=BB123_54 Depth=1
	s_or_b32 exec_lo, exec_lo, s6
	s_and_saveexec_b32 s1, s0
	s_cbranch_execz .LBB123_53
	s_branch .LBB123_59
.LBB123_57:                             ;   in Loop: Header=BB123_54 Depth=1
	ds_load_b64 v[12:13], v3 offset:4096
	s_wait_dscnt 0x0
	v_add_nc_u64_e32 v[12:13], v[12:13], v[2:3]
	s_or_b32 exec_lo, exec_lo, s6
	s_and_saveexec_b32 s6, s1
	s_cbranch_execz .LBB123_56
.LBB123_58:                             ;   in Loop: Header=BB123_54 Depth=1
	s_delay_alu instid0(VALU_DEP_1) | instskip(SKIP_1) | instid1(VALU_DEP_2)
	v_add3_u32 v2, v4, -1, v12
	v_add_lshl_u32 v7, v4, v12, 3
	v_lshl_add_u32 v2, v2, 3, 0
	s_delay_alu instid0(VALU_DEP_2)
	v_add3_u32 v7, 0, v7, 0x7f8
	ds_store_b64 v2, v[8:9]
	ds_store_2addr_b32 v7, v10, v11 offset1:1
	s_or_b32 exec_lo, exec_lo, s6
	s_and_saveexec_b32 s1, s0
	s_cbranch_execz .LBB123_53
.LBB123_59:                             ;   in Loop: Header=BB123_54 Depth=1
	v_ashrrev_i32_e32 v13, 31, v12
	ds_store_b64 v3, v[12:13] offset:4104
	s_branch .LBB123_53
.LBB123_60:
	s_or_b32 exec_lo, exec_lo, s4
	s_wait_kmcnt 0x0
	s_lshl_b64 s[0:1], s[30:31], 3
	v_mov_b32_e32 v1, 0
	s_add_nc_u64 s[4:5], s[10:11], s[0:1]
	s_mov_b32 s6, exec_lo
	s_load_b128 s[0:3], s[4:5], 0x0
	s_wait_kmcnt 0x0
	s_sub_nc_u64 s[4:5], s[2:3], s[0:1]
	s_delay_alu instid0(SALU_CYCLE_1)
	v_cmpx_gt_i64_e64 s[4:5], v[0:1]
	s_cbranch_execz .LBB123_70
; %bb.61:
	s_sub_nc_u64 s[8:9], s[0:1], s[2:3]
	s_and_b64 s[6:7], s[4:5], 7
	v_cmp_lt_u64_e64 s10, s[8:9], -7
	s_and_b64 s[2:3], s[4:5], -8
	s_mov_b32 s23, 0
	s_cmp_lg_u64 s[6:7], 0
	s_sub_nc_u64 s[0:1], s[0:1], s[22:23]
	s_cselect_b32 s11, -1, 0
	s_mov_b32 s12, 0
	s_branch .LBB123_63
.LBB123_62:                             ;   in Loop: Header=BB123_63 Depth=1
	v_add_nc_u64_e32 v[0:1], 0x80, v[0:1]
	s_wait_dscnt 0x1
	s_delay_alu instid0(VALU_DEP_2)
	v_lshl_add_u64 v[4:5], v[6:7], 3, s[28:29]
	s_wait_dscnt 0x0
	global_store_b64 v[4:5], v[2:3], off
	v_cmp_le_i64_e32 vcc_lo, s[4:5], v[0:1]
	s_or_b32 s12, vcc_lo, s12
	s_wait_xcnt 0x0
	s_and_not1_b32 exec_lo, exec_lo, s12
	s_cbranch_execz .LBB123_70
.LBB123_63:                             ; =>This Loop Header: Depth=1
                                        ;     Child Loop BB123_65 Depth 2
                                        ;     Child Loop BB123_69 Depth 2
	v_lshl_add_u32 v2, v0, 3, 0
	v_mov_b64_e32 v[6:7], s[0:1]
	s_and_not1_b32 vcc_lo, exec_lo, s10
	s_mov_b64 s[8:9], 0
	s_delay_alu instid0(VALU_DEP_2)
	v_add_nc_u32_e32 v3, 0x800, v2
	ds_load_b64 v[4:5], v2
	ds_load_2addr_b32 v[2:3], v3 offset1:1
	s_cbranch_vccnz .LBB123_67
; %bb.64:                               ;   in Loop: Header=BB123_63 Depth=1
	v_mov_b64_e32 v[6:7], s[0:1]
	s_mov_b32 s13, 0
.LBB123_65:                             ;   Parent Loop BB123_63 Depth=1
                                        ; =>  This Inner Loop Header: Depth=2
	s_delay_alu instid0(SALU_CYCLE_1)
	v_dual_mov_b32 v20, s13 :: v_dual_mov_b32 v17, s23
	v_mov_b32_e32 v19, s23
	s_add_nc_u64 s[8:9], s[8:9], 8
	s_add_co_i32 s13, s13, 64
	ds_load_2addr_b64 v[8:11], v20 offset1:1
	ds_load_2addr_b64 v[12:15], v20 offset0:2 offset1:3
	s_cmp_eq_u64 s[2:3], s[8:9]
	s_wait_dscnt 0x1
	v_cmp_gt_i64_e32 vcc_lo, v[4:5], v[8:9]
	v_cndmask_b32_e64 v16, 0, 1, vcc_lo
	v_cmp_gt_i64_e32 vcc_lo, v[4:5], v[10:11]
	s_delay_alu instid0(VALU_DEP_2) | instskip(SKIP_4) | instid1(VALU_DEP_2)
	v_add_nc_u64_e32 v[10:11], v[6:7], v[16:17]
	ds_load_2addr_b64 v[6:9], v20 offset0:4 offset1:5
	v_cndmask_b32_e64 v18, 0, 1, vcc_lo
	s_wait_dscnt 0x1
	v_cmp_gt_i64_e32 vcc_lo, v[4:5], v[12:13]
	v_add_nc_u64_e32 v[10:11], v[10:11], v[18:19]
	v_cndmask_b32_e64 v16, 0, 1, vcc_lo
	v_cmp_gt_i64_e32 vcc_lo, v[4:5], v[14:15]
	s_delay_alu instid0(VALU_DEP_2)
	v_add_nc_u64_e32 v[14:15], v[10:11], v[16:17]
	ds_load_2addr_b64 v[10:13], v20 offset0:6 offset1:7
	v_cndmask_b32_e64 v18, 0, 1, vcc_lo
	s_wait_dscnt 0x1
	v_cmp_gt_i64_e32 vcc_lo, v[4:5], v[6:7]
	v_mov_b32_e32 v7, s23
	s_delay_alu instid0(VALU_DEP_3) | instskip(SKIP_3) | instid1(VALU_DEP_3)
	v_add_nc_u64_e32 v[14:15], v[14:15], v[18:19]
	v_cndmask_b32_e64 v16, 0, 1, vcc_lo
	v_cmp_gt_i64_e32 vcc_lo, v[4:5], v[8:9]
	v_mov_b32_e32 v9, s23
	v_add_nc_u64_e32 v[14:15], v[14:15], v[16:17]
	v_cndmask_b32_e64 v6, 0, 1, vcc_lo
	s_wait_dscnt 0x0
	v_cmp_gt_i64_e32 vcc_lo, v[4:5], v[10:11]
	v_mov_b32_e32 v11, s23
	s_delay_alu instid0(VALU_DEP_3) | instskip(SKIP_2) | instid1(VALU_DEP_2)
	v_add_nc_u64_e32 v[6:7], v[14:15], v[6:7]
	v_cndmask_b32_e64 v8, 0, 1, vcc_lo
	v_cmp_gt_i64_e32 vcc_lo, v[4:5], v[12:13]
	v_add_nc_u64_e32 v[6:7], v[6:7], v[8:9]
	v_cndmask_b32_e64 v10, 0, 1, vcc_lo
	s_delay_alu instid0(VALU_DEP_1)
	v_add_nc_u64_e32 v[6:7], v[6:7], v[10:11]
	s_cbranch_scc0 .LBB123_65
; %bb.66:                               ;   in Loop: Header=BB123_63 Depth=1
	s_mov_b64 s[8:9], s[2:3]
.LBB123_67:                             ;   in Loop: Header=BB123_63 Depth=1
	s_and_not1_b32 vcc_lo, exec_lo, s11
	s_cbranch_vccnz .LBB123_62
; %bb.68:                               ;   in Loop: Header=BB123_63 Depth=1
	s_lshl_b32 s8, s8, 3
	s_delay_alu instid0(SALU_CYCLE_1)
	s_add_co_i32 s13, s8, 0
	s_mov_b64 s[8:9], s[6:7]
.LBB123_69:                             ;   Parent Loop BB123_63 Depth=1
                                        ; =>  This Inner Loop Header: Depth=2
	v_dual_mov_b32 v8, s13 :: v_dual_mov_b32 v11, s23
	s_add_nc_u64 s[8:9], s[8:9], -1
	s_add_co_i32 s13, s13, 8
	s_cmp_lg_u64 s[8:9], 0
	ds_load_b64 v[8:9], v8
	s_wait_dscnt 0x0
	v_cmp_gt_i64_e32 vcc_lo, v[4:5], v[8:9]
	v_cndmask_b32_e64 v10, 0, 1, vcc_lo
	s_delay_alu instid0(VALU_DEP_1)
	v_add_nc_u64_e32 v[6:7], v[6:7], v[10:11]
	s_cbranch_scc1 .LBB123_69
	s_branch .LBB123_62
.LBB123_70:
	s_endpgm
	.section	.rodata,"a",@progbits
	.p2align	6, 0x0
	.amdhsa_kernel _ZN9rocsparseL41csrgemm_numeric_fill_block_per_row_kernelILj128ELj16ELj256ELj137ELj64Ell21rocsparse_complex_numIfEEEvT5_PKS3_S5_NS_24const_host_device_scalarIT6_EEPKT4_S5_PKS7_SB_S5_SD_S8_SB_S5_SD_SB_S5_PS7_21rocsparse_index_base_SF_SF_SF_bbb
		.amdhsa_group_segment_fixed_size 0
		.amdhsa_private_segment_fixed_size 0
		.amdhsa_kernarg_size 156
		.amdhsa_user_sgpr_count 2
		.amdhsa_user_sgpr_dispatch_ptr 0
		.amdhsa_user_sgpr_queue_ptr 0
		.amdhsa_user_sgpr_kernarg_segment_ptr 1
		.amdhsa_user_sgpr_dispatch_id 0
		.amdhsa_user_sgpr_kernarg_preload_length 0
		.amdhsa_user_sgpr_kernarg_preload_offset 0
		.amdhsa_user_sgpr_private_segment_size 0
		.amdhsa_wavefront_size32 1
		.amdhsa_uses_dynamic_stack 0
		.amdhsa_enable_private_segment 0
		.amdhsa_system_sgpr_workgroup_id_x 1
		.amdhsa_system_sgpr_workgroup_id_y 0
		.amdhsa_system_sgpr_workgroup_id_z 0
		.amdhsa_system_sgpr_workgroup_info 0
		.amdhsa_system_vgpr_workitem_id 0
		.amdhsa_next_free_vgpr 24
		.amdhsa_next_free_sgpr 50
		.amdhsa_named_barrier_count 0
		.amdhsa_reserve_vcc 1
		.amdhsa_float_round_mode_32 0
		.amdhsa_float_round_mode_16_64 0
		.amdhsa_float_denorm_mode_32 3
		.amdhsa_float_denorm_mode_16_64 3
		.amdhsa_fp16_overflow 0
		.amdhsa_memory_ordered 1
		.amdhsa_forward_progress 1
		.amdhsa_inst_pref_size 22
		.amdhsa_round_robin_scheduling 0
		.amdhsa_exception_fp_ieee_invalid_op 0
		.amdhsa_exception_fp_denorm_src 0
		.amdhsa_exception_fp_ieee_div_zero 0
		.amdhsa_exception_fp_ieee_overflow 0
		.amdhsa_exception_fp_ieee_underflow 0
		.amdhsa_exception_fp_ieee_inexact 0
		.amdhsa_exception_int_div_zero 0
	.end_amdhsa_kernel
	.section	.text._ZN9rocsparseL41csrgemm_numeric_fill_block_per_row_kernelILj128ELj16ELj256ELj137ELj64Ell21rocsparse_complex_numIfEEEvT5_PKS3_S5_NS_24const_host_device_scalarIT6_EEPKT4_S5_PKS7_SB_S5_SD_S8_SB_S5_SD_SB_S5_PS7_21rocsparse_index_base_SF_SF_SF_bbb,"axG",@progbits,_ZN9rocsparseL41csrgemm_numeric_fill_block_per_row_kernelILj128ELj16ELj256ELj137ELj64Ell21rocsparse_complex_numIfEEEvT5_PKS3_S5_NS_24const_host_device_scalarIT6_EEPKT4_S5_PKS7_SB_S5_SD_S8_SB_S5_SD_SB_S5_PS7_21rocsparse_index_base_SF_SF_SF_bbb,comdat
.Lfunc_end123:
	.size	_ZN9rocsparseL41csrgemm_numeric_fill_block_per_row_kernelILj128ELj16ELj256ELj137ELj64Ell21rocsparse_complex_numIfEEEvT5_PKS3_S5_NS_24const_host_device_scalarIT6_EEPKT4_S5_PKS7_SB_S5_SD_S8_SB_S5_SD_SB_S5_PS7_21rocsparse_index_base_SF_SF_SF_bbb, .Lfunc_end123-_ZN9rocsparseL41csrgemm_numeric_fill_block_per_row_kernelILj128ELj16ELj256ELj137ELj64Ell21rocsparse_complex_numIfEEEvT5_PKS3_S5_NS_24const_host_device_scalarIT6_EEPKT4_S5_PKS7_SB_S5_SD_S8_SB_S5_SD_SB_S5_PS7_21rocsparse_index_base_SF_SF_SF_bbb
                                        ; -- End function
	.set _ZN9rocsparseL41csrgemm_numeric_fill_block_per_row_kernelILj128ELj16ELj256ELj137ELj64Ell21rocsparse_complex_numIfEEEvT5_PKS3_S5_NS_24const_host_device_scalarIT6_EEPKT4_S5_PKS7_SB_S5_SD_S8_SB_S5_SD_SB_S5_PS7_21rocsparse_index_base_SF_SF_SF_bbb.num_vgpr, 24
	.set _ZN9rocsparseL41csrgemm_numeric_fill_block_per_row_kernelILj128ELj16ELj256ELj137ELj64Ell21rocsparse_complex_numIfEEEvT5_PKS3_S5_NS_24const_host_device_scalarIT6_EEPKT4_S5_PKS7_SB_S5_SD_S8_SB_S5_SD_SB_S5_PS7_21rocsparse_index_base_SF_SF_SF_bbb.num_agpr, 0
	.set _ZN9rocsparseL41csrgemm_numeric_fill_block_per_row_kernelILj128ELj16ELj256ELj137ELj64Ell21rocsparse_complex_numIfEEEvT5_PKS3_S5_NS_24const_host_device_scalarIT6_EEPKT4_S5_PKS7_SB_S5_SD_S8_SB_S5_SD_SB_S5_PS7_21rocsparse_index_base_SF_SF_SF_bbb.numbered_sgpr, 50
	.set _ZN9rocsparseL41csrgemm_numeric_fill_block_per_row_kernelILj128ELj16ELj256ELj137ELj64Ell21rocsparse_complex_numIfEEEvT5_PKS3_S5_NS_24const_host_device_scalarIT6_EEPKT4_S5_PKS7_SB_S5_SD_S8_SB_S5_SD_SB_S5_PS7_21rocsparse_index_base_SF_SF_SF_bbb.num_named_barrier, 0
	.set _ZN9rocsparseL41csrgemm_numeric_fill_block_per_row_kernelILj128ELj16ELj256ELj137ELj64Ell21rocsparse_complex_numIfEEEvT5_PKS3_S5_NS_24const_host_device_scalarIT6_EEPKT4_S5_PKS7_SB_S5_SD_S8_SB_S5_SD_SB_S5_PS7_21rocsparse_index_base_SF_SF_SF_bbb.private_seg_size, 0
	.set _ZN9rocsparseL41csrgemm_numeric_fill_block_per_row_kernelILj128ELj16ELj256ELj137ELj64Ell21rocsparse_complex_numIfEEEvT5_PKS3_S5_NS_24const_host_device_scalarIT6_EEPKT4_S5_PKS7_SB_S5_SD_S8_SB_S5_SD_SB_S5_PS7_21rocsparse_index_base_SF_SF_SF_bbb.uses_vcc, 1
	.set _ZN9rocsparseL41csrgemm_numeric_fill_block_per_row_kernelILj128ELj16ELj256ELj137ELj64Ell21rocsparse_complex_numIfEEEvT5_PKS3_S5_NS_24const_host_device_scalarIT6_EEPKT4_S5_PKS7_SB_S5_SD_S8_SB_S5_SD_SB_S5_PS7_21rocsparse_index_base_SF_SF_SF_bbb.uses_flat_scratch, 0
	.set _ZN9rocsparseL41csrgemm_numeric_fill_block_per_row_kernelILj128ELj16ELj256ELj137ELj64Ell21rocsparse_complex_numIfEEEvT5_PKS3_S5_NS_24const_host_device_scalarIT6_EEPKT4_S5_PKS7_SB_S5_SD_S8_SB_S5_SD_SB_S5_PS7_21rocsparse_index_base_SF_SF_SF_bbb.has_dyn_sized_stack, 0
	.set _ZN9rocsparseL41csrgemm_numeric_fill_block_per_row_kernelILj128ELj16ELj256ELj137ELj64Ell21rocsparse_complex_numIfEEEvT5_PKS3_S5_NS_24const_host_device_scalarIT6_EEPKT4_S5_PKS7_SB_S5_SD_S8_SB_S5_SD_SB_S5_PS7_21rocsparse_index_base_SF_SF_SF_bbb.has_recursion, 0
	.set _ZN9rocsparseL41csrgemm_numeric_fill_block_per_row_kernelILj128ELj16ELj256ELj137ELj64Ell21rocsparse_complex_numIfEEEvT5_PKS3_S5_NS_24const_host_device_scalarIT6_EEPKT4_S5_PKS7_SB_S5_SD_S8_SB_S5_SD_SB_S5_PS7_21rocsparse_index_base_SF_SF_SF_bbb.has_indirect_call, 0
	.section	.AMDGPU.csdata,"",@progbits
; Kernel info:
; codeLenInByte = 2772
; TotalNumSgprs: 52
; NumVgprs: 24
; ScratchSize: 0
; MemoryBound: 0
; FloatMode: 240
; IeeeMode: 1
; LDSByteSize: 0 bytes/workgroup (compile time only)
; SGPRBlocks: 0
; VGPRBlocks: 1
; NumSGPRsForWavesPerEU: 52
; NumVGPRsForWavesPerEU: 24
; NamedBarCnt: 0
; Occupancy: 16
; WaveLimiterHint : 1
; COMPUTE_PGM_RSRC2:SCRATCH_EN: 0
; COMPUTE_PGM_RSRC2:USER_SGPR: 2
; COMPUTE_PGM_RSRC2:TRAP_HANDLER: 0
; COMPUTE_PGM_RSRC2:TGID_X_EN: 1
; COMPUTE_PGM_RSRC2:TGID_Y_EN: 0
; COMPUTE_PGM_RSRC2:TGID_Z_EN: 0
; COMPUTE_PGM_RSRC2:TIDIG_COMP_CNT: 0
	.section	.text._ZN9rocsparseL41csrgemm_numeric_fill_block_per_row_kernelILj256ELj32ELj512ELj137ELj32Ell21rocsparse_complex_numIfEEEvT5_PKS3_S5_NS_24const_host_device_scalarIT6_EEPKT4_S5_PKS7_SB_S5_SD_S8_SB_S5_SD_SB_S5_PS7_21rocsparse_index_base_SF_SF_SF_bbb,"axG",@progbits,_ZN9rocsparseL41csrgemm_numeric_fill_block_per_row_kernelILj256ELj32ELj512ELj137ELj32Ell21rocsparse_complex_numIfEEEvT5_PKS3_S5_NS_24const_host_device_scalarIT6_EEPKT4_S5_PKS7_SB_S5_SD_S8_SB_S5_SD_SB_S5_PS7_21rocsparse_index_base_SF_SF_SF_bbb,comdat
	.globl	_ZN9rocsparseL41csrgemm_numeric_fill_block_per_row_kernelILj256ELj32ELj512ELj137ELj32Ell21rocsparse_complex_numIfEEEvT5_PKS3_S5_NS_24const_host_device_scalarIT6_EEPKT4_S5_PKS7_SB_S5_SD_S8_SB_S5_SD_SB_S5_PS7_21rocsparse_index_base_SF_SF_SF_bbb ; -- Begin function _ZN9rocsparseL41csrgemm_numeric_fill_block_per_row_kernelILj256ELj32ELj512ELj137ELj32Ell21rocsparse_complex_numIfEEEvT5_PKS3_S5_NS_24const_host_device_scalarIT6_EEPKT4_S5_PKS7_SB_S5_SD_S8_SB_S5_SD_SB_S5_PS7_21rocsparse_index_base_SF_SF_SF_bbb
	.p2align	8
	.type	_ZN9rocsparseL41csrgemm_numeric_fill_block_per_row_kernelILj256ELj32ELj512ELj137ELj32Ell21rocsparse_complex_numIfEEEvT5_PKS3_S5_NS_24const_host_device_scalarIT6_EEPKT4_S5_PKS7_SB_S5_SD_S8_SB_S5_SD_SB_S5_PS7_21rocsparse_index_base_SF_SF_SF_bbb,@function
_ZN9rocsparseL41csrgemm_numeric_fill_block_per_row_kernelILj256ELj32ELj512ELj137ELj32Ell21rocsparse_complex_numIfEEEvT5_PKS3_S5_NS_24const_host_device_scalarIT6_EEPKT4_S5_PKS7_SB_S5_SD_S8_SB_S5_SD_SB_S5_PS7_21rocsparse_index_base_SF_SF_SF_bbb: ; @_ZN9rocsparseL41csrgemm_numeric_fill_block_per_row_kernelILj256ELj32ELj512ELj137ELj32Ell21rocsparse_complex_numIfEEEvT5_PKS3_S5_NS_24const_host_device_scalarIT6_EEPKT4_S5_PKS7_SB_S5_SD_S8_SB_S5_SD_SB_S5_PS7_21rocsparse_index_base_SF_SF_SF_bbb
; %bb.0:
	s_clause 0x3
	s_load_b32 s33, s[0:1], 0x98
	s_load_b128 s[20:23], s[0:1], 0x88
	s_load_b64 s[34:35], s[0:1], 0x8
	s_load_b64 s[30:31], s[0:1], 0x50
	s_mov_b32 s3, 0
	s_mov_b32 s41, 0
	s_wait_kmcnt 0x0
	s_bitcmp1_b32 s33, 0
	s_cselect_b32 s38, -1, 0
	s_bitcmp1_b32 s33, 16
	s_cselect_b32 s2, -1, 0
	s_delay_alu instid0(SALU_CYCLE_1) | instskip(SKIP_2) | instid1(VALU_DEP_1)
	s_xor_b32 s4, s2, -1
	s_bitcmp0_b32 s33, 0
	v_cndmask_b32_e64 v1, 0, 1, s4
	v_cmp_ne_u32_e32 vcc_lo, 1, v1
	s_cbranch_scc1 .LBB124_5
; %bb.1:
	s_load_b64 s[2:3], s[0:1], 0x18
	s_and_b32 vcc_lo, exec_lo, vcc_lo
	s_wait_kmcnt 0x0
	s_mov_b32 s41, s2
	s_cbranch_vccnz .LBB124_3
; %bb.2:
	s_load_b32 s41, s[2:3], 0x0
.LBB124_3:
	s_and_not1_b32 vcc_lo, exec_lo, s4
	s_cbranch_vccnz .LBB124_5
; %bb.4:
	s_wait_xcnt 0x0
	s_load_b32 s3, s[2:3], 0x4
.LBB124_5:
	s_clause 0x4
	s_load_b64 s[28:29], s[0:1], 0x80
	s_load_b256 s[4:11], s[0:1], 0x58
	s_load_b128 s[24:27], s[0:1], 0x40
	s_load_b64 s[36:37], s[0:1], 0x10
	s_load_b256 s[12:19], s[0:1], 0x20
	s_bitcmp1_b32 s33, 8
	s_mov_b32 s40, 0
	s_wait_xcnt 0x0
	s_cselect_b32 s2, -1, 0
	s_bfe_u32 s39, s33, 0x10008
	s_mov_b32 s33, 0
	s_cmp_eq_u32 s39, 0
	s_cbranch_scc1 .LBB124_11
; %bb.6:
	v_cmp_ne_u32_e32 vcc_lo, 1, v1
	s_mov_b32 s33, s30
	s_cbranch_vccnz .LBB124_8
; %bb.7:
	s_load_b32 s33, s[30:31], 0x0
.LBB124_8:
	v_cmp_ne_u32_e32 vcc_lo, 1, v1
	s_cbranch_vccnz .LBB124_10
; %bb.9:
	s_wait_xcnt 0x0
	s_load_b32 s31, s[30:31], 0x4
.LBB124_10:
	s_wait_kmcnt 0x0
	s_mov_b32 s40, s31
.LBB124_11:
	s_load_b64 s[30:31], s[0:1], 0x0
	s_wait_xcnt 0x0
	v_cmp_gt_u32_e64 s0, 0x200, v0
	v_or_b32_e32 v22, 0xffffff00, v0
	v_lshl_add_u32 v23, v0, 3, 0
	s_and_saveexec_b32 s1, s0
	s_cbranch_execz .LBB124_14
; %bb.12:
	s_wait_kmcnt 0x0
	v_mov_b64_e32 v[2:3], s[30:31]
	v_or_b32_e32 v1, 0xffffff00, v0
	v_lshl_add_u32 v4, v0, 3, 0
	v_mov_b32_e32 v5, 0
	s_mov_b32 s39, 0
.LBB124_13:                             ; =>This Inner Loop Header: Depth=1
	s_delay_alu instid0(VALU_DEP_3)
	v_add_co_u32 v1, s42, 0x100, v1
	s_xor_b32 s42, s42, -1
	v_add_nc_u32_e32 v6, 0x1000, v4
	ds_store_b64 v4, v[2:3]
	v_add_nc_u32_e32 v4, 0x800, v4
	s_and_b32 s42, exec_lo, s42
	s_delay_alu instid0(SALU_CYCLE_1)
	s_or_b32 s39, s42, s39
	ds_store_2addr_b32 v6, v5, v5 offset1:1
	s_and_not1_b32 exec_lo, exec_lo, s39
	s_cbranch_execnz .LBB124_13
.LBB124_14:
	s_or_b32 exec_lo, exec_lo, s1
	s_wait_dscnt 0x0
	s_barrier_signal -1
	s_barrier_wait -1
	s_load_b64 s[34:35], s[34:35], 0x0
	s_bfe_u32 s1, ttmp6, 0x4000c
	s_and_b32 s39, ttmp6, 15
	s_add_co_i32 s1, s1, 1
	s_getreg_b32 s42, hwreg(HW_REG_IB_STS2, 6, 4)
	s_mul_i32 s1, ttmp9, s1
	v_lshrrev_b32_e32 v2, 5, v0
	s_add_co_i32 s39, s39, s1
	s_wait_kmcnt 0x0
	s_lshl_b64 s[34:35], s[34:35], 3
	s_cmp_eq_u32 s42, 0
	s_add_nc_u64 s[34:35], s[36:37], s[34:35]
	s_cselect_b32 s1, ttmp9, s39
	s_and_b32 vcc_lo, exec_lo, s38
	s_load_b64 s[34:35], s[34:35], s1 offset:0x0 scale_offset
	s_mov_b32 s37, 0
	s_cbranch_vccz .LBB124_34
; %bb.15:
	s_wait_kmcnt 0x0
	s_lshl_b64 s[38:39], s[34:35], 3
	v_mov_b32_e32 v3, 0
	s_add_nc_u64 s[12:13], s[12:13], s[38:39]
	s_mov_b32 s36, s20
	s_load_b128 s[44:47], s[12:13], 0x0
	s_mov_b32 s1, exec_lo
	v_sub_nc_u64_e64 v[4:5], v[2:3], s[36:37]
	s_wait_kmcnt 0x0
	s_delay_alu instid0(VALU_DEP_1)
	v_add_nc_u64_e32 v[4:5], s[44:45], v[4:5]
	s_sub_nc_u64 s[12:13], s[46:47], s[36:37]
	s_delay_alu instid0(VALU_DEP_1) | instid1(SALU_CYCLE_1)
	v_cmpx_gt_i64_e64 s[12:13], v[4:5]
	s_cbranch_execz .LBB124_33
; %bb.16:
	v_dual_mov_b32 v7, v3 :: v_dual_bitop2_b32 v6, 31, v0 bitop3:0x40
	s_mov_b32 s39, 0
	s_mov_b32 s38, s21
	;; [unrolled: 1-line block ×3, first 2 shown]
	s_delay_alu instid0(VALU_DEP_1)
	v_sub_nc_u64_e64 v[6:7], v[6:7], s[38:39]
	s_branch .LBB124_18
.LBB124_17:                             ;   in Loop: Header=BB124_18 Depth=1
	s_or_b32 exec_lo, exec_lo, s21
	v_add_nc_u64_e32 v[4:5], 8, v[4:5]
	s_delay_alu instid0(VALU_DEP_1) | instskip(SKIP_1) | instid1(SALU_CYCLE_1)
	v_cmp_le_i64_e32 vcc_lo, s[12:13], v[4:5]
	s_or_b32 s20, vcc_lo, s20
	s_and_not1_b32 exec_lo, exec_lo, s20
	s_cbranch_execz .LBB124_33
.LBB124_18:                             ; =>This Loop Header: Depth=1
                                        ;     Child Loop BB124_22 Depth 2
                                        ;       Child Loop BB124_25 Depth 3
	v_lshl_add_u64 v[8:9], v[4:5], 3, s[14:15]
	s_mov_b32 s21, exec_lo
	global_load_b64 v[8:9], v[8:9], off
	s_wait_loadcnt 0x0
	s_wait_xcnt 0x0
	v_sub_nc_u64_e64 v[8:9], v[8:9], s[36:37]
	s_delay_alu instid0(VALU_DEP_1)
	v_lshl_add_u64 v[8:9], v[8:9], 3, s[18:19]
	global_load_b128 v[10:13], v[8:9], off
	s_wait_loadcnt 0x0
	s_wait_xcnt 0x0
	v_sub_nc_u64_e64 v[8:9], v[12:13], s[38:39]
	v_add_nc_u64_e32 v[10:11], v[10:11], v[6:7]
	s_delay_alu instid0(VALU_DEP_1)
	v_cmpx_lt_i64_e64 v[10:11], v[8:9]
	s_cbranch_execz .LBB124_17
; %bb.19:                               ;   in Loop: Header=BB124_18 Depth=1
	v_lshl_add_u64 v[12:13], v[4:5], 3, s[16:17]
	s_mov_b32 s42, 0
	global_load_b64 v[12:13], v[12:13], off
	s_wait_loadcnt 0x0
	v_mul_f32_e64 v1, v13, -s3
	s_delay_alu instid0(VALU_DEP_1) | instskip(NEXT) | instid1(VALU_DEP_1)
	v_dual_mul_f32 v3, s41, v13 :: v_dual_fmac_f32 v1, s41, v12
	v_fmac_f32_e32 v3, s3, v12
	s_branch .LBB124_22
.LBB124_20:                             ;   in Loop: Header=BB124_22 Depth=2
	s_or_b32 exec_lo, exec_lo, s44
.LBB124_21:                             ;   in Loop: Header=BB124_22 Depth=2
	s_delay_alu instid0(SALU_CYCLE_1)
	s_or_b32 exec_lo, exec_lo, s43
	s_wait_loadcnt 0x0
	v_mul_f32_e64 v15, v13, -v3
	v_mul_f32_e32 v13, v1, v13
	v_lshl_add_u32 v14, v14, 3, 0
	v_add_nc_u64_e32 v[10:11], 32, v[10:11]
	s_delay_alu instid0(VALU_DEP_3) | instskip(SKIP_4) | instid1(SALU_CYCLE_1)
	v_dual_fmac_f32 v13, v3, v12 :: v_dual_fmac_f32 v15, v1, v12
	ds_add_f32 v14, v15 offset:4096
	ds_add_f32 v14, v13 offset:4100
	v_cmp_ge_i64_e32 vcc_lo, v[10:11], v[8:9]
	s_or_b32 s42, vcc_lo, s42
	s_and_not1_b32 exec_lo, exec_lo, s42
	s_cbranch_execz .LBB124_17
.LBB124_22:                             ;   Parent Loop BB124_18 Depth=1
                                        ; =>  This Loop Header: Depth=2
                                        ;       Child Loop BB124_25 Depth 3
	s_wait_xcnt 0x0
	v_lshlrev_b64_e32 v[12:13], 3, v[10:11]
	s_mov_b32 s43, exec_lo
	s_delay_alu instid0(VALU_DEP_1)
	v_add_nc_u64_e32 v[14:15], s[24:25], v[12:13]
	v_add_nc_u64_e32 v[12:13], s[26:27], v[12:13]
	global_load_b64 v[14:15], v[14:15], off
	global_load_b64 v[12:13], v[12:13], off
	s_wait_loadcnt 0x1
	v_sub_nc_u64_e64 v[16:17], v[14:15], s[38:39]
	s_wait_xcnt 0x1
	s_delay_alu instid0(VALU_DEP_1) | instskip(NEXT) | instid1(VALU_DEP_1)
	v_mul_lo_u32 v14, 0x89, v16
	v_and_b32_e32 v14, 0x1ff, v14
	s_delay_alu instid0(VALU_DEP_1)
	v_lshl_add_u32 v24, v14, 3, 0
	ds_load_b64 v[20:21], v24
	s_wait_dscnt 0x0
	s_wait_xcnt 0x0
	v_cmpx_ne_u64_e64 v[20:21], v[16:17]
	s_cbranch_execz .LBB124_21
; %bb.23:                               ;   in Loop: Header=BB124_22 Depth=2
	s_mov_b32 s44, 0
                                        ; implicit-def: $sgpr45
                                        ; implicit-def: $sgpr46
	s_branch .LBB124_25
.LBB124_24:                             ;   in Loop: Header=BB124_25 Depth=3
	s_or_b32 exec_lo, exec_lo, s49
	s_delay_alu instid0(SALU_CYCLE_1) | instskip(NEXT) | instid1(SALU_CYCLE_1)
	s_and_b32 s47, exec_lo, s48
	s_or_b32 s44, s47, s44
	s_and_not1_b32 s45, s45, exec_lo
	s_and_b32 s47, s46, exec_lo
	s_delay_alu instid0(SALU_CYCLE_1)
	s_or_b32 s45, s45, s47
	s_and_not1_b32 exec_lo, exec_lo, s44
	s_cbranch_execz .LBB124_31
.LBB124_25:                             ;   Parent Loop BB124_18 Depth=1
                                        ;     Parent Loop BB124_22 Depth=2
                                        ; =>    This Inner Loop Header: Depth=3
	v_mov_b64_e32 v[18:19], v[14:15]
	s_mov_b32 s47, 0
	s_mov_b32 s48, exec_lo
                                        ; implicit-def: $vgpr14_vgpr15
	v_cmpx_ne_u64_e64 s[30:31], v[20:21]
	s_xor_b32 s48, exec_lo, s48
; %bb.26:                               ;   in Loop: Header=BB124_25 Depth=3
	s_delay_alu instid0(VALU_DEP_2) | instskip(SKIP_1) | instid1(VALU_DEP_1)
	v_add_nc_u32_e32 v14, 1, v18
	s_mov_b32 s47, exec_lo
                                        ; implicit-def: $vgpr24
	v_and_b32_e32 v14, 0x1ff, v14
; %bb.27:                               ;   in Loop: Header=BB124_25 Depth=3
	s_and_not1_saveexec_b32 s48, s48
	s_cbranch_execz .LBB124_29
; %bb.28:                               ;   in Loop: Header=BB124_25 Depth=3
	v_mov_b64_e32 v[14:15], s[30:31]
	s_and_not1_b32 s47, s47, exec_lo
	ds_cmpstore_rtn_b64 v[14:15], v24, v[16:17], v[14:15]
	s_wait_dscnt 0x0
	v_cmp_ne_u64_e32 vcc_lo, s[30:31], v[14:15]
	v_mov_b64_e32 v[14:15], v[18:19]
	s_and_b32 s49, vcc_lo, exec_lo
	s_delay_alu instid0(SALU_CYCLE_1)
	s_or_b32 s47, s47, s49
.LBB124_29:                             ;   in Loop: Header=BB124_25 Depth=3
	s_or_b32 exec_lo, exec_lo, s48
	s_mov_b32 s48, -1
	s_or_b32 s46, s46, exec_lo
                                        ; implicit-def: $vgpr24
                                        ; implicit-def: $vgpr20_vgpr21
	s_and_saveexec_b32 s49, s47
	s_cbranch_execz .LBB124_24
; %bb.30:                               ;   in Loop: Header=BB124_25 Depth=3
	v_lshl_add_u32 v24, v14, 3, 0
	s_and_not1_b32 s46, s46, exec_lo
	ds_load_b64 v[20:21], v24
	s_wait_dscnt 0x0
	v_cmp_eq_u64_e32 vcc_lo, v[20:21], v[16:17]
	s_or_not1_b32 s48, vcc_lo, exec_lo
	s_branch .LBB124_24
.LBB124_31:                             ;   in Loop: Header=BB124_22 Depth=2
	s_or_b32 exec_lo, exec_lo, s44
	s_and_saveexec_b32 s44, s45
	s_delay_alu instid0(SALU_CYCLE_1)
	s_xor_b32 s44, exec_lo, s44
	s_cbranch_execz .LBB124_20
; %bb.32:                               ;   in Loop: Header=BB124_22 Depth=2
	v_mov_b32_e32 v14, v18
	s_branch .LBB124_20
.LBB124_33:
	s_or_b32 exec_lo, exec_lo, s1
.LBB124_34:
	s_delay_alu instid0(SALU_CYCLE_1)
	s_and_not1_b32 vcc_lo, exec_lo, s2
	s_cbranch_vccnz .LBB124_51
; %bb.35:
	s_wait_kmcnt 0x0
	s_lshl_b64 s[2:3], s[34:35], 3
	v_mov_b32_e32 v1, 0
	s_add_nc_u64 s[2:3], s[4:5], s[2:3]
	s_mov_b32 s1, exec_lo
	s_load_b128 s[12:15], s[2:3], 0x0
	s_wait_xcnt 0x0
	s_mov_b32 s3, 0
	s_mov_b32 s2, s23
	s_delay_alu instid0(SALU_CYCLE_1) | instskip(SKIP_1) | instid1(VALU_DEP_1)
	v_sub_nc_u64_e64 v[4:5], v[0:1], s[2:3]
	s_wait_kmcnt 0x0
	v_add_nc_u64_e32 v[4:5], s[12:13], v[4:5]
	s_sub_nc_u64 s[4:5], s[14:15], s[2:3]
	s_delay_alu instid0(VALU_DEP_1) | instid1(SALU_CYCLE_1)
	v_cmpx_gt_i64_e64 s[4:5], v[4:5]
	s_cbranch_execz .LBB124_50
; %bb.36:
	s_mov_b32 s12, s3
	s_branch .LBB124_39
.LBB124_37:                             ;   in Loop: Header=BB124_39 Depth=1
	s_or_b32 exec_lo, exec_lo, s14
.LBB124_38:                             ;   in Loop: Header=BB124_39 Depth=1
	s_delay_alu instid0(SALU_CYCLE_1)
	s_or_b32 exec_lo, exec_lo, s13
	s_wait_loadcnt 0x0
	v_mul_f32_e64 v1, v7, -s40
	v_mul_f32_e32 v3, s33, v7
	v_lshl_add_u32 v7, v8, 3, 0
	v_add_nc_u64_e32 v[4:5], 0x100, v[4:5]
	s_delay_alu instid0(VALU_DEP_3) | instskip(SKIP_4) | instid1(SALU_CYCLE_1)
	v_dual_fmac_f32 v1, s33, v6 :: v_dual_fmac_f32 v3, s40, v6
	ds_add_f32 v7, v1 offset:4096
	ds_add_f32 v7, v3 offset:4100
	v_cmp_le_i64_e32 vcc_lo, s[4:5], v[4:5]
	s_or_b32 s12, vcc_lo, s12
	s_and_not1_b32 exec_lo, exec_lo, s12
	s_cbranch_execz .LBB124_50
.LBB124_39:                             ; =>This Loop Header: Depth=1
                                        ;     Child Loop BB124_42 Depth 2
	v_lshlrev_b64_e32 v[6:7], 3, v[4:5]
	s_mov_b32 s13, exec_lo
	s_delay_alu instid0(VALU_DEP_1)
	v_add_nc_u64_e32 v[8:9], s[6:7], v[6:7]
	v_add_nc_u64_e32 v[6:7], s[8:9], v[6:7]
	global_load_b64 v[8:9], v[8:9], off
	global_load_b64 v[6:7], v[6:7], off
	s_wait_loadcnt 0x1
	v_sub_nc_u64_e64 v[10:11], v[8:9], s[2:3]
	s_delay_alu instid0(VALU_DEP_1) | instskip(NEXT) | instid1(VALU_DEP_1)
	v_mul_lo_u32 v1, 0x89, v10
	v_and_b32_e32 v8, 0x1ff, v1
	s_delay_alu instid0(VALU_DEP_1)
	v_lshl_add_u32 v1, v8, 3, 0
	ds_load_b64 v[14:15], v1
	s_wait_dscnt 0x0
	s_wait_xcnt 0x0
	v_cmpx_ne_u64_e64 v[14:15], v[10:11]
	s_cbranch_execz .LBB124_38
; %bb.40:                               ;   in Loop: Header=BB124_39 Depth=1
	s_mov_b32 s14, 0
                                        ; implicit-def: $sgpr15
                                        ; implicit-def: $sgpr16
	s_branch .LBB124_42
.LBB124_41:                             ;   in Loop: Header=BB124_42 Depth=2
	s_or_b32 exec_lo, exec_lo, s19
	s_delay_alu instid0(SALU_CYCLE_1) | instskip(NEXT) | instid1(SALU_CYCLE_1)
	s_and_b32 s17, exec_lo, s18
	s_or_b32 s14, s17, s14
	s_and_not1_b32 s15, s15, exec_lo
	s_and_b32 s17, s16, exec_lo
	s_delay_alu instid0(SALU_CYCLE_1)
	s_or_b32 s15, s15, s17
	s_and_not1_b32 exec_lo, exec_lo, s14
	s_cbranch_execz .LBB124_48
.LBB124_42:                             ;   Parent Loop BB124_39 Depth=1
                                        ; =>  This Inner Loop Header: Depth=2
	v_mov_b64_e32 v[12:13], v[8:9]
	s_mov_b32 s17, 0
	s_mov_b32 s18, exec_lo
                                        ; implicit-def: $vgpr8_vgpr9
	v_cmpx_ne_u64_e64 s[30:31], v[14:15]
	s_xor_b32 s18, exec_lo, s18
; %bb.43:                               ;   in Loop: Header=BB124_42 Depth=2
	s_delay_alu instid0(VALU_DEP_2) | instskip(SKIP_1) | instid1(VALU_DEP_1)
	v_add_nc_u32_e32 v1, 1, v12
	s_mov_b32 s17, exec_lo
	v_and_b32_e32 v8, 0x1ff, v1
                                        ; implicit-def: $vgpr1
; %bb.44:                               ;   in Loop: Header=BB124_42 Depth=2
	s_and_not1_saveexec_b32 s18, s18
	s_cbranch_execz .LBB124_46
; %bb.45:                               ;   in Loop: Header=BB124_42 Depth=2
	v_mov_b64_e32 v[8:9], s[30:31]
	s_and_not1_b32 s17, s17, exec_lo
	ds_cmpstore_rtn_b64 v[8:9], v1, v[10:11], v[8:9]
	s_wait_dscnt 0x0
	v_cmp_ne_u64_e32 vcc_lo, s[30:31], v[8:9]
	v_mov_b64_e32 v[8:9], v[12:13]
	s_and_b32 s19, vcc_lo, exec_lo
	s_delay_alu instid0(SALU_CYCLE_1)
	s_or_b32 s17, s17, s19
.LBB124_46:                             ;   in Loop: Header=BB124_42 Depth=2
	s_or_b32 exec_lo, exec_lo, s18
	s_mov_b32 s18, -1
	s_or_b32 s16, s16, exec_lo
                                        ; implicit-def: $vgpr1
                                        ; implicit-def: $vgpr14_vgpr15
	s_and_saveexec_b32 s19, s17
	s_cbranch_execz .LBB124_41
; %bb.47:                               ;   in Loop: Header=BB124_42 Depth=2
	v_lshl_add_u32 v1, v8, 3, 0
	s_and_not1_b32 s16, s16, exec_lo
	ds_load_b64 v[14:15], v1
	s_wait_dscnt 0x0
	v_cmp_eq_u64_e32 vcc_lo, v[14:15], v[10:11]
	s_or_not1_b32 s18, vcc_lo, exec_lo
	s_branch .LBB124_41
.LBB124_48:                             ;   in Loop: Header=BB124_39 Depth=1
	s_or_b32 exec_lo, exec_lo, s14
	s_and_saveexec_b32 s14, s15
	s_delay_alu instid0(SALU_CYCLE_1)
	s_xor_b32 s14, exec_lo, s14
	s_cbranch_execz .LBB124_37
; %bb.49:                               ;   in Loop: Header=BB124_39 Depth=1
	v_mov_b32_e32 v8, v12
	s_branch .LBB124_37
.LBB124_50:
	s_or_b32 exec_lo, exec_lo, s1
.LBB124_51:
	s_wait_dscnt 0x0
	s_barrier_signal -1
	s_barrier_wait -1
	s_and_saveexec_b32 s8, s0
	s_cbranch_execz .LBB124_72
; %bb.52:
	v_mbcnt_lo_u32_b32 v4, -1, 0
	v_mov_b32_e32 v3, 0
	v_lshl_add_u32 v1, v2, 3, 0
	v_mov_b64_e32 v[6:7], 0
	v_cmp_lt_u32_e64 s0, 31, v0
	v_xor_b32_e32 v2, 31, v4
	s_wait_xcnt 0x0
	v_cmp_lt_u32_e64 s1, 63, v0
	v_cmp_lt_u32_e64 s2, 0x5f, v0
	;; [unrolled: 1-line block ×4, first 2 shown]
	v_lshrrev_b32_e64 v4, v2, -1
	v_cmp_lt_u32_e64 s5, 0xbf, v0
	v_cmp_lt_u32_e64 s6, 0xdf, v0
	s_mov_b32 s9, 0
	v_cmp_eq_u32_e32 vcc_lo, 0xff, v0
	s_branch .LBB124_54
.LBB124_53:                             ;   in Loop: Header=BB124_54 Depth=1
	s_or_b32 exec_lo, exec_lo, s7
	s_wait_dscnt 0x0
	s_barrier_signal -1
	s_barrier_wait -1
	ds_load_b64 v[8:9], v3 offset:8248
	v_add_co_u32 v22, s7, 0x100, v22
	s_xor_b32 s7, s7, -1
	v_add_nc_u32_e32 v23, 0x800, v23
	s_and_b32 s7, exec_lo, s7
	s_delay_alu instid0(SALU_CYCLE_1)
	s_or_b32 s9, s7, s9
	s_wait_dscnt 0x0
	v_add_nc_u64_e32 v[6:7], v[8:9], v[6:7]
	s_and_not1_b32 exec_lo, exec_lo, s9
	s_cbranch_execz .LBB124_72
.LBB124_54:                             ; =>This Inner Loop Header: Depth=1
	ds_load_b64 v[8:9], v23
	v_add_nc_u32_e32 v2, 0x1000, v23
	ds_load_2addr_b32 v[10:11], v2 offset1:1
	s_wait_dscnt 0x0
	s_barrier_signal -1
	s_barrier_wait -1
	v_cmp_gt_i64_e64 s7, s[30:31], v[8:9]
	s_bcnt1_i32_b32 s12, s7
	s_delay_alu instid0(SALU_CYCLE_1) | instskip(NEXT) | instid1(VALU_DEP_1)
	v_dual_mov_b32 v2, s12 :: v_dual_bitop2_b32 v5, s7, v4 bitop3:0x40
	v_bcnt_u32_b32 v12, v5, 0
	ds_store_b64 v1, v[2:3] offset:8192
	s_wait_dscnt 0x0
	s_barrier_signal -1
	s_barrier_wait -1
	s_and_saveexec_b32 s12, s0
	s_cbranch_execnz .LBB124_63
; %bb.55:                               ;   in Loop: Header=BB124_54 Depth=1
	s_or_b32 exec_lo, exec_lo, s12
	s_and_saveexec_b32 s12, s1
	s_cbranch_execnz .LBB124_64
.LBB124_56:                             ;   in Loop: Header=BB124_54 Depth=1
	s_or_b32 exec_lo, exec_lo, s12
	s_and_saveexec_b32 s12, s2
	s_cbranch_execnz .LBB124_65
.LBB124_57:                             ;   in Loop: Header=BB124_54 Depth=1
	s_or_b32 exec_lo, exec_lo, s12
	s_and_saveexec_b32 s12, s3
	s_cbranch_execnz .LBB124_66
.LBB124_58:                             ;   in Loop: Header=BB124_54 Depth=1
	s_or_b32 exec_lo, exec_lo, s12
	s_and_saveexec_b32 s12, s4
	s_cbranch_execnz .LBB124_67
.LBB124_59:                             ;   in Loop: Header=BB124_54 Depth=1
	s_or_b32 exec_lo, exec_lo, s12
	s_and_saveexec_b32 s12, s5
	s_cbranch_execnz .LBB124_68
.LBB124_60:                             ;   in Loop: Header=BB124_54 Depth=1
	s_or_b32 exec_lo, exec_lo, s12
	s_and_saveexec_b32 s12, s6
	s_cbranch_execnz .LBB124_69
.LBB124_61:                             ;   in Loop: Header=BB124_54 Depth=1
	s_or_b32 exec_lo, exec_lo, s12
	v_ashrrev_i32_e32 v13, 31, v12
	s_and_saveexec_b32 s12, s7
	s_cbranch_execnz .LBB124_70
.LBB124_62:                             ;   in Loop: Header=BB124_54 Depth=1
	s_or_b32 exec_lo, exec_lo, s12
	s_and_saveexec_b32 s7, vcc_lo
	s_cbranch_execz .LBB124_53
	s_branch .LBB124_71
.LBB124_63:                             ;   in Loop: Header=BB124_54 Depth=1
	ds_load_b32 v2, v3 offset:8192
	s_wait_dscnt 0x0
	v_add_nc_u32_e32 v12, v2, v12
	s_or_b32 exec_lo, exec_lo, s12
	s_and_saveexec_b32 s12, s1
	s_cbranch_execz .LBB124_56
.LBB124_64:                             ;   in Loop: Header=BB124_54 Depth=1
	ds_load_b32 v2, v3 offset:8200
	s_wait_dscnt 0x0
	v_add_nc_u32_e32 v12, v12, v2
	s_or_b32 exec_lo, exec_lo, s12
	s_and_saveexec_b32 s12, s2
	s_cbranch_execz .LBB124_57
.LBB124_65:                             ;   in Loop: Header=BB124_54 Depth=1
	ds_load_b32 v2, v3 offset:8208
	s_wait_dscnt 0x0
	v_add_nc_u32_e32 v12, v12, v2
	s_or_b32 exec_lo, exec_lo, s12
	s_and_saveexec_b32 s12, s3
	s_cbranch_execz .LBB124_58
.LBB124_66:                             ;   in Loop: Header=BB124_54 Depth=1
	ds_load_b32 v2, v3 offset:8216
	s_wait_dscnt 0x0
	v_add_nc_u32_e32 v12, v12, v2
	s_or_b32 exec_lo, exec_lo, s12
	s_and_saveexec_b32 s12, s4
	s_cbranch_execz .LBB124_59
.LBB124_67:                             ;   in Loop: Header=BB124_54 Depth=1
	ds_load_b32 v2, v3 offset:8224
	s_wait_dscnt 0x0
	v_add_nc_u32_e32 v12, v12, v2
	s_or_b32 exec_lo, exec_lo, s12
	s_and_saveexec_b32 s12, s5
	s_cbranch_execz .LBB124_60
.LBB124_68:                             ;   in Loop: Header=BB124_54 Depth=1
	ds_load_b32 v2, v3 offset:8232
	s_wait_dscnt 0x0
	v_add_nc_u32_e32 v12, v12, v2
	s_or_b32 exec_lo, exec_lo, s12
	s_and_saveexec_b32 s12, s6
	s_cbranch_execz .LBB124_61
.LBB124_69:                             ;   in Loop: Header=BB124_54 Depth=1
	ds_load_b32 v2, v3 offset:8240
	s_wait_dscnt 0x0
	v_add_nc_u32_e32 v12, v12, v2
	s_or_b32 exec_lo, exec_lo, s12
	s_delay_alu instid0(VALU_DEP_1)
	v_ashrrev_i32_e32 v13, 31, v12
	s_and_saveexec_b32 s12, s7
	s_cbranch_execz .LBB124_62
.LBB124_70:                             ;   in Loop: Header=BB124_54 Depth=1
	v_add3_u32 v2, v6, -1, v12
	v_add_lshl_u32 v5, v6, v12, 3
	s_delay_alu instid0(VALU_DEP_2) | instskip(NEXT) | instid1(VALU_DEP_2)
	v_lshl_add_u32 v2, v2, 3, 0
	v_add3_u32 v5, 0, v5, 0xff8
	ds_store_b64 v2, v[8:9]
	ds_store_2addr_b32 v5, v10, v11 offset1:1
	s_or_b32 exec_lo, exec_lo, s12
	s_and_saveexec_b32 s7, vcc_lo
	s_cbranch_execz .LBB124_53
.LBB124_71:                             ;   in Loop: Header=BB124_54 Depth=1
	ds_store_b64 v3, v[12:13] offset:8248
	s_branch .LBB124_53
.LBB124_72:
	s_or_b32 exec_lo, exec_lo, s8
	s_wait_kmcnt 0x0
	s_lshl_b64 s[0:1], s[34:35], 3
	v_mov_b32_e32 v1, 0
	s_add_nc_u64 s[4:5], s[10:11], s[0:1]
	s_mov_b32 s6, exec_lo
	s_load_b128 s[0:3], s[4:5], 0x0
	s_wait_kmcnt 0x0
	s_sub_nc_u64 s[4:5], s[2:3], s[0:1]
	s_delay_alu instid0(SALU_CYCLE_1)
	v_cmpx_gt_i64_e64 s[4:5], v[0:1]
	s_cbranch_execz .LBB124_82
; %bb.73:
	s_sub_nc_u64 s[8:9], s[0:1], s[2:3]
	s_and_b64 s[6:7], s[4:5], 7
	v_cmp_lt_u64_e64 s10, s[8:9], -7
	s_and_b64 s[2:3], s[4:5], -8
	s_mov_b32 s23, 0
	s_cmp_lg_u64 s[6:7], 0
	s_sub_nc_u64 s[0:1], s[0:1], s[22:23]
	s_cselect_b32 s11, -1, 0
	s_mov_b32 s12, 0
	s_branch .LBB124_75
.LBB124_74:                             ;   in Loop: Header=BB124_75 Depth=1
	v_add_nc_u64_e32 v[0:1], 0x100, v[0:1]
	s_wait_dscnt 0x1
	s_delay_alu instid0(VALU_DEP_2)
	v_lshl_add_u64 v[4:5], v[6:7], 3, s[28:29]
	s_wait_dscnt 0x0
	global_store_b64 v[4:5], v[2:3], off
	v_cmp_le_i64_e32 vcc_lo, s[4:5], v[0:1]
	s_or_b32 s12, vcc_lo, s12
	s_wait_xcnt 0x0
	s_and_not1_b32 exec_lo, exec_lo, s12
	s_cbranch_execz .LBB124_82
.LBB124_75:                             ; =>This Loop Header: Depth=1
                                        ;     Child Loop BB124_77 Depth 2
                                        ;     Child Loop BB124_81 Depth 2
	v_lshl_add_u32 v2, v0, 3, 0
	v_mov_b64_e32 v[6:7], s[0:1]
	s_and_not1_b32 vcc_lo, exec_lo, s10
	s_mov_b64 s[8:9], 0
	s_delay_alu instid0(VALU_DEP_2)
	v_add_nc_u32_e32 v3, 0x1000, v2
	ds_load_b64 v[4:5], v2
	ds_load_2addr_b32 v[2:3], v3 offset1:1
	s_cbranch_vccnz .LBB124_79
; %bb.76:                               ;   in Loop: Header=BB124_75 Depth=1
	v_mov_b64_e32 v[6:7], s[0:1]
	s_mov_b32 s13, 0
.LBB124_77:                             ;   Parent Loop BB124_75 Depth=1
                                        ; =>  This Inner Loop Header: Depth=2
	s_delay_alu instid0(SALU_CYCLE_1)
	v_dual_mov_b32 v20, s13 :: v_dual_mov_b32 v17, s23
	v_mov_b32_e32 v19, s23
	s_add_nc_u64 s[8:9], s[8:9], 8
	s_add_co_i32 s13, s13, 64
	ds_load_2addr_b64 v[8:11], v20 offset1:1
	ds_load_2addr_b64 v[12:15], v20 offset0:2 offset1:3
	s_cmp_eq_u64 s[2:3], s[8:9]
	s_wait_dscnt 0x1
	v_cmp_gt_i64_e32 vcc_lo, v[4:5], v[8:9]
	v_cndmask_b32_e64 v16, 0, 1, vcc_lo
	v_cmp_gt_i64_e32 vcc_lo, v[4:5], v[10:11]
	s_delay_alu instid0(VALU_DEP_2) | instskip(SKIP_4) | instid1(VALU_DEP_2)
	v_add_nc_u64_e32 v[10:11], v[6:7], v[16:17]
	ds_load_2addr_b64 v[6:9], v20 offset0:4 offset1:5
	v_cndmask_b32_e64 v18, 0, 1, vcc_lo
	s_wait_dscnt 0x1
	v_cmp_gt_i64_e32 vcc_lo, v[4:5], v[12:13]
	v_add_nc_u64_e32 v[10:11], v[10:11], v[18:19]
	v_cndmask_b32_e64 v16, 0, 1, vcc_lo
	v_cmp_gt_i64_e32 vcc_lo, v[4:5], v[14:15]
	s_delay_alu instid0(VALU_DEP_2)
	v_add_nc_u64_e32 v[14:15], v[10:11], v[16:17]
	ds_load_2addr_b64 v[10:13], v20 offset0:6 offset1:7
	v_cndmask_b32_e64 v18, 0, 1, vcc_lo
	s_wait_dscnt 0x1
	v_cmp_gt_i64_e32 vcc_lo, v[4:5], v[6:7]
	v_mov_b32_e32 v7, s23
	s_delay_alu instid0(VALU_DEP_3) | instskip(SKIP_3) | instid1(VALU_DEP_3)
	v_add_nc_u64_e32 v[14:15], v[14:15], v[18:19]
	v_cndmask_b32_e64 v16, 0, 1, vcc_lo
	v_cmp_gt_i64_e32 vcc_lo, v[4:5], v[8:9]
	v_mov_b32_e32 v9, s23
	v_add_nc_u64_e32 v[14:15], v[14:15], v[16:17]
	v_cndmask_b32_e64 v6, 0, 1, vcc_lo
	s_wait_dscnt 0x0
	v_cmp_gt_i64_e32 vcc_lo, v[4:5], v[10:11]
	v_mov_b32_e32 v11, s23
	s_delay_alu instid0(VALU_DEP_3) | instskip(SKIP_2) | instid1(VALU_DEP_2)
	v_add_nc_u64_e32 v[6:7], v[14:15], v[6:7]
	v_cndmask_b32_e64 v8, 0, 1, vcc_lo
	v_cmp_gt_i64_e32 vcc_lo, v[4:5], v[12:13]
	v_add_nc_u64_e32 v[6:7], v[6:7], v[8:9]
	v_cndmask_b32_e64 v10, 0, 1, vcc_lo
	s_delay_alu instid0(VALU_DEP_1)
	v_add_nc_u64_e32 v[6:7], v[6:7], v[10:11]
	s_cbranch_scc0 .LBB124_77
; %bb.78:                               ;   in Loop: Header=BB124_75 Depth=1
	s_mov_b64 s[8:9], s[2:3]
.LBB124_79:                             ;   in Loop: Header=BB124_75 Depth=1
	s_and_not1_b32 vcc_lo, exec_lo, s11
	s_cbranch_vccnz .LBB124_74
; %bb.80:                               ;   in Loop: Header=BB124_75 Depth=1
	s_lshl_b32 s8, s8, 3
	s_delay_alu instid0(SALU_CYCLE_1)
	s_add_co_i32 s13, s8, 0
	s_mov_b64 s[8:9], s[6:7]
.LBB124_81:                             ;   Parent Loop BB124_75 Depth=1
                                        ; =>  This Inner Loop Header: Depth=2
	v_dual_mov_b32 v8, s13 :: v_dual_mov_b32 v11, s23
	s_add_nc_u64 s[8:9], s[8:9], -1
	s_add_co_i32 s13, s13, 8
	s_cmp_lg_u64 s[8:9], 0
	ds_load_b64 v[8:9], v8
	s_wait_dscnt 0x0
	v_cmp_gt_i64_e32 vcc_lo, v[4:5], v[8:9]
	v_cndmask_b32_e64 v10, 0, 1, vcc_lo
	s_delay_alu instid0(VALU_DEP_1)
	v_add_nc_u64_e32 v[6:7], v[6:7], v[10:11]
	s_cbranch_scc1 .LBB124_81
	s_branch .LBB124_74
.LBB124_82:
	s_endpgm
	.section	.rodata,"a",@progbits
	.p2align	6, 0x0
	.amdhsa_kernel _ZN9rocsparseL41csrgemm_numeric_fill_block_per_row_kernelILj256ELj32ELj512ELj137ELj32Ell21rocsparse_complex_numIfEEEvT5_PKS3_S5_NS_24const_host_device_scalarIT6_EEPKT4_S5_PKS7_SB_S5_SD_S8_SB_S5_SD_SB_S5_PS7_21rocsparse_index_base_SF_SF_SF_bbb
		.amdhsa_group_segment_fixed_size 0
		.amdhsa_private_segment_fixed_size 0
		.amdhsa_kernarg_size 156
		.amdhsa_user_sgpr_count 2
		.amdhsa_user_sgpr_dispatch_ptr 0
		.amdhsa_user_sgpr_queue_ptr 0
		.amdhsa_user_sgpr_kernarg_segment_ptr 1
		.amdhsa_user_sgpr_dispatch_id 0
		.amdhsa_user_sgpr_kernarg_preload_length 0
		.amdhsa_user_sgpr_kernarg_preload_offset 0
		.amdhsa_user_sgpr_private_segment_size 0
		.amdhsa_wavefront_size32 1
		.amdhsa_uses_dynamic_stack 0
		.amdhsa_enable_private_segment 0
		.amdhsa_system_sgpr_workgroup_id_x 1
		.amdhsa_system_sgpr_workgroup_id_y 0
		.amdhsa_system_sgpr_workgroup_id_z 0
		.amdhsa_system_sgpr_workgroup_info 0
		.amdhsa_system_vgpr_workitem_id 0
		.amdhsa_next_free_vgpr 25
		.amdhsa_next_free_sgpr 50
		.amdhsa_named_barrier_count 0
		.amdhsa_reserve_vcc 1
		.amdhsa_float_round_mode_32 0
		.amdhsa_float_round_mode_16_64 0
		.amdhsa_float_denorm_mode_32 3
		.amdhsa_float_denorm_mode_16_64 3
		.amdhsa_fp16_overflow 0
		.amdhsa_memory_ordered 1
		.amdhsa_forward_progress 1
		.amdhsa_inst_pref_size 24
		.amdhsa_round_robin_scheduling 0
		.amdhsa_exception_fp_ieee_invalid_op 0
		.amdhsa_exception_fp_denorm_src 0
		.amdhsa_exception_fp_ieee_div_zero 0
		.amdhsa_exception_fp_ieee_overflow 0
		.amdhsa_exception_fp_ieee_underflow 0
		.amdhsa_exception_fp_ieee_inexact 0
		.amdhsa_exception_int_div_zero 0
	.end_amdhsa_kernel
	.section	.text._ZN9rocsparseL41csrgemm_numeric_fill_block_per_row_kernelILj256ELj32ELj512ELj137ELj32Ell21rocsparse_complex_numIfEEEvT5_PKS3_S5_NS_24const_host_device_scalarIT6_EEPKT4_S5_PKS7_SB_S5_SD_S8_SB_S5_SD_SB_S5_PS7_21rocsparse_index_base_SF_SF_SF_bbb,"axG",@progbits,_ZN9rocsparseL41csrgemm_numeric_fill_block_per_row_kernelILj256ELj32ELj512ELj137ELj32Ell21rocsparse_complex_numIfEEEvT5_PKS3_S5_NS_24const_host_device_scalarIT6_EEPKT4_S5_PKS7_SB_S5_SD_S8_SB_S5_SD_SB_S5_PS7_21rocsparse_index_base_SF_SF_SF_bbb,comdat
.Lfunc_end124:
	.size	_ZN9rocsparseL41csrgemm_numeric_fill_block_per_row_kernelILj256ELj32ELj512ELj137ELj32Ell21rocsparse_complex_numIfEEEvT5_PKS3_S5_NS_24const_host_device_scalarIT6_EEPKT4_S5_PKS7_SB_S5_SD_S8_SB_S5_SD_SB_S5_PS7_21rocsparse_index_base_SF_SF_SF_bbb, .Lfunc_end124-_ZN9rocsparseL41csrgemm_numeric_fill_block_per_row_kernelILj256ELj32ELj512ELj137ELj32Ell21rocsparse_complex_numIfEEEvT5_PKS3_S5_NS_24const_host_device_scalarIT6_EEPKT4_S5_PKS7_SB_S5_SD_S8_SB_S5_SD_SB_S5_PS7_21rocsparse_index_base_SF_SF_SF_bbb
                                        ; -- End function
	.set _ZN9rocsparseL41csrgemm_numeric_fill_block_per_row_kernelILj256ELj32ELj512ELj137ELj32Ell21rocsparse_complex_numIfEEEvT5_PKS3_S5_NS_24const_host_device_scalarIT6_EEPKT4_S5_PKS7_SB_S5_SD_S8_SB_S5_SD_SB_S5_PS7_21rocsparse_index_base_SF_SF_SF_bbb.num_vgpr, 25
	.set _ZN9rocsparseL41csrgemm_numeric_fill_block_per_row_kernelILj256ELj32ELj512ELj137ELj32Ell21rocsparse_complex_numIfEEEvT5_PKS3_S5_NS_24const_host_device_scalarIT6_EEPKT4_S5_PKS7_SB_S5_SD_S8_SB_S5_SD_SB_S5_PS7_21rocsparse_index_base_SF_SF_SF_bbb.num_agpr, 0
	.set _ZN9rocsparseL41csrgemm_numeric_fill_block_per_row_kernelILj256ELj32ELj512ELj137ELj32Ell21rocsparse_complex_numIfEEEvT5_PKS3_S5_NS_24const_host_device_scalarIT6_EEPKT4_S5_PKS7_SB_S5_SD_S8_SB_S5_SD_SB_S5_PS7_21rocsparse_index_base_SF_SF_SF_bbb.numbered_sgpr, 50
	.set _ZN9rocsparseL41csrgemm_numeric_fill_block_per_row_kernelILj256ELj32ELj512ELj137ELj32Ell21rocsparse_complex_numIfEEEvT5_PKS3_S5_NS_24const_host_device_scalarIT6_EEPKT4_S5_PKS7_SB_S5_SD_S8_SB_S5_SD_SB_S5_PS7_21rocsparse_index_base_SF_SF_SF_bbb.num_named_barrier, 0
	.set _ZN9rocsparseL41csrgemm_numeric_fill_block_per_row_kernelILj256ELj32ELj512ELj137ELj32Ell21rocsparse_complex_numIfEEEvT5_PKS3_S5_NS_24const_host_device_scalarIT6_EEPKT4_S5_PKS7_SB_S5_SD_S8_SB_S5_SD_SB_S5_PS7_21rocsparse_index_base_SF_SF_SF_bbb.private_seg_size, 0
	.set _ZN9rocsparseL41csrgemm_numeric_fill_block_per_row_kernelILj256ELj32ELj512ELj137ELj32Ell21rocsparse_complex_numIfEEEvT5_PKS3_S5_NS_24const_host_device_scalarIT6_EEPKT4_S5_PKS7_SB_S5_SD_S8_SB_S5_SD_SB_S5_PS7_21rocsparse_index_base_SF_SF_SF_bbb.uses_vcc, 1
	.set _ZN9rocsparseL41csrgemm_numeric_fill_block_per_row_kernelILj256ELj32ELj512ELj137ELj32Ell21rocsparse_complex_numIfEEEvT5_PKS3_S5_NS_24const_host_device_scalarIT6_EEPKT4_S5_PKS7_SB_S5_SD_S8_SB_S5_SD_SB_S5_PS7_21rocsparse_index_base_SF_SF_SF_bbb.uses_flat_scratch, 0
	.set _ZN9rocsparseL41csrgemm_numeric_fill_block_per_row_kernelILj256ELj32ELj512ELj137ELj32Ell21rocsparse_complex_numIfEEEvT5_PKS3_S5_NS_24const_host_device_scalarIT6_EEPKT4_S5_PKS7_SB_S5_SD_S8_SB_S5_SD_SB_S5_PS7_21rocsparse_index_base_SF_SF_SF_bbb.has_dyn_sized_stack, 0
	.set _ZN9rocsparseL41csrgemm_numeric_fill_block_per_row_kernelILj256ELj32ELj512ELj137ELj32Ell21rocsparse_complex_numIfEEEvT5_PKS3_S5_NS_24const_host_device_scalarIT6_EEPKT4_S5_PKS7_SB_S5_SD_S8_SB_S5_SD_SB_S5_PS7_21rocsparse_index_base_SF_SF_SF_bbb.has_recursion, 0
	.set _ZN9rocsparseL41csrgemm_numeric_fill_block_per_row_kernelILj256ELj32ELj512ELj137ELj32Ell21rocsparse_complex_numIfEEEvT5_PKS3_S5_NS_24const_host_device_scalarIT6_EEPKT4_S5_PKS7_SB_S5_SD_S8_SB_S5_SD_SB_S5_PS7_21rocsparse_index_base_SF_SF_SF_bbb.has_indirect_call, 0
	.section	.AMDGPU.csdata,"",@progbits
; Kernel info:
; codeLenInByte = 3072
; TotalNumSgprs: 52
; NumVgprs: 25
; ScratchSize: 0
; MemoryBound: 0
; FloatMode: 240
; IeeeMode: 1
; LDSByteSize: 0 bytes/workgroup (compile time only)
; SGPRBlocks: 0
; VGPRBlocks: 1
; NumSGPRsForWavesPerEU: 52
; NumVGPRsForWavesPerEU: 25
; NamedBarCnt: 0
; Occupancy: 16
; WaveLimiterHint : 1
; COMPUTE_PGM_RSRC2:SCRATCH_EN: 0
; COMPUTE_PGM_RSRC2:USER_SGPR: 2
; COMPUTE_PGM_RSRC2:TRAP_HANDLER: 0
; COMPUTE_PGM_RSRC2:TGID_X_EN: 1
; COMPUTE_PGM_RSRC2:TGID_Y_EN: 0
; COMPUTE_PGM_RSRC2:TGID_Z_EN: 0
; COMPUTE_PGM_RSRC2:TIDIG_COMP_CNT: 0
	.section	.text._ZN9rocsparseL41csrgemm_numeric_fill_block_per_row_kernelILj256ELj32ELj512ELj137ELj64Ell21rocsparse_complex_numIfEEEvT5_PKS3_S5_NS_24const_host_device_scalarIT6_EEPKT4_S5_PKS7_SB_S5_SD_S8_SB_S5_SD_SB_S5_PS7_21rocsparse_index_base_SF_SF_SF_bbb,"axG",@progbits,_ZN9rocsparseL41csrgemm_numeric_fill_block_per_row_kernelILj256ELj32ELj512ELj137ELj64Ell21rocsparse_complex_numIfEEEvT5_PKS3_S5_NS_24const_host_device_scalarIT6_EEPKT4_S5_PKS7_SB_S5_SD_S8_SB_S5_SD_SB_S5_PS7_21rocsparse_index_base_SF_SF_SF_bbb,comdat
	.globl	_ZN9rocsparseL41csrgemm_numeric_fill_block_per_row_kernelILj256ELj32ELj512ELj137ELj64Ell21rocsparse_complex_numIfEEEvT5_PKS3_S5_NS_24const_host_device_scalarIT6_EEPKT4_S5_PKS7_SB_S5_SD_S8_SB_S5_SD_SB_S5_PS7_21rocsparse_index_base_SF_SF_SF_bbb ; -- Begin function _ZN9rocsparseL41csrgemm_numeric_fill_block_per_row_kernelILj256ELj32ELj512ELj137ELj64Ell21rocsparse_complex_numIfEEEvT5_PKS3_S5_NS_24const_host_device_scalarIT6_EEPKT4_S5_PKS7_SB_S5_SD_S8_SB_S5_SD_SB_S5_PS7_21rocsparse_index_base_SF_SF_SF_bbb
	.p2align	8
	.type	_ZN9rocsparseL41csrgemm_numeric_fill_block_per_row_kernelILj256ELj32ELj512ELj137ELj64Ell21rocsparse_complex_numIfEEEvT5_PKS3_S5_NS_24const_host_device_scalarIT6_EEPKT4_S5_PKS7_SB_S5_SD_S8_SB_S5_SD_SB_S5_PS7_21rocsparse_index_base_SF_SF_SF_bbb,@function
_ZN9rocsparseL41csrgemm_numeric_fill_block_per_row_kernelILj256ELj32ELj512ELj137ELj64Ell21rocsparse_complex_numIfEEEvT5_PKS3_S5_NS_24const_host_device_scalarIT6_EEPKT4_S5_PKS7_SB_S5_SD_S8_SB_S5_SD_SB_S5_PS7_21rocsparse_index_base_SF_SF_SF_bbb: ; @_ZN9rocsparseL41csrgemm_numeric_fill_block_per_row_kernelILj256ELj32ELj512ELj137ELj64Ell21rocsparse_complex_numIfEEEvT5_PKS3_S5_NS_24const_host_device_scalarIT6_EEPKT4_S5_PKS7_SB_S5_SD_S8_SB_S5_SD_SB_S5_PS7_21rocsparse_index_base_SF_SF_SF_bbb
; %bb.0:
	s_clause 0x3
	s_load_b32 s33, s[0:1], 0x98
	s_load_b128 s[20:23], s[0:1], 0x88
	s_load_b64 s[34:35], s[0:1], 0x8
	s_load_b64 s[30:31], s[0:1], 0x50
	s_mov_b32 s3, 0
	s_mov_b32 s41, 0
	s_wait_kmcnt 0x0
	s_bitcmp1_b32 s33, 0
	s_cselect_b32 s38, -1, 0
	s_bitcmp1_b32 s33, 16
	s_cselect_b32 s2, -1, 0
	s_delay_alu instid0(SALU_CYCLE_1) | instskip(SKIP_2) | instid1(VALU_DEP_1)
	s_xor_b32 s4, s2, -1
	s_bitcmp0_b32 s33, 0
	v_cndmask_b32_e64 v1, 0, 1, s4
	v_cmp_ne_u32_e32 vcc_lo, 1, v1
	s_cbranch_scc1 .LBB125_5
; %bb.1:
	s_load_b64 s[2:3], s[0:1], 0x18
	s_and_b32 vcc_lo, exec_lo, vcc_lo
	s_wait_kmcnt 0x0
	s_mov_b32 s41, s2
	s_cbranch_vccnz .LBB125_3
; %bb.2:
	s_load_b32 s41, s[2:3], 0x0
.LBB125_3:
	s_and_not1_b32 vcc_lo, exec_lo, s4
	s_cbranch_vccnz .LBB125_5
; %bb.4:
	s_wait_xcnt 0x0
	s_load_b32 s3, s[2:3], 0x4
.LBB125_5:
	s_clause 0x4
	s_load_b64 s[28:29], s[0:1], 0x80
	s_load_b256 s[4:11], s[0:1], 0x58
	s_load_b128 s[24:27], s[0:1], 0x40
	s_load_b64 s[36:37], s[0:1], 0x10
	s_load_b256 s[12:19], s[0:1], 0x20
	s_bitcmp1_b32 s33, 8
	s_mov_b32 s40, 0
	s_wait_xcnt 0x0
	s_cselect_b32 s2, -1, 0
	s_bfe_u32 s39, s33, 0x10008
	s_mov_b32 s33, 0
	s_cmp_eq_u32 s39, 0
	s_cbranch_scc1 .LBB125_11
; %bb.6:
	v_cmp_ne_u32_e32 vcc_lo, 1, v1
	s_mov_b32 s33, s30
	s_cbranch_vccnz .LBB125_8
; %bb.7:
	s_load_b32 s33, s[30:31], 0x0
.LBB125_8:
	v_cmp_ne_u32_e32 vcc_lo, 1, v1
	s_cbranch_vccnz .LBB125_10
; %bb.9:
	s_wait_xcnt 0x0
	s_load_b32 s31, s[30:31], 0x4
.LBB125_10:
	s_wait_kmcnt 0x0
	s_mov_b32 s40, s31
.LBB125_11:
	s_load_b64 s[30:31], s[0:1], 0x0
	s_wait_xcnt 0x0
	v_cmp_gt_u32_e64 s0, 0x200, v0
	v_or_b32_e32 v20, 0xffffff00, v0
	v_lshl_add_u32 v21, v0, 3, 0
	s_and_saveexec_b32 s1, s0
	s_cbranch_execz .LBB125_14
; %bb.12:
	s_wait_kmcnt 0x0
	v_mov_b64_e32 v[2:3], s[30:31]
	v_or_b32_e32 v1, 0xffffff00, v0
	v_lshl_add_u32 v4, v0, 3, 0
	v_mov_b32_e32 v5, 0
	s_mov_b32 s39, 0
.LBB125_13:                             ; =>This Inner Loop Header: Depth=1
	s_delay_alu instid0(VALU_DEP_3)
	v_add_co_u32 v1, s42, 0x100, v1
	s_xor_b32 s42, s42, -1
	v_add_nc_u32_e32 v6, 0x1000, v4
	ds_store_b64 v4, v[2:3]
	v_add_nc_u32_e32 v4, 0x800, v4
	s_and_b32 s42, exec_lo, s42
	s_delay_alu instid0(SALU_CYCLE_1)
	s_or_b32 s39, s42, s39
	ds_store_2addr_b32 v6, v5, v5 offset1:1
	s_and_not1_b32 exec_lo, exec_lo, s39
	s_cbranch_execnz .LBB125_13
.LBB125_14:
	s_or_b32 exec_lo, exec_lo, s1
	s_wait_dscnt 0x0
	s_barrier_signal -1
	s_barrier_wait -1
	s_load_b64 s[34:35], s[34:35], 0x0
	s_bfe_u32 s1, ttmp6, 0x4000c
	s_and_b32 s39, ttmp6, 15
	s_add_co_i32 s1, s1, 1
	s_getreg_b32 s42, hwreg(HW_REG_IB_STS2, 6, 4)
	s_mul_i32 s1, ttmp9, s1
	s_delay_alu instid0(SALU_CYCLE_1)
	s_add_co_i32 s39, s39, s1
	s_wait_kmcnt 0x0
	s_lshl_b64 s[34:35], s[34:35], 3
	s_cmp_eq_u32 s42, 0
	s_add_nc_u64 s[34:35], s[36:37], s[34:35]
	s_cselect_b32 s1, ttmp9, s39
	s_and_b32 vcc_lo, exec_lo, s38
	s_load_b64 s[34:35], s[34:35], s1 offset:0x0 scale_offset
	s_mov_b32 s37, 0
	s_cbranch_vccz .LBB125_34
; %bb.15:
	s_wait_kmcnt 0x0
	s_lshl_b64 s[38:39], s[34:35], 3
	v_dual_mov_b32 v5, 0 :: v_dual_lshrrev_b32 v4, 5, v0
	s_add_nc_u64 s[12:13], s[12:13], s[38:39]
	s_mov_b32 s36, s20
	s_load_b128 s[44:47], s[12:13], 0x0
	s_mov_b32 s1, exec_lo
	v_sub_nc_u64_e64 v[2:3], v[4:5], s[36:37]
	s_wait_kmcnt 0x0
	s_delay_alu instid0(VALU_DEP_1)
	v_add_nc_u64_e32 v[2:3], s[44:45], v[2:3]
	s_sub_nc_u64 s[12:13], s[46:47], s[36:37]
	s_delay_alu instid0(VALU_DEP_1) | instid1(SALU_CYCLE_1)
	v_cmpx_gt_i64_e64 s[12:13], v[2:3]
	s_cbranch_execz .LBB125_33
; %bb.16:
	v_and_b32_e32 v4, 31, v0
	s_mov_b32 s39, 0
	s_mov_b32 s38, s21
	;; [unrolled: 1-line block ×3, first 2 shown]
	s_delay_alu instid0(VALU_DEP_1)
	v_sub_nc_u64_e64 v[4:5], v[4:5], s[38:39]
	s_branch .LBB125_18
.LBB125_17:                             ;   in Loop: Header=BB125_18 Depth=1
	s_or_b32 exec_lo, exec_lo, s21
	v_add_nc_u64_e32 v[2:3], 8, v[2:3]
	s_delay_alu instid0(VALU_DEP_1) | instskip(SKIP_1) | instid1(SALU_CYCLE_1)
	v_cmp_le_i64_e32 vcc_lo, s[12:13], v[2:3]
	s_or_b32 s20, vcc_lo, s20
	s_and_not1_b32 exec_lo, exec_lo, s20
	s_cbranch_execz .LBB125_33
.LBB125_18:                             ; =>This Loop Header: Depth=1
                                        ;     Child Loop BB125_22 Depth 2
                                        ;       Child Loop BB125_25 Depth 3
	v_lshl_add_u64 v[6:7], v[2:3], 3, s[14:15]
	s_mov_b32 s21, exec_lo
	global_load_b64 v[6:7], v[6:7], off
	s_wait_loadcnt 0x0
	s_wait_xcnt 0x0
	v_sub_nc_u64_e64 v[6:7], v[6:7], s[36:37]
	s_delay_alu instid0(VALU_DEP_1)
	v_lshl_add_u64 v[6:7], v[6:7], 3, s[18:19]
	global_load_b128 v[8:11], v[6:7], off
	s_wait_loadcnt 0x0
	s_wait_xcnt 0x0
	v_sub_nc_u64_e64 v[6:7], v[10:11], s[38:39]
	v_add_nc_u64_e32 v[8:9], v[8:9], v[4:5]
	s_delay_alu instid0(VALU_DEP_1)
	v_cmpx_lt_i64_e64 v[8:9], v[6:7]
	s_cbranch_execz .LBB125_17
; %bb.19:                               ;   in Loop: Header=BB125_18 Depth=1
	v_lshl_add_u64 v[10:11], v[2:3], 3, s[16:17]
	s_mov_b32 s42, 0
	global_load_b64 v[10:11], v[10:11], off
	s_wait_loadcnt 0x0
	v_mul_f32_e64 v1, v11, -s3
	s_delay_alu instid0(VALU_DEP_1) | instskip(NEXT) | instid1(VALU_DEP_1)
	v_dual_mul_f32 v22, s41, v11 :: v_dual_fmac_f32 v1, s41, v10
	v_fmac_f32_e32 v22, s3, v10
	s_branch .LBB125_22
.LBB125_20:                             ;   in Loop: Header=BB125_22 Depth=2
	s_or_b32 exec_lo, exec_lo, s44
.LBB125_21:                             ;   in Loop: Header=BB125_22 Depth=2
	s_delay_alu instid0(SALU_CYCLE_1) | instskip(SKIP_4) | instid1(VALU_DEP_3)
	s_or_b32 exec_lo, exec_lo, s43
	s_wait_loadcnt 0x0
	v_dual_mul_f32 v13, v11, -v22 :: v_dual_mul_f32 v11, v1, v11
	v_lshl_add_u32 v12, v12, 3, 0
	v_add_nc_u64_e32 v[8:9], 32, v[8:9]
	v_dual_fmac_f32 v13, v1, v10 :: v_dual_fmac_f32 v11, v22, v10
	ds_add_f32 v12, v13 offset:4096
	ds_add_f32 v12, v11 offset:4100
	v_cmp_ge_i64_e32 vcc_lo, v[8:9], v[6:7]
	s_or_b32 s42, vcc_lo, s42
	s_delay_alu instid0(SALU_CYCLE_1)
	s_and_not1_b32 exec_lo, exec_lo, s42
	s_cbranch_execz .LBB125_17
.LBB125_22:                             ;   Parent Loop BB125_18 Depth=1
                                        ; =>  This Loop Header: Depth=2
                                        ;       Child Loop BB125_25 Depth 3
	s_wait_xcnt 0x0
	v_lshlrev_b64_e32 v[10:11], 3, v[8:9]
	s_mov_b32 s43, exec_lo
	s_delay_alu instid0(VALU_DEP_1)
	v_add_nc_u64_e32 v[12:13], s[24:25], v[10:11]
	v_add_nc_u64_e32 v[10:11], s[26:27], v[10:11]
	global_load_b64 v[12:13], v[12:13], off
	global_load_b64 v[10:11], v[10:11], off
	s_wait_loadcnt 0x1
	v_sub_nc_u64_e64 v[14:15], v[12:13], s[38:39]
	s_wait_xcnt 0x1
	s_delay_alu instid0(VALU_DEP_1) | instskip(NEXT) | instid1(VALU_DEP_1)
	v_mul_lo_u32 v12, 0x89, v14
	v_and_b32_e32 v12, 0x1ff, v12
	s_delay_alu instid0(VALU_DEP_1)
	v_lshl_add_u32 v23, v12, 3, 0
	ds_load_b64 v[18:19], v23
	s_wait_dscnt 0x0
	s_wait_xcnt 0x0
	v_cmpx_ne_u64_e64 v[18:19], v[14:15]
	s_cbranch_execz .LBB125_21
; %bb.23:                               ;   in Loop: Header=BB125_22 Depth=2
	s_mov_b32 s44, 0
                                        ; implicit-def: $sgpr45
                                        ; implicit-def: $sgpr46
	s_branch .LBB125_25
.LBB125_24:                             ;   in Loop: Header=BB125_25 Depth=3
	s_or_b32 exec_lo, exec_lo, s49
	s_delay_alu instid0(SALU_CYCLE_1) | instskip(NEXT) | instid1(SALU_CYCLE_1)
	s_and_b32 s47, exec_lo, s48
	s_or_b32 s44, s47, s44
	s_and_not1_b32 s45, s45, exec_lo
	s_and_b32 s47, s46, exec_lo
	s_delay_alu instid0(SALU_CYCLE_1)
	s_or_b32 s45, s45, s47
	s_and_not1_b32 exec_lo, exec_lo, s44
	s_cbranch_execz .LBB125_31
.LBB125_25:                             ;   Parent Loop BB125_18 Depth=1
                                        ;     Parent Loop BB125_22 Depth=2
                                        ; =>    This Inner Loop Header: Depth=3
	v_mov_b64_e32 v[16:17], v[12:13]
	s_mov_b32 s47, 0
	s_mov_b32 s48, exec_lo
                                        ; implicit-def: $vgpr12_vgpr13
	v_cmpx_ne_u64_e64 s[30:31], v[18:19]
	s_xor_b32 s48, exec_lo, s48
; %bb.26:                               ;   in Loop: Header=BB125_25 Depth=3
	s_delay_alu instid0(VALU_DEP_2) | instskip(SKIP_1) | instid1(VALU_DEP_1)
	v_add_nc_u32_e32 v12, 1, v16
	s_mov_b32 s47, exec_lo
                                        ; implicit-def: $vgpr23
	v_and_b32_e32 v12, 0x1ff, v12
; %bb.27:                               ;   in Loop: Header=BB125_25 Depth=3
	s_and_not1_saveexec_b32 s48, s48
	s_cbranch_execz .LBB125_29
; %bb.28:                               ;   in Loop: Header=BB125_25 Depth=3
	v_mov_b64_e32 v[12:13], s[30:31]
	s_and_not1_b32 s47, s47, exec_lo
	ds_cmpstore_rtn_b64 v[12:13], v23, v[14:15], v[12:13]
	s_wait_dscnt 0x0
	v_cmp_ne_u64_e32 vcc_lo, s[30:31], v[12:13]
	v_mov_b64_e32 v[12:13], v[16:17]
	s_and_b32 s49, vcc_lo, exec_lo
	s_delay_alu instid0(SALU_CYCLE_1)
	s_or_b32 s47, s47, s49
.LBB125_29:                             ;   in Loop: Header=BB125_25 Depth=3
	s_or_b32 exec_lo, exec_lo, s48
	s_mov_b32 s48, -1
	s_or_b32 s46, s46, exec_lo
                                        ; implicit-def: $vgpr23
                                        ; implicit-def: $vgpr18_vgpr19
	s_and_saveexec_b32 s49, s47
	s_cbranch_execz .LBB125_24
; %bb.30:                               ;   in Loop: Header=BB125_25 Depth=3
	v_lshl_add_u32 v23, v12, 3, 0
	s_and_not1_b32 s46, s46, exec_lo
	ds_load_b64 v[18:19], v23
	s_wait_dscnt 0x0
	v_cmp_eq_u64_e32 vcc_lo, v[18:19], v[14:15]
	s_or_not1_b32 s48, vcc_lo, exec_lo
	s_branch .LBB125_24
.LBB125_31:                             ;   in Loop: Header=BB125_22 Depth=2
	s_or_b32 exec_lo, exec_lo, s44
	s_and_saveexec_b32 s44, s45
	s_delay_alu instid0(SALU_CYCLE_1)
	s_xor_b32 s44, exec_lo, s44
	s_cbranch_execz .LBB125_20
; %bb.32:                               ;   in Loop: Header=BB125_22 Depth=2
	v_mov_b32_e32 v12, v16
	s_branch .LBB125_20
.LBB125_33:
	s_or_b32 exec_lo, exec_lo, s1
.LBB125_34:
	s_delay_alu instid0(SALU_CYCLE_1)
	s_and_not1_b32 vcc_lo, exec_lo, s2
	s_cbranch_vccnz .LBB125_51
; %bb.35:
	s_wait_kmcnt 0x0
	s_lshl_b64 s[2:3], s[34:35], 3
	v_mov_b32_e32 v1, 0
	s_add_nc_u64 s[2:3], s[4:5], s[2:3]
	s_mov_b32 s1, exec_lo
	s_load_b128 s[12:15], s[2:3], 0x0
	s_wait_xcnt 0x0
	s_mov_b32 s3, 0
	s_mov_b32 s2, s23
	s_delay_alu instid0(SALU_CYCLE_1) | instskip(SKIP_1) | instid1(VALU_DEP_1)
	v_sub_nc_u64_e64 v[2:3], v[0:1], s[2:3]
	s_wait_kmcnt 0x0
	v_add_nc_u64_e32 v[2:3], s[12:13], v[2:3]
	s_sub_nc_u64 s[4:5], s[14:15], s[2:3]
	s_delay_alu instid0(VALU_DEP_1) | instid1(SALU_CYCLE_1)
	v_cmpx_gt_i64_e64 s[4:5], v[2:3]
	s_cbranch_execz .LBB125_50
; %bb.36:
	s_mov_b32 s12, s3
	s_branch .LBB125_39
.LBB125_37:                             ;   in Loop: Header=BB125_39 Depth=1
	s_or_b32 exec_lo, exec_lo, s14
.LBB125_38:                             ;   in Loop: Header=BB125_39 Depth=1
	s_delay_alu instid0(SALU_CYCLE_1)
	s_or_b32 exec_lo, exec_lo, s13
	s_wait_loadcnt 0x0
	v_mul_f32_e64 v1, v5, -s40
	v_mul_f32_e32 v5, s33, v5
	v_lshl_add_u32 v6, v6, 3, 0
	v_add_nc_u64_e32 v[2:3], 0x100, v[2:3]
	s_delay_alu instid0(VALU_DEP_4) | instskip(NEXT) | instid1(VALU_DEP_4)
	v_fmac_f32_e32 v1, s33, v4
	v_fmac_f32_e32 v5, s40, v4
	ds_add_f32 v6, v1 offset:4096
	ds_add_f32 v6, v5 offset:4100
	v_cmp_le_i64_e32 vcc_lo, s[4:5], v[2:3]
	s_or_b32 s12, vcc_lo, s12
	s_delay_alu instid0(SALU_CYCLE_1)
	s_and_not1_b32 exec_lo, exec_lo, s12
	s_cbranch_execz .LBB125_50
.LBB125_39:                             ; =>This Loop Header: Depth=1
                                        ;     Child Loop BB125_42 Depth 2
	v_lshlrev_b64_e32 v[4:5], 3, v[2:3]
	s_mov_b32 s13, exec_lo
	s_delay_alu instid0(VALU_DEP_1)
	v_add_nc_u64_e32 v[6:7], s[6:7], v[4:5]
	v_add_nc_u64_e32 v[4:5], s[8:9], v[4:5]
	global_load_b64 v[6:7], v[6:7], off
	global_load_b64 v[4:5], v[4:5], off
	s_wait_loadcnt 0x1
	v_sub_nc_u64_e64 v[8:9], v[6:7], s[2:3]
	s_delay_alu instid0(VALU_DEP_1) | instskip(NEXT) | instid1(VALU_DEP_1)
	v_mul_lo_u32 v1, 0x89, v8
	v_and_b32_e32 v6, 0x1ff, v1
	s_delay_alu instid0(VALU_DEP_1)
	v_lshl_add_u32 v1, v6, 3, 0
	ds_load_b64 v[12:13], v1
	s_wait_dscnt 0x0
	s_wait_xcnt 0x0
	v_cmpx_ne_u64_e64 v[12:13], v[8:9]
	s_cbranch_execz .LBB125_38
; %bb.40:                               ;   in Loop: Header=BB125_39 Depth=1
	s_mov_b32 s14, 0
                                        ; implicit-def: $sgpr15
                                        ; implicit-def: $sgpr16
	s_branch .LBB125_42
.LBB125_41:                             ;   in Loop: Header=BB125_42 Depth=2
	s_or_b32 exec_lo, exec_lo, s19
	s_delay_alu instid0(SALU_CYCLE_1) | instskip(NEXT) | instid1(SALU_CYCLE_1)
	s_and_b32 s17, exec_lo, s18
	s_or_b32 s14, s17, s14
	s_and_not1_b32 s15, s15, exec_lo
	s_and_b32 s17, s16, exec_lo
	s_delay_alu instid0(SALU_CYCLE_1)
	s_or_b32 s15, s15, s17
	s_and_not1_b32 exec_lo, exec_lo, s14
	s_cbranch_execz .LBB125_48
.LBB125_42:                             ;   Parent Loop BB125_39 Depth=1
                                        ; =>  This Inner Loop Header: Depth=2
	v_mov_b64_e32 v[10:11], v[6:7]
	s_mov_b32 s17, 0
	s_mov_b32 s18, exec_lo
                                        ; implicit-def: $vgpr6_vgpr7
	v_cmpx_ne_u64_e64 s[30:31], v[12:13]
	s_xor_b32 s18, exec_lo, s18
; %bb.43:                               ;   in Loop: Header=BB125_42 Depth=2
	s_delay_alu instid0(VALU_DEP_2) | instskip(SKIP_1) | instid1(VALU_DEP_1)
	v_add_nc_u32_e32 v1, 1, v10
	s_mov_b32 s17, exec_lo
	v_and_b32_e32 v6, 0x1ff, v1
                                        ; implicit-def: $vgpr1
; %bb.44:                               ;   in Loop: Header=BB125_42 Depth=2
	s_and_not1_saveexec_b32 s18, s18
	s_cbranch_execz .LBB125_46
; %bb.45:                               ;   in Loop: Header=BB125_42 Depth=2
	v_mov_b64_e32 v[6:7], s[30:31]
	s_and_not1_b32 s17, s17, exec_lo
	ds_cmpstore_rtn_b64 v[6:7], v1, v[8:9], v[6:7]
	s_wait_dscnt 0x0
	v_cmp_ne_u64_e32 vcc_lo, s[30:31], v[6:7]
	v_mov_b64_e32 v[6:7], v[10:11]
	s_and_b32 s19, vcc_lo, exec_lo
	s_delay_alu instid0(SALU_CYCLE_1)
	s_or_b32 s17, s17, s19
.LBB125_46:                             ;   in Loop: Header=BB125_42 Depth=2
	s_or_b32 exec_lo, exec_lo, s18
	s_mov_b32 s18, -1
	s_or_b32 s16, s16, exec_lo
                                        ; implicit-def: $vgpr1
                                        ; implicit-def: $vgpr12_vgpr13
	s_and_saveexec_b32 s19, s17
	s_cbranch_execz .LBB125_41
; %bb.47:                               ;   in Loop: Header=BB125_42 Depth=2
	v_lshl_add_u32 v1, v6, 3, 0
	s_and_not1_b32 s16, s16, exec_lo
	ds_load_b64 v[12:13], v1
	s_wait_dscnt 0x0
	v_cmp_eq_u64_e32 vcc_lo, v[12:13], v[8:9]
	s_or_not1_b32 s18, vcc_lo, exec_lo
	s_branch .LBB125_41
.LBB125_48:                             ;   in Loop: Header=BB125_39 Depth=1
	s_or_b32 exec_lo, exec_lo, s14
	s_and_saveexec_b32 s14, s15
	s_delay_alu instid0(SALU_CYCLE_1)
	s_xor_b32 s14, exec_lo, s14
	s_cbranch_execz .LBB125_37
; %bb.49:                               ;   in Loop: Header=BB125_39 Depth=1
	v_mov_b32_e32 v6, v10
	s_branch .LBB125_37
.LBB125_50:
	s_or_b32 exec_lo, exec_lo, s1
.LBB125_51:
	s_wait_dscnt 0x0
	s_barrier_signal -1
	s_barrier_wait -1
	s_and_saveexec_b32 s4, s0
	s_cbranch_execz .LBB125_64
; %bb.52:
	v_mbcnt_lo_u32_b32 v1, -1, 0
	v_dual_mov_b32 v3, 0 :: v_dual_lshrrev_b32 v2, 3, v0
	v_mov_b64_e32 v[4:5], 0
	v_cmp_lt_u32_e64 s0, 63, v0
	s_delay_alu instid0(VALU_DEP_4) | instskip(NEXT) | instid1(VALU_DEP_4)
	v_xor_b32_e32 v1, 31, v1
	v_and_b32_e32 v2, 24, v2
	s_wait_xcnt 0x0
	v_cmp_lt_u32_e64 s1, 0x7f, v0
	v_cmp_lt_u32_e64 s2, 0xbf, v0
	s_mov_b32 s5, 0
	v_lshrrev_b32_e64 v6, v1, -1
	v_add_nc_u32_e32 v1, 0, v2
	v_cmp_eq_u32_e32 vcc_lo, 0xff, v0
	s_branch .LBB125_54
.LBB125_53:                             ;   in Loop: Header=BB125_54 Depth=1
	s_or_b32 exec_lo, exec_lo, s3
	s_wait_dscnt 0x0
	s_barrier_signal -1
	s_barrier_wait -1
	ds_load_b64 v[8:9], v3 offset:8216
	v_add_co_u32 v20, s3, 0x100, v20
	s_xor_b32 s3, s3, -1
	v_add_nc_u32_e32 v21, 0x800, v21
	s_and_b32 s3, exec_lo, s3
	s_delay_alu instid0(SALU_CYCLE_1)
	s_or_b32 s5, s3, s5
	s_wait_dscnt 0x0
	v_add_nc_u64_e32 v[4:5], v[8:9], v[4:5]
	s_and_not1_b32 exec_lo, exec_lo, s5
	s_cbranch_execz .LBB125_64
.LBB125_54:                             ; =>This Inner Loop Header: Depth=1
	ds_load_b64 v[8:9], v21
	v_add_nc_u32_e32 v2, 0x1000, v21
	ds_load_2addr_b32 v[10:11], v2 offset1:1
	s_wait_dscnt 0x0
	s_barrier_signal -1
	s_barrier_wait -1
	v_cmp_gt_i64_e64 s3, s[30:31], v[8:9]
	s_bcnt1_i32_b32 s6, s3
	s_delay_alu instid0(SALU_CYCLE_1) | instskip(NEXT) | instid1(VALU_DEP_1)
	v_dual_mov_b32 v2, s6 :: v_dual_bitop2_b32 v7, s3, v6 bitop3:0x40
	v_bcnt_u32_b32 v12, v7, 0
	ds_store_b64 v1, v[2:3] offset:8192
	s_wait_dscnt 0x0
	s_barrier_signal -1
	s_barrier_wait -1
	s_and_saveexec_b32 s6, s0
	s_cbranch_execnz .LBB125_59
; %bb.55:                               ;   in Loop: Header=BB125_54 Depth=1
	s_or_b32 exec_lo, exec_lo, s6
	s_and_saveexec_b32 s6, s1
	s_cbranch_execnz .LBB125_60
.LBB125_56:                             ;   in Loop: Header=BB125_54 Depth=1
	s_or_b32 exec_lo, exec_lo, s6
	s_and_saveexec_b32 s6, s2
	s_cbranch_execnz .LBB125_61
.LBB125_57:                             ;   in Loop: Header=BB125_54 Depth=1
	s_or_b32 exec_lo, exec_lo, s6
	v_ashrrev_i32_e32 v13, 31, v12
	s_and_saveexec_b32 s6, s3
	s_cbranch_execnz .LBB125_62
.LBB125_58:                             ;   in Loop: Header=BB125_54 Depth=1
	s_or_b32 exec_lo, exec_lo, s6
	s_and_saveexec_b32 s3, vcc_lo
	s_cbranch_execz .LBB125_53
	s_branch .LBB125_63
.LBB125_59:                             ;   in Loop: Header=BB125_54 Depth=1
	ds_load_b32 v2, v3 offset:8192
	s_wait_dscnt 0x0
	v_add_nc_u32_e32 v12, v2, v12
	s_or_b32 exec_lo, exec_lo, s6
	s_and_saveexec_b32 s6, s1
	s_cbranch_execz .LBB125_56
.LBB125_60:                             ;   in Loop: Header=BB125_54 Depth=1
	ds_load_b32 v2, v3 offset:8200
	s_wait_dscnt 0x0
	v_add_nc_u32_e32 v12, v12, v2
	s_or_b32 exec_lo, exec_lo, s6
	s_and_saveexec_b32 s6, s2
	s_cbranch_execz .LBB125_57
.LBB125_61:                             ;   in Loop: Header=BB125_54 Depth=1
	ds_load_b32 v2, v3 offset:8208
	s_wait_dscnt 0x0
	v_add_nc_u32_e32 v12, v12, v2
	s_or_b32 exec_lo, exec_lo, s6
	s_delay_alu instid0(VALU_DEP_1)
	v_ashrrev_i32_e32 v13, 31, v12
	s_and_saveexec_b32 s6, s3
	s_cbranch_execz .LBB125_58
.LBB125_62:                             ;   in Loop: Header=BB125_54 Depth=1
	v_add3_u32 v2, v4, -1, v12
	v_add_lshl_u32 v7, v4, v12, 3
	s_delay_alu instid0(VALU_DEP_2) | instskip(NEXT) | instid1(VALU_DEP_2)
	v_lshl_add_u32 v2, v2, 3, 0
	v_add3_u32 v7, 0, v7, 0xff8
	ds_store_b64 v2, v[8:9]
	ds_store_2addr_b32 v7, v10, v11 offset1:1
	s_or_b32 exec_lo, exec_lo, s6
	s_and_saveexec_b32 s3, vcc_lo
	s_cbranch_execz .LBB125_53
.LBB125_63:                             ;   in Loop: Header=BB125_54 Depth=1
	ds_store_b64 v3, v[12:13] offset:8216
	s_branch .LBB125_53
.LBB125_64:
	s_or_b32 exec_lo, exec_lo, s4
	s_wait_kmcnt 0x0
	s_lshl_b64 s[0:1], s[34:35], 3
	v_mov_b32_e32 v1, 0
	s_add_nc_u64 s[4:5], s[10:11], s[0:1]
	s_mov_b32 s6, exec_lo
	s_load_b128 s[0:3], s[4:5], 0x0
	s_wait_kmcnt 0x0
	s_sub_nc_u64 s[4:5], s[2:3], s[0:1]
	s_delay_alu instid0(SALU_CYCLE_1)
	v_cmpx_gt_i64_e64 s[4:5], v[0:1]
	s_cbranch_execz .LBB125_74
; %bb.65:
	s_sub_nc_u64 s[8:9], s[0:1], s[2:3]
	s_and_b64 s[6:7], s[4:5], 7
	v_cmp_lt_u64_e64 s10, s[8:9], -7
	s_and_b64 s[2:3], s[4:5], -8
	s_mov_b32 s23, 0
	s_cmp_lg_u64 s[6:7], 0
	s_sub_nc_u64 s[0:1], s[0:1], s[22:23]
	s_cselect_b32 s11, -1, 0
	s_mov_b32 s12, 0
	s_branch .LBB125_67
.LBB125_66:                             ;   in Loop: Header=BB125_67 Depth=1
	v_add_nc_u64_e32 v[0:1], 0x100, v[0:1]
	s_wait_dscnt 0x1
	s_delay_alu instid0(VALU_DEP_2)
	v_lshl_add_u64 v[4:5], v[6:7], 3, s[28:29]
	s_wait_dscnt 0x0
	global_store_b64 v[4:5], v[2:3], off
	v_cmp_le_i64_e32 vcc_lo, s[4:5], v[0:1]
	s_or_b32 s12, vcc_lo, s12
	s_wait_xcnt 0x0
	s_and_not1_b32 exec_lo, exec_lo, s12
	s_cbranch_execz .LBB125_74
.LBB125_67:                             ; =>This Loop Header: Depth=1
                                        ;     Child Loop BB125_69 Depth 2
                                        ;     Child Loop BB125_73 Depth 2
	v_lshl_add_u32 v2, v0, 3, 0
	v_mov_b64_e32 v[6:7], s[0:1]
	s_and_not1_b32 vcc_lo, exec_lo, s10
	s_mov_b64 s[8:9], 0
	s_delay_alu instid0(VALU_DEP_2)
	v_add_nc_u32_e32 v3, 0x1000, v2
	ds_load_b64 v[4:5], v2
	ds_load_2addr_b32 v[2:3], v3 offset1:1
	s_cbranch_vccnz .LBB125_71
; %bb.68:                               ;   in Loop: Header=BB125_67 Depth=1
	v_mov_b64_e32 v[6:7], s[0:1]
	s_mov_b32 s13, 0
.LBB125_69:                             ;   Parent Loop BB125_67 Depth=1
                                        ; =>  This Inner Loop Header: Depth=2
	s_delay_alu instid0(SALU_CYCLE_1)
	v_dual_mov_b32 v20, s13 :: v_dual_mov_b32 v17, s23
	v_mov_b32_e32 v19, s23
	s_add_nc_u64 s[8:9], s[8:9], 8
	s_add_co_i32 s13, s13, 64
	ds_load_2addr_b64 v[8:11], v20 offset1:1
	ds_load_2addr_b64 v[12:15], v20 offset0:2 offset1:3
	s_cmp_eq_u64 s[2:3], s[8:9]
	s_wait_dscnt 0x1
	v_cmp_gt_i64_e32 vcc_lo, v[4:5], v[8:9]
	v_cndmask_b32_e64 v16, 0, 1, vcc_lo
	v_cmp_gt_i64_e32 vcc_lo, v[4:5], v[10:11]
	s_delay_alu instid0(VALU_DEP_2) | instskip(SKIP_4) | instid1(VALU_DEP_2)
	v_add_nc_u64_e32 v[10:11], v[6:7], v[16:17]
	ds_load_2addr_b64 v[6:9], v20 offset0:4 offset1:5
	v_cndmask_b32_e64 v18, 0, 1, vcc_lo
	s_wait_dscnt 0x1
	v_cmp_gt_i64_e32 vcc_lo, v[4:5], v[12:13]
	v_add_nc_u64_e32 v[10:11], v[10:11], v[18:19]
	v_cndmask_b32_e64 v16, 0, 1, vcc_lo
	v_cmp_gt_i64_e32 vcc_lo, v[4:5], v[14:15]
	s_delay_alu instid0(VALU_DEP_2)
	v_add_nc_u64_e32 v[14:15], v[10:11], v[16:17]
	ds_load_2addr_b64 v[10:13], v20 offset0:6 offset1:7
	v_cndmask_b32_e64 v18, 0, 1, vcc_lo
	s_wait_dscnt 0x1
	v_cmp_gt_i64_e32 vcc_lo, v[4:5], v[6:7]
	v_mov_b32_e32 v7, s23
	s_delay_alu instid0(VALU_DEP_3) | instskip(SKIP_3) | instid1(VALU_DEP_3)
	v_add_nc_u64_e32 v[14:15], v[14:15], v[18:19]
	v_cndmask_b32_e64 v16, 0, 1, vcc_lo
	v_cmp_gt_i64_e32 vcc_lo, v[4:5], v[8:9]
	v_mov_b32_e32 v9, s23
	v_add_nc_u64_e32 v[14:15], v[14:15], v[16:17]
	v_cndmask_b32_e64 v6, 0, 1, vcc_lo
	s_wait_dscnt 0x0
	v_cmp_gt_i64_e32 vcc_lo, v[4:5], v[10:11]
	v_mov_b32_e32 v11, s23
	s_delay_alu instid0(VALU_DEP_3) | instskip(SKIP_2) | instid1(VALU_DEP_2)
	v_add_nc_u64_e32 v[6:7], v[14:15], v[6:7]
	v_cndmask_b32_e64 v8, 0, 1, vcc_lo
	v_cmp_gt_i64_e32 vcc_lo, v[4:5], v[12:13]
	v_add_nc_u64_e32 v[6:7], v[6:7], v[8:9]
	v_cndmask_b32_e64 v10, 0, 1, vcc_lo
	s_delay_alu instid0(VALU_DEP_1)
	v_add_nc_u64_e32 v[6:7], v[6:7], v[10:11]
	s_cbranch_scc0 .LBB125_69
; %bb.70:                               ;   in Loop: Header=BB125_67 Depth=1
	s_mov_b64 s[8:9], s[2:3]
.LBB125_71:                             ;   in Loop: Header=BB125_67 Depth=1
	s_and_not1_b32 vcc_lo, exec_lo, s11
	s_cbranch_vccnz .LBB125_66
; %bb.72:                               ;   in Loop: Header=BB125_67 Depth=1
	s_lshl_b32 s8, s8, 3
	s_delay_alu instid0(SALU_CYCLE_1)
	s_add_co_i32 s13, s8, 0
	s_mov_b64 s[8:9], s[6:7]
.LBB125_73:                             ;   Parent Loop BB125_67 Depth=1
                                        ; =>  This Inner Loop Header: Depth=2
	v_dual_mov_b32 v8, s13 :: v_dual_mov_b32 v11, s23
	s_add_nc_u64 s[8:9], s[8:9], -1
	s_add_co_i32 s13, s13, 8
	s_cmp_lg_u64 s[8:9], 0
	ds_load_b64 v[8:9], v8
	s_wait_dscnt 0x0
	v_cmp_gt_i64_e32 vcc_lo, v[4:5], v[8:9]
	v_cndmask_b32_e64 v10, 0, 1, vcc_lo
	s_delay_alu instid0(VALU_DEP_1)
	v_add_nc_u64_e32 v[6:7], v[6:7], v[10:11]
	s_cbranch_scc1 .LBB125_73
	s_branch .LBB125_66
.LBB125_74:
	s_endpgm
	.section	.rodata,"a",@progbits
	.p2align	6, 0x0
	.amdhsa_kernel _ZN9rocsparseL41csrgemm_numeric_fill_block_per_row_kernelILj256ELj32ELj512ELj137ELj64Ell21rocsparse_complex_numIfEEEvT5_PKS3_S5_NS_24const_host_device_scalarIT6_EEPKT4_S5_PKS7_SB_S5_SD_S8_SB_S5_SD_SB_S5_PS7_21rocsparse_index_base_SF_SF_SF_bbb
		.amdhsa_group_segment_fixed_size 0
		.amdhsa_private_segment_fixed_size 0
		.amdhsa_kernarg_size 156
		.amdhsa_user_sgpr_count 2
		.amdhsa_user_sgpr_dispatch_ptr 0
		.amdhsa_user_sgpr_queue_ptr 0
		.amdhsa_user_sgpr_kernarg_segment_ptr 1
		.amdhsa_user_sgpr_dispatch_id 0
		.amdhsa_user_sgpr_kernarg_preload_length 0
		.amdhsa_user_sgpr_kernarg_preload_offset 0
		.amdhsa_user_sgpr_private_segment_size 0
		.amdhsa_wavefront_size32 1
		.amdhsa_uses_dynamic_stack 0
		.amdhsa_enable_private_segment 0
		.amdhsa_system_sgpr_workgroup_id_x 1
		.amdhsa_system_sgpr_workgroup_id_y 0
		.amdhsa_system_sgpr_workgroup_id_z 0
		.amdhsa_system_sgpr_workgroup_info 0
		.amdhsa_system_vgpr_workitem_id 0
		.amdhsa_next_free_vgpr 24
		.amdhsa_next_free_sgpr 50
		.amdhsa_named_barrier_count 0
		.amdhsa_reserve_vcc 1
		.amdhsa_float_round_mode_32 0
		.amdhsa_float_round_mode_16_64 0
		.amdhsa_float_denorm_mode_32 3
		.amdhsa_float_denorm_mode_16_64 3
		.amdhsa_fp16_overflow 0
		.amdhsa_memory_ordered 1
		.amdhsa_forward_progress 1
		.amdhsa_inst_pref_size 23
		.amdhsa_round_robin_scheduling 0
		.amdhsa_exception_fp_ieee_invalid_op 0
		.amdhsa_exception_fp_denorm_src 0
		.amdhsa_exception_fp_ieee_div_zero 0
		.amdhsa_exception_fp_ieee_overflow 0
		.amdhsa_exception_fp_ieee_underflow 0
		.amdhsa_exception_fp_ieee_inexact 0
		.amdhsa_exception_int_div_zero 0
	.end_amdhsa_kernel
	.section	.text._ZN9rocsparseL41csrgemm_numeric_fill_block_per_row_kernelILj256ELj32ELj512ELj137ELj64Ell21rocsparse_complex_numIfEEEvT5_PKS3_S5_NS_24const_host_device_scalarIT6_EEPKT4_S5_PKS7_SB_S5_SD_S8_SB_S5_SD_SB_S5_PS7_21rocsparse_index_base_SF_SF_SF_bbb,"axG",@progbits,_ZN9rocsparseL41csrgemm_numeric_fill_block_per_row_kernelILj256ELj32ELj512ELj137ELj64Ell21rocsparse_complex_numIfEEEvT5_PKS3_S5_NS_24const_host_device_scalarIT6_EEPKT4_S5_PKS7_SB_S5_SD_S8_SB_S5_SD_SB_S5_PS7_21rocsparse_index_base_SF_SF_SF_bbb,comdat
.Lfunc_end125:
	.size	_ZN9rocsparseL41csrgemm_numeric_fill_block_per_row_kernelILj256ELj32ELj512ELj137ELj64Ell21rocsparse_complex_numIfEEEvT5_PKS3_S5_NS_24const_host_device_scalarIT6_EEPKT4_S5_PKS7_SB_S5_SD_S8_SB_S5_SD_SB_S5_PS7_21rocsparse_index_base_SF_SF_SF_bbb, .Lfunc_end125-_ZN9rocsparseL41csrgemm_numeric_fill_block_per_row_kernelILj256ELj32ELj512ELj137ELj64Ell21rocsparse_complex_numIfEEEvT5_PKS3_S5_NS_24const_host_device_scalarIT6_EEPKT4_S5_PKS7_SB_S5_SD_S8_SB_S5_SD_SB_S5_PS7_21rocsparse_index_base_SF_SF_SF_bbb
                                        ; -- End function
	.set _ZN9rocsparseL41csrgemm_numeric_fill_block_per_row_kernelILj256ELj32ELj512ELj137ELj64Ell21rocsparse_complex_numIfEEEvT5_PKS3_S5_NS_24const_host_device_scalarIT6_EEPKT4_S5_PKS7_SB_S5_SD_S8_SB_S5_SD_SB_S5_PS7_21rocsparse_index_base_SF_SF_SF_bbb.num_vgpr, 24
	.set _ZN9rocsparseL41csrgemm_numeric_fill_block_per_row_kernelILj256ELj32ELj512ELj137ELj64Ell21rocsparse_complex_numIfEEEvT5_PKS3_S5_NS_24const_host_device_scalarIT6_EEPKT4_S5_PKS7_SB_S5_SD_S8_SB_S5_SD_SB_S5_PS7_21rocsparse_index_base_SF_SF_SF_bbb.num_agpr, 0
	.set _ZN9rocsparseL41csrgemm_numeric_fill_block_per_row_kernelILj256ELj32ELj512ELj137ELj64Ell21rocsparse_complex_numIfEEEvT5_PKS3_S5_NS_24const_host_device_scalarIT6_EEPKT4_S5_PKS7_SB_S5_SD_S8_SB_S5_SD_SB_S5_PS7_21rocsparse_index_base_SF_SF_SF_bbb.numbered_sgpr, 50
	.set _ZN9rocsparseL41csrgemm_numeric_fill_block_per_row_kernelILj256ELj32ELj512ELj137ELj64Ell21rocsparse_complex_numIfEEEvT5_PKS3_S5_NS_24const_host_device_scalarIT6_EEPKT4_S5_PKS7_SB_S5_SD_S8_SB_S5_SD_SB_S5_PS7_21rocsparse_index_base_SF_SF_SF_bbb.num_named_barrier, 0
	.set _ZN9rocsparseL41csrgemm_numeric_fill_block_per_row_kernelILj256ELj32ELj512ELj137ELj64Ell21rocsparse_complex_numIfEEEvT5_PKS3_S5_NS_24const_host_device_scalarIT6_EEPKT4_S5_PKS7_SB_S5_SD_S8_SB_S5_SD_SB_S5_PS7_21rocsparse_index_base_SF_SF_SF_bbb.private_seg_size, 0
	.set _ZN9rocsparseL41csrgemm_numeric_fill_block_per_row_kernelILj256ELj32ELj512ELj137ELj64Ell21rocsparse_complex_numIfEEEvT5_PKS3_S5_NS_24const_host_device_scalarIT6_EEPKT4_S5_PKS7_SB_S5_SD_S8_SB_S5_SD_SB_S5_PS7_21rocsparse_index_base_SF_SF_SF_bbb.uses_vcc, 1
	.set _ZN9rocsparseL41csrgemm_numeric_fill_block_per_row_kernelILj256ELj32ELj512ELj137ELj64Ell21rocsparse_complex_numIfEEEvT5_PKS3_S5_NS_24const_host_device_scalarIT6_EEPKT4_S5_PKS7_SB_S5_SD_S8_SB_S5_SD_SB_S5_PS7_21rocsparse_index_base_SF_SF_SF_bbb.uses_flat_scratch, 0
	.set _ZN9rocsparseL41csrgemm_numeric_fill_block_per_row_kernelILj256ELj32ELj512ELj137ELj64Ell21rocsparse_complex_numIfEEEvT5_PKS3_S5_NS_24const_host_device_scalarIT6_EEPKT4_S5_PKS7_SB_S5_SD_S8_SB_S5_SD_SB_S5_PS7_21rocsparse_index_base_SF_SF_SF_bbb.has_dyn_sized_stack, 0
	.set _ZN9rocsparseL41csrgemm_numeric_fill_block_per_row_kernelILj256ELj32ELj512ELj137ELj64Ell21rocsparse_complex_numIfEEEvT5_PKS3_S5_NS_24const_host_device_scalarIT6_EEPKT4_S5_PKS7_SB_S5_SD_S8_SB_S5_SD_SB_S5_PS7_21rocsparse_index_base_SF_SF_SF_bbb.has_recursion, 0
	.set _ZN9rocsparseL41csrgemm_numeric_fill_block_per_row_kernelILj256ELj32ELj512ELj137ELj64Ell21rocsparse_complex_numIfEEEvT5_PKS3_S5_NS_24const_host_device_scalarIT6_EEPKT4_S5_PKS7_SB_S5_SD_S8_SB_S5_SD_SB_S5_PS7_21rocsparse_index_base_SF_SF_SF_bbb.has_indirect_call, 0
	.section	.AMDGPU.csdata,"",@progbits
; Kernel info:
; codeLenInByte = 2868
; TotalNumSgprs: 52
; NumVgprs: 24
; ScratchSize: 0
; MemoryBound: 0
; FloatMode: 240
; IeeeMode: 1
; LDSByteSize: 0 bytes/workgroup (compile time only)
; SGPRBlocks: 0
; VGPRBlocks: 1
; NumSGPRsForWavesPerEU: 52
; NumVGPRsForWavesPerEU: 24
; NamedBarCnt: 0
; Occupancy: 16
; WaveLimiterHint : 1
; COMPUTE_PGM_RSRC2:SCRATCH_EN: 0
; COMPUTE_PGM_RSRC2:USER_SGPR: 2
; COMPUTE_PGM_RSRC2:TRAP_HANDLER: 0
; COMPUTE_PGM_RSRC2:TGID_X_EN: 1
; COMPUTE_PGM_RSRC2:TGID_Y_EN: 0
; COMPUTE_PGM_RSRC2:TGID_Z_EN: 0
; COMPUTE_PGM_RSRC2:TIDIG_COMP_CNT: 0
	.section	.text._ZN9rocsparseL41csrgemm_numeric_fill_block_per_row_kernelILj512ELj32ELj1024ELj137ELj32Ell21rocsparse_complex_numIfEEEvT5_PKS3_S5_NS_24const_host_device_scalarIT6_EEPKT4_S5_PKS7_SB_S5_SD_S8_SB_S5_SD_SB_S5_PS7_21rocsparse_index_base_SF_SF_SF_bbb,"axG",@progbits,_ZN9rocsparseL41csrgemm_numeric_fill_block_per_row_kernelILj512ELj32ELj1024ELj137ELj32Ell21rocsparse_complex_numIfEEEvT5_PKS3_S5_NS_24const_host_device_scalarIT6_EEPKT4_S5_PKS7_SB_S5_SD_S8_SB_S5_SD_SB_S5_PS7_21rocsparse_index_base_SF_SF_SF_bbb,comdat
	.globl	_ZN9rocsparseL41csrgemm_numeric_fill_block_per_row_kernelILj512ELj32ELj1024ELj137ELj32Ell21rocsparse_complex_numIfEEEvT5_PKS3_S5_NS_24const_host_device_scalarIT6_EEPKT4_S5_PKS7_SB_S5_SD_S8_SB_S5_SD_SB_S5_PS7_21rocsparse_index_base_SF_SF_SF_bbb ; -- Begin function _ZN9rocsparseL41csrgemm_numeric_fill_block_per_row_kernelILj512ELj32ELj1024ELj137ELj32Ell21rocsparse_complex_numIfEEEvT5_PKS3_S5_NS_24const_host_device_scalarIT6_EEPKT4_S5_PKS7_SB_S5_SD_S8_SB_S5_SD_SB_S5_PS7_21rocsparse_index_base_SF_SF_SF_bbb
	.p2align	8
	.type	_ZN9rocsparseL41csrgemm_numeric_fill_block_per_row_kernelILj512ELj32ELj1024ELj137ELj32Ell21rocsparse_complex_numIfEEEvT5_PKS3_S5_NS_24const_host_device_scalarIT6_EEPKT4_S5_PKS7_SB_S5_SD_S8_SB_S5_SD_SB_S5_PS7_21rocsparse_index_base_SF_SF_SF_bbb,@function
_ZN9rocsparseL41csrgemm_numeric_fill_block_per_row_kernelILj512ELj32ELj1024ELj137ELj32Ell21rocsparse_complex_numIfEEEvT5_PKS3_S5_NS_24const_host_device_scalarIT6_EEPKT4_S5_PKS7_SB_S5_SD_S8_SB_S5_SD_SB_S5_PS7_21rocsparse_index_base_SF_SF_SF_bbb: ; @_ZN9rocsparseL41csrgemm_numeric_fill_block_per_row_kernelILj512ELj32ELj1024ELj137ELj32Ell21rocsparse_complex_numIfEEEvT5_PKS3_S5_NS_24const_host_device_scalarIT6_EEPKT4_S5_PKS7_SB_S5_SD_S8_SB_S5_SD_SB_S5_PS7_21rocsparse_index_base_SF_SF_SF_bbb
; %bb.0:
	s_clause 0x3
	s_load_b32 s33, s[0:1], 0x98
	s_load_b128 s[20:23], s[0:1], 0x88
	s_load_b64 s[34:35], s[0:1], 0x8
	s_load_b64 s[30:31], s[0:1], 0x50
	s_mov_b32 s3, 0
	s_mov_b32 s39, 0
	s_wait_kmcnt 0x0
	s_bitcmp1_b32 s33, 0
	s_cselect_b32 s40, -1, 0
	s_bitcmp1_b32 s33, 16
	s_cselect_b32 s2, -1, 0
	s_delay_alu instid0(SALU_CYCLE_1) | instskip(SKIP_2) | instid1(VALU_DEP_1)
	s_xor_b32 s4, s2, -1
	s_bitcmp0_b32 s33, 0
	v_cndmask_b32_e64 v1, 0, 1, s4
	v_cmp_ne_u32_e32 vcc_lo, 1, v1
	s_cbranch_scc1 .LBB126_5
; %bb.1:
	s_load_b64 s[2:3], s[0:1], 0x18
	s_and_b32 vcc_lo, exec_lo, vcc_lo
	s_wait_kmcnt 0x0
	s_mov_b32 s39, s2
	s_cbranch_vccnz .LBB126_3
; %bb.2:
	s_load_b32 s39, s[2:3], 0x0
.LBB126_3:
	s_and_not1_b32 vcc_lo, exec_lo, s4
	s_cbranch_vccnz .LBB126_5
; %bb.4:
	s_wait_xcnt 0x0
	s_load_b32 s3, s[2:3], 0x4
.LBB126_5:
	s_clause 0x4
	s_load_b64 s[28:29], s[0:1], 0x80
	s_load_b256 s[12:19], s[0:1], 0x58
	s_load_b128 s[24:27], s[0:1], 0x40
	s_load_b64 s[36:37], s[0:1], 0x10
	s_load_b256 s[4:11], s[0:1], 0x20
	s_bitcmp1_b32 s33, 8
	s_wait_xcnt 0x0
	s_cselect_b32 s2, -1, 0
	s_bfe_u32 s38, s33, 0x10008
	s_mov_b32 s33, 0
	s_cmp_eq_u32 s38, 0
	s_mov_b32 s38, 0
	s_cbranch_scc1 .LBB126_11
; %bb.6:
	v_cmp_ne_u32_e32 vcc_lo, 1, v1
	s_mov_b32 s33, s30
	s_cbranch_vccnz .LBB126_8
; %bb.7:
	s_load_b32 s33, s[30:31], 0x0
.LBB126_8:
	v_cmp_ne_u32_e32 vcc_lo, 1, v1
	s_cbranch_vccnz .LBB126_10
; %bb.9:
	s_wait_xcnt 0x0
	s_load_b32 s31, s[30:31], 0x4
.LBB126_10:
	s_wait_kmcnt 0x0
	s_mov_b32 s38, s31
.LBB126_11:
	s_load_b64 s[30:31], s[0:1], 0x0
	v_lshl_add_u32 v22, v0, 3, 0
	v_or_b32_e32 v23, 0xfffffe00, v0
	v_mov_b32_e32 v1, 0
	s_wait_xcnt 0x0
	s_mov_b32 s0, 0
	s_delay_alu instid0(VALU_DEP_2)
	v_dual_mov_b32 v4, v22 :: v_dual_mov_b32 v5, v23
	s_wait_kmcnt 0x0
	v_mov_b64_e32 v[2:3], s[30:31]
.LBB126_12:                             ; =>This Inner Loop Header: Depth=1
	s_delay_alu instid0(VALU_DEP_2)
	v_add_co_u32 v5, s1, 0x200, v5
	s_xor_b32 s1, s1, -1
	v_add_nc_u32_e32 v6, 0x2000, v4
	ds_store_b64 v4, v[2:3]
	v_add_nc_u32_e32 v4, 0x1000, v4
	s_and_b32 s1, exec_lo, s1
	s_delay_alu instid0(SALU_CYCLE_1)
	s_or_b32 s0, s1, s0
	ds_store_2addr_b32 v6, v1, v1 offset1:1
	s_and_not1_b32 exec_lo, exec_lo, s0
	s_cbranch_execnz .LBB126_12
; %bb.13:
	s_or_b32 exec_lo, exec_lo, s0
	s_wait_dscnt 0x0
	s_barrier_signal -1
	s_barrier_wait -1
	s_load_b64 s[0:1], s[34:35], 0x0
	s_wait_xcnt 0x0
	s_bfe_u32 s34, ttmp6, 0x4000c
	s_and_b32 s35, ttmp6, 15
	s_add_co_i32 s34, s34, 1
	s_getreg_b32 s41, hwreg(HW_REG_IB_STS2, 6, 4)
	s_mul_i32 s34, ttmp9, s34
	v_lshrrev_b32_e32 v2, 5, v0
	s_add_co_i32 s35, s35, s34
	s_wait_kmcnt 0x0
	s_lshl_b64 s[0:1], s[0:1], 3
	s_cmp_eq_u32 s41, 0
	s_add_nc_u64 s[0:1], s[36:37], s[0:1]
	s_cselect_b32 s34, ttmp9, s35
	s_and_b32 vcc_lo, exec_lo, s40
	s_load_b64 s[34:35], s[0:1], s34 offset:0x0 scale_offset
	s_wait_xcnt 0x0
	s_mov_b32 s1, 0
	s_cbranch_vccz .LBB126_33
; %bb.14:
	s_wait_kmcnt 0x0
	s_lshl_b64 s[36:37], s[34:35], 3
	v_mov_b32_e32 v3, 0
	s_add_nc_u64 s[4:5], s[4:5], s[36:37]
	s_mov_b32 s0, s20
	s_load_b128 s[40:43], s[4:5], 0x0
	s_mov_b32 s20, exec_lo
	v_sub_nc_u64_e64 v[4:5], v[2:3], s[0:1]
	s_wait_kmcnt 0x0
	s_delay_alu instid0(VALU_DEP_1)
	v_add_nc_u64_e32 v[4:5], s[40:41], v[4:5]
	s_sub_nc_u64 s[4:5], s[42:43], s[0:1]
	s_delay_alu instid0(VALU_DEP_1) | instid1(SALU_CYCLE_1)
	v_cmpx_gt_i64_e64 s[4:5], v[4:5]
	s_cbranch_execz .LBB126_32
; %bb.15:
	v_dual_mov_b32 v7, v3 :: v_dual_bitop2_b32 v6, 31, v0 bitop3:0x40
	s_mov_b32 s37, 0
	s_mov_b32 s36, s21
	;; [unrolled: 1-line block ×3, first 2 shown]
	s_delay_alu instid0(VALU_DEP_1)
	v_sub_nc_u64_e64 v[6:7], v[6:7], s[36:37]
	s_branch .LBB126_17
.LBB126_16:                             ;   in Loop: Header=BB126_17 Depth=1
	s_or_b32 exec_lo, exec_lo, s40
	v_add_nc_u64_e32 v[4:5], 16, v[4:5]
	s_delay_alu instid0(VALU_DEP_1) | instskip(SKIP_1) | instid1(SALU_CYCLE_1)
	v_cmp_le_i64_e32 vcc_lo, s[4:5], v[4:5]
	s_or_b32 s21, vcc_lo, s21
	s_and_not1_b32 exec_lo, exec_lo, s21
	s_cbranch_execz .LBB126_32
.LBB126_17:                             ; =>This Loop Header: Depth=1
                                        ;     Child Loop BB126_21 Depth 2
                                        ;       Child Loop BB126_24 Depth 3
	v_lshl_add_u64 v[8:9], v[4:5], 3, s[6:7]
	s_mov_b32 s40, exec_lo
	global_load_b64 v[8:9], v[8:9], off
	s_wait_loadcnt 0x0
	s_wait_xcnt 0x0
	v_sub_nc_u64_e64 v[8:9], v[8:9], s[0:1]
	s_delay_alu instid0(VALU_DEP_1)
	v_lshl_add_u64 v[8:9], v[8:9], 3, s[10:11]
	global_load_b128 v[10:13], v[8:9], off
	s_wait_loadcnt 0x0
	s_wait_xcnt 0x0
	v_sub_nc_u64_e64 v[8:9], v[12:13], s[36:37]
	v_add_nc_u64_e32 v[10:11], v[10:11], v[6:7]
	s_delay_alu instid0(VALU_DEP_1)
	v_cmpx_lt_i64_e64 v[10:11], v[8:9]
	s_cbranch_execz .LBB126_16
; %bb.18:                               ;   in Loop: Header=BB126_17 Depth=1
	v_lshl_add_u64 v[12:13], v[4:5], 3, s[8:9]
	s_mov_b32 s41, 0
	global_load_b64 v[12:13], v[12:13], off
	s_wait_loadcnt 0x0
	v_mul_f32_e64 v1, v13, -s3
	s_delay_alu instid0(VALU_DEP_1) | instskip(NEXT) | instid1(VALU_DEP_1)
	v_dual_mul_f32 v3, s39, v13 :: v_dual_fmac_f32 v1, s39, v12
	v_fmac_f32_e32 v3, s3, v12
	s_branch .LBB126_21
.LBB126_19:                             ;   in Loop: Header=BB126_21 Depth=2
	s_or_b32 exec_lo, exec_lo, s43
.LBB126_20:                             ;   in Loop: Header=BB126_21 Depth=2
	s_delay_alu instid0(SALU_CYCLE_1)
	s_or_b32 exec_lo, exec_lo, s42
	s_wait_loadcnt 0x0
	v_mul_f32_e64 v15, v13, -v3
	v_mul_f32_e32 v13, v1, v13
	v_lshl_add_u32 v14, v14, 3, 0
	v_add_nc_u64_e32 v[10:11], 32, v[10:11]
	s_delay_alu instid0(VALU_DEP_3) | instskip(SKIP_4) | instid1(SALU_CYCLE_1)
	v_dual_fmac_f32 v13, v3, v12 :: v_dual_fmac_f32 v15, v1, v12
	ds_add_f32 v14, v15 offset:8192
	ds_add_f32 v14, v13 offset:8196
	v_cmp_ge_i64_e32 vcc_lo, v[10:11], v[8:9]
	s_or_b32 s41, vcc_lo, s41
	s_and_not1_b32 exec_lo, exec_lo, s41
	s_cbranch_execz .LBB126_16
.LBB126_21:                             ;   Parent Loop BB126_17 Depth=1
                                        ; =>  This Loop Header: Depth=2
                                        ;       Child Loop BB126_24 Depth 3
	s_wait_xcnt 0x0
	v_lshlrev_b64_e32 v[12:13], 3, v[10:11]
	s_mov_b32 s42, exec_lo
	s_delay_alu instid0(VALU_DEP_1)
	v_add_nc_u64_e32 v[14:15], s[24:25], v[12:13]
	v_add_nc_u64_e32 v[12:13], s[26:27], v[12:13]
	global_load_b64 v[14:15], v[14:15], off
	global_load_b64 v[12:13], v[12:13], off
	s_wait_loadcnt 0x1
	v_sub_nc_u64_e64 v[16:17], v[14:15], s[36:37]
	s_wait_xcnt 0x1
	s_delay_alu instid0(VALU_DEP_1) | instskip(NEXT) | instid1(VALU_DEP_1)
	v_mul_lo_u32 v14, 0x89, v16
	v_and_b32_e32 v14, 0x3ff, v14
	s_delay_alu instid0(VALU_DEP_1)
	v_lshl_add_u32 v24, v14, 3, 0
	ds_load_b64 v[20:21], v24
	s_wait_dscnt 0x0
	s_wait_xcnt 0x0
	v_cmpx_ne_u64_e64 v[20:21], v[16:17]
	s_cbranch_execz .LBB126_20
; %bb.22:                               ;   in Loop: Header=BB126_21 Depth=2
	s_mov_b32 s43, 0
                                        ; implicit-def: $sgpr44
                                        ; implicit-def: $sgpr45
	s_branch .LBB126_24
.LBB126_23:                             ;   in Loop: Header=BB126_24 Depth=3
	s_or_b32 exec_lo, exec_lo, s48
	s_delay_alu instid0(SALU_CYCLE_1) | instskip(NEXT) | instid1(SALU_CYCLE_1)
	s_and_b32 s46, exec_lo, s47
	s_or_b32 s43, s46, s43
	s_and_not1_b32 s44, s44, exec_lo
	s_and_b32 s46, s45, exec_lo
	s_delay_alu instid0(SALU_CYCLE_1)
	s_or_b32 s44, s44, s46
	s_and_not1_b32 exec_lo, exec_lo, s43
	s_cbranch_execz .LBB126_30
.LBB126_24:                             ;   Parent Loop BB126_17 Depth=1
                                        ;     Parent Loop BB126_21 Depth=2
                                        ; =>    This Inner Loop Header: Depth=3
	v_mov_b64_e32 v[18:19], v[14:15]
	s_mov_b32 s46, 0
	s_mov_b32 s47, exec_lo
                                        ; implicit-def: $vgpr14_vgpr15
	v_cmpx_ne_u64_e64 s[30:31], v[20:21]
	s_xor_b32 s47, exec_lo, s47
; %bb.25:                               ;   in Loop: Header=BB126_24 Depth=3
	s_delay_alu instid0(VALU_DEP_2) | instskip(SKIP_1) | instid1(VALU_DEP_1)
	v_add_nc_u32_e32 v14, 1, v18
	s_mov_b32 s46, exec_lo
                                        ; implicit-def: $vgpr24
	v_and_b32_e32 v14, 0x3ff, v14
; %bb.26:                               ;   in Loop: Header=BB126_24 Depth=3
	s_and_not1_saveexec_b32 s47, s47
	s_cbranch_execz .LBB126_28
; %bb.27:                               ;   in Loop: Header=BB126_24 Depth=3
	v_mov_b64_e32 v[14:15], s[30:31]
	s_and_not1_b32 s46, s46, exec_lo
	ds_cmpstore_rtn_b64 v[14:15], v24, v[16:17], v[14:15]
	s_wait_dscnt 0x0
	v_cmp_ne_u64_e32 vcc_lo, s[30:31], v[14:15]
	v_mov_b64_e32 v[14:15], v[18:19]
	s_and_b32 s48, vcc_lo, exec_lo
	s_delay_alu instid0(SALU_CYCLE_1)
	s_or_b32 s46, s46, s48
.LBB126_28:                             ;   in Loop: Header=BB126_24 Depth=3
	s_or_b32 exec_lo, exec_lo, s47
	s_mov_b32 s47, -1
	s_or_b32 s45, s45, exec_lo
                                        ; implicit-def: $vgpr24
                                        ; implicit-def: $vgpr20_vgpr21
	s_and_saveexec_b32 s48, s46
	s_cbranch_execz .LBB126_23
; %bb.29:                               ;   in Loop: Header=BB126_24 Depth=3
	v_lshl_add_u32 v24, v14, 3, 0
	s_and_not1_b32 s45, s45, exec_lo
	ds_load_b64 v[20:21], v24
	s_wait_dscnt 0x0
	v_cmp_eq_u64_e32 vcc_lo, v[20:21], v[16:17]
	s_or_not1_b32 s47, vcc_lo, exec_lo
	s_branch .LBB126_23
.LBB126_30:                             ;   in Loop: Header=BB126_21 Depth=2
	s_or_b32 exec_lo, exec_lo, s43
	s_and_saveexec_b32 s43, s44
	s_delay_alu instid0(SALU_CYCLE_1)
	s_xor_b32 s43, exec_lo, s43
	s_cbranch_execz .LBB126_19
; %bb.31:                               ;   in Loop: Header=BB126_21 Depth=2
	v_mov_b32_e32 v14, v18
	s_branch .LBB126_19
.LBB126_32:
	s_or_b32 exec_lo, exec_lo, s20
.LBB126_33:
	s_delay_alu instid0(SALU_CYCLE_1)
	s_and_not1_b32 vcc_lo, exec_lo, s2
	s_cbranch_vccnz .LBB126_50
; %bb.34:
	s_wait_kmcnt 0x0
	s_lshl_b64 s[0:1], s[34:35], 3
	v_mov_b32_e32 v1, 0
	s_add_nc_u64 s[0:1], s[12:13], s[0:1]
	s_load_b128 s[4:7], s[0:1], 0x0
	s_wait_xcnt 0x0
	s_mov_b32 s1, 0
	s_mov_b32 s0, s23
	s_delay_alu instid0(SALU_CYCLE_1) | instskip(SKIP_1) | instid1(VALU_DEP_1)
	v_sub_nc_u64_e64 v[4:5], v[0:1], s[0:1]
	s_wait_kmcnt 0x0
	v_add_nc_u64_e32 v[4:5], s[4:5], v[4:5]
	s_sub_nc_u64 s[2:3], s[6:7], s[0:1]
	s_mov_b32 s4, exec_lo
	s_delay_alu instid0(VALU_DEP_1)
	v_cmpx_gt_i64_e64 s[2:3], v[4:5]
	s_cbranch_execz .LBB126_49
; %bb.35:
	s_mov_b32 s5, s1
	s_branch .LBB126_38
.LBB126_36:                             ;   in Loop: Header=BB126_38 Depth=1
	s_or_b32 exec_lo, exec_lo, s7
.LBB126_37:                             ;   in Loop: Header=BB126_38 Depth=1
	s_delay_alu instid0(SALU_CYCLE_1)
	s_or_b32 exec_lo, exec_lo, s6
	s_wait_loadcnt 0x0
	v_mul_f32_e64 v1, v7, -s38
	v_mul_f32_e32 v3, s33, v7
	v_lshl_add_u32 v7, v8, 3, 0
	v_add_nc_u64_e32 v[4:5], 0x200, v[4:5]
	s_delay_alu instid0(VALU_DEP_3) | instskip(SKIP_4) | instid1(SALU_CYCLE_1)
	v_dual_fmac_f32 v1, s33, v6 :: v_dual_fmac_f32 v3, s38, v6
	ds_add_f32 v7, v1 offset:8192
	ds_add_f32 v7, v3 offset:8196
	v_cmp_le_i64_e32 vcc_lo, s[2:3], v[4:5]
	s_or_b32 s5, vcc_lo, s5
	s_and_not1_b32 exec_lo, exec_lo, s5
	s_cbranch_execz .LBB126_49
.LBB126_38:                             ; =>This Loop Header: Depth=1
                                        ;     Child Loop BB126_41 Depth 2
	v_lshlrev_b64_e32 v[6:7], 3, v[4:5]
	s_mov_b32 s6, exec_lo
	s_delay_alu instid0(VALU_DEP_1)
	v_add_nc_u64_e32 v[8:9], s[14:15], v[6:7]
	v_add_nc_u64_e32 v[6:7], s[16:17], v[6:7]
	global_load_b64 v[8:9], v[8:9], off
	global_load_b64 v[6:7], v[6:7], off
	s_wait_loadcnt 0x1
	v_sub_nc_u64_e64 v[10:11], v[8:9], s[0:1]
	s_delay_alu instid0(VALU_DEP_1) | instskip(NEXT) | instid1(VALU_DEP_1)
	v_mul_lo_u32 v1, 0x89, v10
	v_and_b32_e32 v8, 0x3ff, v1
	s_delay_alu instid0(VALU_DEP_1)
	v_lshl_add_u32 v1, v8, 3, 0
	ds_load_b64 v[14:15], v1
	s_wait_dscnt 0x0
	s_wait_xcnt 0x0
	v_cmpx_ne_u64_e64 v[14:15], v[10:11]
	s_cbranch_execz .LBB126_37
; %bb.39:                               ;   in Loop: Header=BB126_38 Depth=1
	s_mov_b32 s7, 0
                                        ; implicit-def: $sgpr8
                                        ; implicit-def: $sgpr9
	s_branch .LBB126_41
.LBB126_40:                             ;   in Loop: Header=BB126_41 Depth=2
	s_or_b32 exec_lo, exec_lo, s12
	s_delay_alu instid0(SALU_CYCLE_1) | instskip(NEXT) | instid1(SALU_CYCLE_1)
	s_and_b32 s10, exec_lo, s11
	s_or_b32 s7, s10, s7
	s_and_not1_b32 s8, s8, exec_lo
	s_and_b32 s10, s9, exec_lo
	s_delay_alu instid0(SALU_CYCLE_1)
	s_or_b32 s8, s8, s10
	s_and_not1_b32 exec_lo, exec_lo, s7
	s_cbranch_execz .LBB126_47
.LBB126_41:                             ;   Parent Loop BB126_38 Depth=1
                                        ; =>  This Inner Loop Header: Depth=2
	v_mov_b64_e32 v[12:13], v[8:9]
	s_mov_b32 s10, 0
	s_mov_b32 s11, exec_lo
                                        ; implicit-def: $vgpr8_vgpr9
	v_cmpx_ne_u64_e64 s[30:31], v[14:15]
	s_xor_b32 s11, exec_lo, s11
; %bb.42:                               ;   in Loop: Header=BB126_41 Depth=2
	s_delay_alu instid0(VALU_DEP_2) | instskip(SKIP_1) | instid1(VALU_DEP_1)
	v_add_nc_u32_e32 v1, 1, v12
	s_mov_b32 s10, exec_lo
	v_and_b32_e32 v8, 0x3ff, v1
                                        ; implicit-def: $vgpr1
; %bb.43:                               ;   in Loop: Header=BB126_41 Depth=2
	s_and_not1_saveexec_b32 s11, s11
	s_cbranch_execz .LBB126_45
; %bb.44:                               ;   in Loop: Header=BB126_41 Depth=2
	v_mov_b64_e32 v[8:9], s[30:31]
	s_and_not1_b32 s10, s10, exec_lo
	ds_cmpstore_rtn_b64 v[8:9], v1, v[10:11], v[8:9]
	s_wait_dscnt 0x0
	v_cmp_ne_u64_e32 vcc_lo, s[30:31], v[8:9]
	v_mov_b64_e32 v[8:9], v[12:13]
	s_and_b32 s12, vcc_lo, exec_lo
	s_delay_alu instid0(SALU_CYCLE_1)
	s_or_b32 s10, s10, s12
.LBB126_45:                             ;   in Loop: Header=BB126_41 Depth=2
	s_or_b32 exec_lo, exec_lo, s11
	s_mov_b32 s11, -1
	s_or_b32 s9, s9, exec_lo
                                        ; implicit-def: $vgpr1
                                        ; implicit-def: $vgpr14_vgpr15
	s_and_saveexec_b32 s12, s10
	s_cbranch_execz .LBB126_40
; %bb.46:                               ;   in Loop: Header=BB126_41 Depth=2
	v_lshl_add_u32 v1, v8, 3, 0
	s_and_not1_b32 s9, s9, exec_lo
	ds_load_b64 v[14:15], v1
	s_wait_dscnt 0x0
	v_cmp_eq_u64_e32 vcc_lo, v[14:15], v[10:11]
	s_or_not1_b32 s11, vcc_lo, exec_lo
	s_branch .LBB126_40
.LBB126_47:                             ;   in Loop: Header=BB126_38 Depth=1
	s_or_b32 exec_lo, exec_lo, s7
	s_and_saveexec_b32 s7, s8
	s_delay_alu instid0(SALU_CYCLE_1)
	s_xor_b32 s7, exec_lo, s7
	s_cbranch_execz .LBB126_36
; %bb.48:                               ;   in Loop: Header=BB126_38 Depth=1
	v_mov_b32_e32 v8, v12
	s_branch .LBB126_36
.LBB126_49:
	s_or_b32 exec_lo, exec_lo, s4
.LBB126_50:
	v_mbcnt_lo_u32_b32 v4, -1, 0
	v_mov_b32_e32 v3, 0
	v_lshl_add_u32 v1, v2, 3, 0
	v_mov_b64_e32 v[6:7], 0
	v_cmp_lt_u32_e64 s0, 31, v0
	v_xor_b32_e32 v2, 31, v4
	v_cmp_lt_u32_e64 s1, 63, v0
	v_cmp_lt_u32_e64 s2, 0x5f, v0
	v_cmp_lt_u32_e64 s3, 0x7f, v0
	v_cmp_lt_u32_e64 s4, 0x9f, v0
	v_lshrrev_b32_e64 v4, v2, -1
	v_cmp_lt_u32_e64 s5, 0xbf, v0
	v_cmp_lt_u32_e64 s6, 0xdf, v0
	;; [unrolled: 1-line block ×10, first 2 shown]
	s_mov_b32 s16, 0
	s_wait_dscnt 0x0
	v_cmp_eq_u32_e32 vcc_lo, 0x1ff, v0
	s_barrier_signal -1
	s_barrier_wait -1
	s_branch .LBB126_52
.LBB126_51:                             ;   in Loop: Header=BB126_52 Depth=1
	s_or_b32 exec_lo, exec_lo, s15
	s_wait_dscnt 0x0
	s_barrier_signal -1
	s_barrier_wait -1
	ds_load_b64 v[8:9], v3 offset:16504
	v_add_co_u32 v23, s15, 0x200, v23
	s_xor_b32 s15, s15, -1
	v_add_nc_u32_e32 v22, 0x1000, v22
	s_and_b32 s15, exec_lo, s15
	s_delay_alu instid0(SALU_CYCLE_1)
	s_or_b32 s16, s15, s16
	s_wait_dscnt 0x0
	v_add_nc_u64_e32 v[6:7], v[8:9], v[6:7]
	s_and_not1_b32 exec_lo, exec_lo, s16
	s_cbranch_execz .LBB126_86
.LBB126_52:                             ; =>This Inner Loop Header: Depth=1
	ds_load_b64 v[8:9], v22
	v_add_nc_u32_e32 v2, 0x2000, v22
	ds_load_2addr_b32 v[10:11], v2 offset1:1
	s_wait_dscnt 0x0
	s_barrier_signal -1
	s_barrier_wait -1
	v_cmp_gt_i64_e64 s15, s[30:31], v[8:9]
	s_bcnt1_i32_b32 s17, s15
	s_delay_alu instid0(SALU_CYCLE_1) | instskip(NEXT) | instid1(VALU_DEP_1)
	v_dual_mov_b32 v2, s17 :: v_dual_bitop2_b32 v5, s15, v4 bitop3:0x40
	v_bcnt_u32_b32 v12, v5, 0
	ds_store_b64 v1, v[2:3] offset:16384
	s_wait_dscnt 0x0
	s_barrier_signal -1
	s_barrier_wait -1
	s_and_saveexec_b32 s17, s0
	s_cbranch_execnz .LBB126_69
; %bb.53:                               ;   in Loop: Header=BB126_52 Depth=1
	s_or_b32 exec_lo, exec_lo, s17
	s_and_saveexec_b32 s17, s1
	s_cbranch_execnz .LBB126_70
.LBB126_54:                             ;   in Loop: Header=BB126_52 Depth=1
	s_or_b32 exec_lo, exec_lo, s17
	s_and_saveexec_b32 s17, s2
	s_cbranch_execnz .LBB126_71
.LBB126_55:                             ;   in Loop: Header=BB126_52 Depth=1
	s_or_b32 exec_lo, exec_lo, s17
	s_and_saveexec_b32 s17, s3
	s_cbranch_execnz .LBB126_72
.LBB126_56:                             ;   in Loop: Header=BB126_52 Depth=1
	s_or_b32 exec_lo, exec_lo, s17
	s_and_saveexec_b32 s17, s4
	s_cbranch_execnz .LBB126_73
.LBB126_57:                             ;   in Loop: Header=BB126_52 Depth=1
	s_or_b32 exec_lo, exec_lo, s17
	s_and_saveexec_b32 s17, s5
	s_cbranch_execnz .LBB126_74
.LBB126_58:                             ;   in Loop: Header=BB126_52 Depth=1
	s_or_b32 exec_lo, exec_lo, s17
	s_and_saveexec_b32 s17, s6
	s_cbranch_execnz .LBB126_75
.LBB126_59:                             ;   in Loop: Header=BB126_52 Depth=1
	s_or_b32 exec_lo, exec_lo, s17
	s_and_saveexec_b32 s17, s7
	s_cbranch_execnz .LBB126_76
.LBB126_60:                             ;   in Loop: Header=BB126_52 Depth=1
	s_or_b32 exec_lo, exec_lo, s17
	s_and_saveexec_b32 s17, s8
	s_cbranch_execnz .LBB126_77
.LBB126_61:                             ;   in Loop: Header=BB126_52 Depth=1
	s_or_b32 exec_lo, exec_lo, s17
	s_and_saveexec_b32 s17, s9
	s_cbranch_execnz .LBB126_78
.LBB126_62:                             ;   in Loop: Header=BB126_52 Depth=1
	s_or_b32 exec_lo, exec_lo, s17
	s_and_saveexec_b32 s17, s10
	s_cbranch_execnz .LBB126_79
.LBB126_63:                             ;   in Loop: Header=BB126_52 Depth=1
	s_or_b32 exec_lo, exec_lo, s17
	s_and_saveexec_b32 s17, s11
	s_cbranch_execnz .LBB126_80
.LBB126_64:                             ;   in Loop: Header=BB126_52 Depth=1
	s_or_b32 exec_lo, exec_lo, s17
	s_and_saveexec_b32 s17, s12
	s_cbranch_execnz .LBB126_81
.LBB126_65:                             ;   in Loop: Header=BB126_52 Depth=1
	s_or_b32 exec_lo, exec_lo, s17
	s_and_saveexec_b32 s17, s13
	s_cbranch_execnz .LBB126_82
.LBB126_66:                             ;   in Loop: Header=BB126_52 Depth=1
	s_or_b32 exec_lo, exec_lo, s17
	s_and_saveexec_b32 s17, s14
	s_cbranch_execnz .LBB126_83
.LBB126_67:                             ;   in Loop: Header=BB126_52 Depth=1
	s_or_b32 exec_lo, exec_lo, s17
	v_ashrrev_i32_e32 v13, 31, v12
	s_and_saveexec_b32 s17, s15
	s_cbranch_execnz .LBB126_84
.LBB126_68:                             ;   in Loop: Header=BB126_52 Depth=1
	s_or_b32 exec_lo, exec_lo, s17
	s_and_saveexec_b32 s15, vcc_lo
	s_cbranch_execz .LBB126_51
	s_branch .LBB126_85
.LBB126_69:                             ;   in Loop: Header=BB126_52 Depth=1
	ds_load_b32 v2, v3 offset:16384
	s_wait_dscnt 0x0
	v_add_nc_u32_e32 v12, v2, v12
	s_or_b32 exec_lo, exec_lo, s17
	s_and_saveexec_b32 s17, s1
	s_cbranch_execz .LBB126_54
.LBB126_70:                             ;   in Loop: Header=BB126_52 Depth=1
	ds_load_b32 v2, v3 offset:16392
	s_wait_dscnt 0x0
	v_add_nc_u32_e32 v12, v12, v2
	s_or_b32 exec_lo, exec_lo, s17
	s_and_saveexec_b32 s17, s2
	s_cbranch_execz .LBB126_55
.LBB126_71:                             ;   in Loop: Header=BB126_52 Depth=1
	ds_load_b32 v2, v3 offset:16400
	s_wait_dscnt 0x0
	v_add_nc_u32_e32 v12, v12, v2
	s_or_b32 exec_lo, exec_lo, s17
	s_and_saveexec_b32 s17, s3
	s_cbranch_execz .LBB126_56
.LBB126_72:                             ;   in Loop: Header=BB126_52 Depth=1
	ds_load_b32 v2, v3 offset:16408
	s_wait_dscnt 0x0
	v_add_nc_u32_e32 v12, v12, v2
	s_or_b32 exec_lo, exec_lo, s17
	s_and_saveexec_b32 s17, s4
	s_cbranch_execz .LBB126_57
.LBB126_73:                             ;   in Loop: Header=BB126_52 Depth=1
	ds_load_b32 v2, v3 offset:16416
	s_wait_dscnt 0x0
	v_add_nc_u32_e32 v12, v12, v2
	s_or_b32 exec_lo, exec_lo, s17
	s_and_saveexec_b32 s17, s5
	s_cbranch_execz .LBB126_58
.LBB126_74:                             ;   in Loop: Header=BB126_52 Depth=1
	ds_load_b32 v2, v3 offset:16424
	s_wait_dscnt 0x0
	v_add_nc_u32_e32 v12, v12, v2
	s_or_b32 exec_lo, exec_lo, s17
	s_and_saveexec_b32 s17, s6
	s_cbranch_execz .LBB126_59
.LBB126_75:                             ;   in Loop: Header=BB126_52 Depth=1
	ds_load_b32 v2, v3 offset:16432
	s_wait_dscnt 0x0
	v_add_nc_u32_e32 v12, v12, v2
	s_or_b32 exec_lo, exec_lo, s17
	s_and_saveexec_b32 s17, s7
	s_cbranch_execz .LBB126_60
.LBB126_76:                             ;   in Loop: Header=BB126_52 Depth=1
	ds_load_b32 v2, v3 offset:16440
	s_wait_dscnt 0x0
	v_add_nc_u32_e32 v12, v12, v2
	s_or_b32 exec_lo, exec_lo, s17
	s_and_saveexec_b32 s17, s8
	s_cbranch_execz .LBB126_61
.LBB126_77:                             ;   in Loop: Header=BB126_52 Depth=1
	ds_load_b32 v2, v3 offset:16448
	s_wait_dscnt 0x0
	v_add_nc_u32_e32 v12, v12, v2
	s_or_b32 exec_lo, exec_lo, s17
	s_and_saveexec_b32 s17, s9
	s_cbranch_execz .LBB126_62
.LBB126_78:                             ;   in Loop: Header=BB126_52 Depth=1
	ds_load_b32 v2, v3 offset:16456
	s_wait_dscnt 0x0
	v_add_nc_u32_e32 v12, v12, v2
	s_or_b32 exec_lo, exec_lo, s17
	s_and_saveexec_b32 s17, s10
	s_cbranch_execz .LBB126_63
.LBB126_79:                             ;   in Loop: Header=BB126_52 Depth=1
	ds_load_b32 v2, v3 offset:16464
	s_wait_dscnt 0x0
	v_add_nc_u32_e32 v12, v12, v2
	s_or_b32 exec_lo, exec_lo, s17
	s_and_saveexec_b32 s17, s11
	s_cbranch_execz .LBB126_64
.LBB126_80:                             ;   in Loop: Header=BB126_52 Depth=1
	ds_load_b32 v2, v3 offset:16472
	s_wait_dscnt 0x0
	v_add_nc_u32_e32 v12, v12, v2
	s_or_b32 exec_lo, exec_lo, s17
	s_and_saveexec_b32 s17, s12
	s_cbranch_execz .LBB126_65
.LBB126_81:                             ;   in Loop: Header=BB126_52 Depth=1
	ds_load_b32 v2, v3 offset:16480
	s_wait_dscnt 0x0
	v_add_nc_u32_e32 v12, v12, v2
	s_or_b32 exec_lo, exec_lo, s17
	s_and_saveexec_b32 s17, s13
	s_cbranch_execz .LBB126_66
.LBB126_82:                             ;   in Loop: Header=BB126_52 Depth=1
	ds_load_b32 v2, v3 offset:16488
	s_wait_dscnt 0x0
	v_add_nc_u32_e32 v12, v12, v2
	s_or_b32 exec_lo, exec_lo, s17
	s_and_saveexec_b32 s17, s14
	s_cbranch_execz .LBB126_67
.LBB126_83:                             ;   in Loop: Header=BB126_52 Depth=1
	ds_load_b32 v2, v3 offset:16496
	s_wait_dscnt 0x0
	v_add_nc_u32_e32 v12, v12, v2
	s_or_b32 exec_lo, exec_lo, s17
	s_delay_alu instid0(VALU_DEP_1)
	v_ashrrev_i32_e32 v13, 31, v12
	s_and_saveexec_b32 s17, s15
	s_cbranch_execz .LBB126_68
.LBB126_84:                             ;   in Loop: Header=BB126_52 Depth=1
	v_add3_u32 v2, v6, -1, v12
	v_add_lshl_u32 v5, v6, v12, 3
	s_delay_alu instid0(VALU_DEP_2) | instskip(NEXT) | instid1(VALU_DEP_2)
	v_lshl_add_u32 v2, v2, 3, 0
	v_add3_u32 v5, 0, v5, 0x1ff8
	ds_store_b64 v2, v[8:9]
	ds_store_2addr_b32 v5, v10, v11 offset1:1
	s_or_b32 exec_lo, exec_lo, s17
	s_and_saveexec_b32 s15, vcc_lo
	s_cbranch_execz .LBB126_51
.LBB126_85:                             ;   in Loop: Header=BB126_52 Depth=1
	ds_store_b64 v3, v[12:13] offset:16504
	s_branch .LBB126_51
.LBB126_86:
	s_or_b32 exec_lo, exec_lo, s16
	s_wait_kmcnt 0x0
	s_lshl_b64 s[0:1], s[34:35], 3
	v_mov_b32_e32 v1, 0
	s_add_nc_u64 s[4:5], s[18:19], s[0:1]
	s_mov_b32 s6, exec_lo
	s_load_b128 s[0:3], s[4:5], 0x0
	s_wait_kmcnt 0x0
	s_sub_nc_u64 s[4:5], s[2:3], s[0:1]
	s_delay_alu instid0(SALU_CYCLE_1)
	v_cmpx_gt_i64_e64 s[4:5], v[0:1]
	s_cbranch_execz .LBB126_96
; %bb.87:
	s_sub_nc_u64 s[8:9], s[0:1], s[2:3]
	s_and_b64 s[6:7], s[4:5], 7
	v_cmp_lt_u64_e64 s10, s[8:9], -7
	s_and_b64 s[2:3], s[4:5], -8
	s_mov_b32 s23, 0
	s_cmp_lg_u64 s[6:7], 0
	s_sub_nc_u64 s[0:1], s[0:1], s[22:23]
	s_cselect_b32 s11, -1, 0
	s_mov_b32 s12, 0
	s_branch .LBB126_89
.LBB126_88:                             ;   in Loop: Header=BB126_89 Depth=1
	v_add_nc_u64_e32 v[0:1], 0x200, v[0:1]
	s_wait_dscnt 0x1
	s_delay_alu instid0(VALU_DEP_2)
	v_lshl_add_u64 v[4:5], v[6:7], 3, s[28:29]
	s_wait_dscnt 0x0
	global_store_b64 v[4:5], v[2:3], off
	v_cmp_le_i64_e32 vcc_lo, s[4:5], v[0:1]
	s_or_b32 s12, vcc_lo, s12
	s_wait_xcnt 0x0
	s_and_not1_b32 exec_lo, exec_lo, s12
	s_cbranch_execz .LBB126_96
.LBB126_89:                             ; =>This Loop Header: Depth=1
                                        ;     Child Loop BB126_91 Depth 2
                                        ;     Child Loop BB126_95 Depth 2
	v_lshl_add_u32 v2, v0, 3, 0
	v_mov_b64_e32 v[6:7], s[0:1]
	s_and_not1_b32 vcc_lo, exec_lo, s10
	s_mov_b64 s[8:9], 0
	s_delay_alu instid0(VALU_DEP_2)
	v_add_nc_u32_e32 v3, 0x2000, v2
	ds_load_b64 v[4:5], v2
	ds_load_2addr_b32 v[2:3], v3 offset1:1
	s_cbranch_vccnz .LBB126_93
; %bb.90:                               ;   in Loop: Header=BB126_89 Depth=1
	v_mov_b64_e32 v[6:7], s[0:1]
	s_mov_b32 s13, 0
.LBB126_91:                             ;   Parent Loop BB126_89 Depth=1
                                        ; =>  This Inner Loop Header: Depth=2
	s_delay_alu instid0(SALU_CYCLE_1)
	v_dual_mov_b32 v20, s13 :: v_dual_mov_b32 v17, s23
	v_mov_b32_e32 v19, s23
	s_add_nc_u64 s[8:9], s[8:9], 8
	s_add_co_i32 s13, s13, 64
	ds_load_2addr_b64 v[8:11], v20 offset1:1
	ds_load_2addr_b64 v[12:15], v20 offset0:2 offset1:3
	s_cmp_eq_u64 s[2:3], s[8:9]
	s_wait_dscnt 0x1
	v_cmp_gt_i64_e32 vcc_lo, v[4:5], v[8:9]
	v_cndmask_b32_e64 v16, 0, 1, vcc_lo
	v_cmp_gt_i64_e32 vcc_lo, v[4:5], v[10:11]
	s_delay_alu instid0(VALU_DEP_2) | instskip(SKIP_4) | instid1(VALU_DEP_2)
	v_add_nc_u64_e32 v[10:11], v[6:7], v[16:17]
	ds_load_2addr_b64 v[6:9], v20 offset0:4 offset1:5
	v_cndmask_b32_e64 v18, 0, 1, vcc_lo
	s_wait_dscnt 0x1
	v_cmp_gt_i64_e32 vcc_lo, v[4:5], v[12:13]
	v_add_nc_u64_e32 v[10:11], v[10:11], v[18:19]
	v_cndmask_b32_e64 v16, 0, 1, vcc_lo
	v_cmp_gt_i64_e32 vcc_lo, v[4:5], v[14:15]
	s_delay_alu instid0(VALU_DEP_2)
	v_add_nc_u64_e32 v[14:15], v[10:11], v[16:17]
	ds_load_2addr_b64 v[10:13], v20 offset0:6 offset1:7
	v_cndmask_b32_e64 v18, 0, 1, vcc_lo
	s_wait_dscnt 0x1
	v_cmp_gt_i64_e32 vcc_lo, v[4:5], v[6:7]
	v_mov_b32_e32 v7, s23
	s_delay_alu instid0(VALU_DEP_3) | instskip(SKIP_3) | instid1(VALU_DEP_3)
	v_add_nc_u64_e32 v[14:15], v[14:15], v[18:19]
	v_cndmask_b32_e64 v16, 0, 1, vcc_lo
	v_cmp_gt_i64_e32 vcc_lo, v[4:5], v[8:9]
	v_mov_b32_e32 v9, s23
	v_add_nc_u64_e32 v[14:15], v[14:15], v[16:17]
	v_cndmask_b32_e64 v6, 0, 1, vcc_lo
	s_wait_dscnt 0x0
	v_cmp_gt_i64_e32 vcc_lo, v[4:5], v[10:11]
	v_mov_b32_e32 v11, s23
	s_delay_alu instid0(VALU_DEP_3) | instskip(SKIP_2) | instid1(VALU_DEP_2)
	v_add_nc_u64_e32 v[6:7], v[14:15], v[6:7]
	v_cndmask_b32_e64 v8, 0, 1, vcc_lo
	v_cmp_gt_i64_e32 vcc_lo, v[4:5], v[12:13]
	v_add_nc_u64_e32 v[6:7], v[6:7], v[8:9]
	v_cndmask_b32_e64 v10, 0, 1, vcc_lo
	s_delay_alu instid0(VALU_DEP_1)
	v_add_nc_u64_e32 v[6:7], v[6:7], v[10:11]
	s_cbranch_scc0 .LBB126_91
; %bb.92:                               ;   in Loop: Header=BB126_89 Depth=1
	s_mov_b64 s[8:9], s[2:3]
.LBB126_93:                             ;   in Loop: Header=BB126_89 Depth=1
	s_and_not1_b32 vcc_lo, exec_lo, s11
	s_cbranch_vccnz .LBB126_88
; %bb.94:                               ;   in Loop: Header=BB126_89 Depth=1
	s_lshl_b32 s8, s8, 3
	s_delay_alu instid0(SALU_CYCLE_1)
	s_add_co_i32 s13, s8, 0
	s_mov_b64 s[8:9], s[6:7]
.LBB126_95:                             ;   Parent Loop BB126_89 Depth=1
                                        ; =>  This Inner Loop Header: Depth=2
	v_dual_mov_b32 v8, s13 :: v_dual_mov_b32 v11, s23
	s_add_nc_u64 s[8:9], s[8:9], -1
	s_add_co_i32 s13, s13, 8
	s_cmp_lg_u64 s[8:9], 0
	ds_load_b64 v[8:9], v8
	s_wait_dscnt 0x0
	v_cmp_gt_i64_e32 vcc_lo, v[4:5], v[8:9]
	v_cndmask_b32_e64 v10, 0, 1, vcc_lo
	s_delay_alu instid0(VALU_DEP_1)
	v_add_nc_u64_e32 v[6:7], v[6:7], v[10:11]
	s_cbranch_scc1 .LBB126_95
	s_branch .LBB126_88
.LBB126_96:
	s_endpgm
	.section	.rodata,"a",@progbits
	.p2align	6, 0x0
	.amdhsa_kernel _ZN9rocsparseL41csrgemm_numeric_fill_block_per_row_kernelILj512ELj32ELj1024ELj137ELj32Ell21rocsparse_complex_numIfEEEvT5_PKS3_S5_NS_24const_host_device_scalarIT6_EEPKT4_S5_PKS7_SB_S5_SD_S8_SB_S5_SD_SB_S5_PS7_21rocsparse_index_base_SF_SF_SF_bbb
		.amdhsa_group_segment_fixed_size 0
		.amdhsa_private_segment_fixed_size 0
		.amdhsa_kernarg_size 156
		.amdhsa_user_sgpr_count 2
		.amdhsa_user_sgpr_dispatch_ptr 0
		.amdhsa_user_sgpr_queue_ptr 0
		.amdhsa_user_sgpr_kernarg_segment_ptr 1
		.amdhsa_user_sgpr_dispatch_id 0
		.amdhsa_user_sgpr_kernarg_preload_length 0
		.amdhsa_user_sgpr_kernarg_preload_offset 0
		.amdhsa_user_sgpr_private_segment_size 0
		.amdhsa_wavefront_size32 1
		.amdhsa_uses_dynamic_stack 0
		.amdhsa_enable_private_segment 0
		.amdhsa_system_sgpr_workgroup_id_x 1
		.amdhsa_system_sgpr_workgroup_id_y 0
		.amdhsa_system_sgpr_workgroup_id_z 0
		.amdhsa_system_sgpr_workgroup_info 0
		.amdhsa_system_vgpr_workitem_id 0
		.amdhsa_next_free_vgpr 25
		.amdhsa_next_free_sgpr 49
		.amdhsa_named_barrier_count 0
		.amdhsa_reserve_vcc 1
		.amdhsa_float_round_mode_32 0
		.amdhsa_float_round_mode_16_64 0
		.amdhsa_float_denorm_mode_32 3
		.amdhsa_float_denorm_mode_16_64 3
		.amdhsa_fp16_overflow 0
		.amdhsa_memory_ordered 1
		.amdhsa_forward_progress 1
		.amdhsa_inst_pref_size 28
		.amdhsa_round_robin_scheduling 0
		.amdhsa_exception_fp_ieee_invalid_op 0
		.amdhsa_exception_fp_denorm_src 0
		.amdhsa_exception_fp_ieee_div_zero 0
		.amdhsa_exception_fp_ieee_overflow 0
		.amdhsa_exception_fp_ieee_underflow 0
		.amdhsa_exception_fp_ieee_inexact 0
		.amdhsa_exception_int_div_zero 0
	.end_amdhsa_kernel
	.section	.text._ZN9rocsparseL41csrgemm_numeric_fill_block_per_row_kernelILj512ELj32ELj1024ELj137ELj32Ell21rocsparse_complex_numIfEEEvT5_PKS3_S5_NS_24const_host_device_scalarIT6_EEPKT4_S5_PKS7_SB_S5_SD_S8_SB_S5_SD_SB_S5_PS7_21rocsparse_index_base_SF_SF_SF_bbb,"axG",@progbits,_ZN9rocsparseL41csrgemm_numeric_fill_block_per_row_kernelILj512ELj32ELj1024ELj137ELj32Ell21rocsparse_complex_numIfEEEvT5_PKS3_S5_NS_24const_host_device_scalarIT6_EEPKT4_S5_PKS7_SB_S5_SD_S8_SB_S5_SD_SB_S5_PS7_21rocsparse_index_base_SF_SF_SF_bbb,comdat
.Lfunc_end126:
	.size	_ZN9rocsparseL41csrgemm_numeric_fill_block_per_row_kernelILj512ELj32ELj1024ELj137ELj32Ell21rocsparse_complex_numIfEEEvT5_PKS3_S5_NS_24const_host_device_scalarIT6_EEPKT4_S5_PKS7_SB_S5_SD_S8_SB_S5_SD_SB_S5_PS7_21rocsparse_index_base_SF_SF_SF_bbb, .Lfunc_end126-_ZN9rocsparseL41csrgemm_numeric_fill_block_per_row_kernelILj512ELj32ELj1024ELj137ELj32Ell21rocsparse_complex_numIfEEEvT5_PKS3_S5_NS_24const_host_device_scalarIT6_EEPKT4_S5_PKS7_SB_S5_SD_S8_SB_S5_SD_SB_S5_PS7_21rocsparse_index_base_SF_SF_SF_bbb
                                        ; -- End function
	.set _ZN9rocsparseL41csrgemm_numeric_fill_block_per_row_kernelILj512ELj32ELj1024ELj137ELj32Ell21rocsparse_complex_numIfEEEvT5_PKS3_S5_NS_24const_host_device_scalarIT6_EEPKT4_S5_PKS7_SB_S5_SD_S8_SB_S5_SD_SB_S5_PS7_21rocsparse_index_base_SF_SF_SF_bbb.num_vgpr, 25
	.set _ZN9rocsparseL41csrgemm_numeric_fill_block_per_row_kernelILj512ELj32ELj1024ELj137ELj32Ell21rocsparse_complex_numIfEEEvT5_PKS3_S5_NS_24const_host_device_scalarIT6_EEPKT4_S5_PKS7_SB_S5_SD_S8_SB_S5_SD_SB_S5_PS7_21rocsparse_index_base_SF_SF_SF_bbb.num_agpr, 0
	.set _ZN9rocsparseL41csrgemm_numeric_fill_block_per_row_kernelILj512ELj32ELj1024ELj137ELj32Ell21rocsparse_complex_numIfEEEvT5_PKS3_S5_NS_24const_host_device_scalarIT6_EEPKT4_S5_PKS7_SB_S5_SD_S8_SB_S5_SD_SB_S5_PS7_21rocsparse_index_base_SF_SF_SF_bbb.numbered_sgpr, 49
	.set _ZN9rocsparseL41csrgemm_numeric_fill_block_per_row_kernelILj512ELj32ELj1024ELj137ELj32Ell21rocsparse_complex_numIfEEEvT5_PKS3_S5_NS_24const_host_device_scalarIT6_EEPKT4_S5_PKS7_SB_S5_SD_S8_SB_S5_SD_SB_S5_PS7_21rocsparse_index_base_SF_SF_SF_bbb.num_named_barrier, 0
	.set _ZN9rocsparseL41csrgemm_numeric_fill_block_per_row_kernelILj512ELj32ELj1024ELj137ELj32Ell21rocsparse_complex_numIfEEEvT5_PKS3_S5_NS_24const_host_device_scalarIT6_EEPKT4_S5_PKS7_SB_S5_SD_S8_SB_S5_SD_SB_S5_PS7_21rocsparse_index_base_SF_SF_SF_bbb.private_seg_size, 0
	.set _ZN9rocsparseL41csrgemm_numeric_fill_block_per_row_kernelILj512ELj32ELj1024ELj137ELj32Ell21rocsparse_complex_numIfEEEvT5_PKS3_S5_NS_24const_host_device_scalarIT6_EEPKT4_S5_PKS7_SB_S5_SD_S8_SB_S5_SD_SB_S5_PS7_21rocsparse_index_base_SF_SF_SF_bbb.uses_vcc, 1
	.set _ZN9rocsparseL41csrgemm_numeric_fill_block_per_row_kernelILj512ELj32ELj1024ELj137ELj32Ell21rocsparse_complex_numIfEEEvT5_PKS3_S5_NS_24const_host_device_scalarIT6_EEPKT4_S5_PKS7_SB_S5_SD_S8_SB_S5_SD_SB_S5_PS7_21rocsparse_index_base_SF_SF_SF_bbb.uses_flat_scratch, 0
	.set _ZN9rocsparseL41csrgemm_numeric_fill_block_per_row_kernelILj512ELj32ELj1024ELj137ELj32Ell21rocsparse_complex_numIfEEEvT5_PKS3_S5_NS_24const_host_device_scalarIT6_EEPKT4_S5_PKS7_SB_S5_SD_S8_SB_S5_SD_SB_S5_PS7_21rocsparse_index_base_SF_SF_SF_bbb.has_dyn_sized_stack, 0
	.set _ZN9rocsparseL41csrgemm_numeric_fill_block_per_row_kernelILj512ELj32ELj1024ELj137ELj32Ell21rocsparse_complex_numIfEEEvT5_PKS3_S5_NS_24const_host_device_scalarIT6_EEPKT4_S5_PKS7_SB_S5_SD_S8_SB_S5_SD_SB_S5_PS7_21rocsparse_index_base_SF_SF_SF_bbb.has_recursion, 0
	.set _ZN9rocsparseL41csrgemm_numeric_fill_block_per_row_kernelILj512ELj32ELj1024ELj137ELj32Ell21rocsparse_complex_numIfEEEvT5_PKS3_S5_NS_24const_host_device_scalarIT6_EEPKT4_S5_PKS7_SB_S5_SD_S8_SB_S5_SD_SB_S5_PS7_21rocsparse_index_base_SF_SF_SF_bbb.has_indirect_call, 0
	.section	.AMDGPU.csdata,"",@progbits
; Kernel info:
; codeLenInByte = 3460
; TotalNumSgprs: 51
; NumVgprs: 25
; ScratchSize: 0
; MemoryBound: 0
; FloatMode: 240
; IeeeMode: 1
; LDSByteSize: 0 bytes/workgroup (compile time only)
; SGPRBlocks: 0
; VGPRBlocks: 1
; NumSGPRsForWavesPerEU: 51
; NumVGPRsForWavesPerEU: 25
; NamedBarCnt: 0
; Occupancy: 16
; WaveLimiterHint : 1
; COMPUTE_PGM_RSRC2:SCRATCH_EN: 0
; COMPUTE_PGM_RSRC2:USER_SGPR: 2
; COMPUTE_PGM_RSRC2:TRAP_HANDLER: 0
; COMPUTE_PGM_RSRC2:TGID_X_EN: 1
; COMPUTE_PGM_RSRC2:TGID_Y_EN: 0
; COMPUTE_PGM_RSRC2:TGID_Z_EN: 0
; COMPUTE_PGM_RSRC2:TIDIG_COMP_CNT: 0
	.section	.text._ZN9rocsparseL41csrgemm_numeric_fill_block_per_row_kernelILj512ELj32ELj1024ELj137ELj64Ell21rocsparse_complex_numIfEEEvT5_PKS3_S5_NS_24const_host_device_scalarIT6_EEPKT4_S5_PKS7_SB_S5_SD_S8_SB_S5_SD_SB_S5_PS7_21rocsparse_index_base_SF_SF_SF_bbb,"axG",@progbits,_ZN9rocsparseL41csrgemm_numeric_fill_block_per_row_kernelILj512ELj32ELj1024ELj137ELj64Ell21rocsparse_complex_numIfEEEvT5_PKS3_S5_NS_24const_host_device_scalarIT6_EEPKT4_S5_PKS7_SB_S5_SD_S8_SB_S5_SD_SB_S5_PS7_21rocsparse_index_base_SF_SF_SF_bbb,comdat
	.globl	_ZN9rocsparseL41csrgemm_numeric_fill_block_per_row_kernelILj512ELj32ELj1024ELj137ELj64Ell21rocsparse_complex_numIfEEEvT5_PKS3_S5_NS_24const_host_device_scalarIT6_EEPKT4_S5_PKS7_SB_S5_SD_S8_SB_S5_SD_SB_S5_PS7_21rocsparse_index_base_SF_SF_SF_bbb ; -- Begin function _ZN9rocsparseL41csrgemm_numeric_fill_block_per_row_kernelILj512ELj32ELj1024ELj137ELj64Ell21rocsparse_complex_numIfEEEvT5_PKS3_S5_NS_24const_host_device_scalarIT6_EEPKT4_S5_PKS7_SB_S5_SD_S8_SB_S5_SD_SB_S5_PS7_21rocsparse_index_base_SF_SF_SF_bbb
	.p2align	8
	.type	_ZN9rocsparseL41csrgemm_numeric_fill_block_per_row_kernelILj512ELj32ELj1024ELj137ELj64Ell21rocsparse_complex_numIfEEEvT5_PKS3_S5_NS_24const_host_device_scalarIT6_EEPKT4_S5_PKS7_SB_S5_SD_S8_SB_S5_SD_SB_S5_PS7_21rocsparse_index_base_SF_SF_SF_bbb,@function
_ZN9rocsparseL41csrgemm_numeric_fill_block_per_row_kernelILj512ELj32ELj1024ELj137ELj64Ell21rocsparse_complex_numIfEEEvT5_PKS3_S5_NS_24const_host_device_scalarIT6_EEPKT4_S5_PKS7_SB_S5_SD_S8_SB_S5_SD_SB_S5_PS7_21rocsparse_index_base_SF_SF_SF_bbb: ; @_ZN9rocsparseL41csrgemm_numeric_fill_block_per_row_kernelILj512ELj32ELj1024ELj137ELj64Ell21rocsparse_complex_numIfEEEvT5_PKS3_S5_NS_24const_host_device_scalarIT6_EEPKT4_S5_PKS7_SB_S5_SD_S8_SB_S5_SD_SB_S5_PS7_21rocsparse_index_base_SF_SF_SF_bbb
; %bb.0:
	s_clause 0x3
	s_load_b32 s33, s[0:1], 0x98
	s_load_b128 s[20:23], s[0:1], 0x88
	s_load_b64 s[34:35], s[0:1], 0x8
	s_load_b64 s[30:31], s[0:1], 0x50
	s_mov_b32 s3, 0
	s_mov_b32 s39, 0
	s_wait_kmcnt 0x0
	s_bitcmp1_b32 s33, 0
	s_cselect_b32 s40, -1, 0
	s_bitcmp1_b32 s33, 16
	s_cselect_b32 s2, -1, 0
	s_delay_alu instid0(SALU_CYCLE_1) | instskip(SKIP_2) | instid1(VALU_DEP_1)
	s_xor_b32 s4, s2, -1
	s_bitcmp0_b32 s33, 0
	v_cndmask_b32_e64 v1, 0, 1, s4
	v_cmp_ne_u32_e32 vcc_lo, 1, v1
	s_cbranch_scc1 .LBB127_5
; %bb.1:
	s_load_b64 s[2:3], s[0:1], 0x18
	s_and_b32 vcc_lo, exec_lo, vcc_lo
	s_wait_kmcnt 0x0
	s_mov_b32 s39, s2
	s_cbranch_vccnz .LBB127_3
; %bb.2:
	s_load_b32 s39, s[2:3], 0x0
.LBB127_3:
	s_and_not1_b32 vcc_lo, exec_lo, s4
	s_cbranch_vccnz .LBB127_5
; %bb.4:
	s_wait_xcnt 0x0
	s_load_b32 s3, s[2:3], 0x4
.LBB127_5:
	s_clause 0x4
	s_load_b64 s[28:29], s[0:1], 0x80
	s_load_b256 s[4:11], s[0:1], 0x58
	s_load_b128 s[24:27], s[0:1], 0x40
	s_load_b64 s[36:37], s[0:1], 0x10
	s_load_b256 s[12:19], s[0:1], 0x20
	s_bitcmp1_b32 s33, 8
	s_wait_xcnt 0x0
	s_cselect_b32 s2, -1, 0
	s_bfe_u32 s38, s33, 0x10008
	s_mov_b32 s33, 0
	s_cmp_eq_u32 s38, 0
	s_mov_b32 s38, 0
	s_cbranch_scc1 .LBB127_11
; %bb.6:
	v_cmp_ne_u32_e32 vcc_lo, 1, v1
	s_mov_b32 s33, s30
	s_cbranch_vccnz .LBB127_8
; %bb.7:
	s_load_b32 s33, s[30:31], 0x0
.LBB127_8:
	v_cmp_ne_u32_e32 vcc_lo, 1, v1
	s_cbranch_vccnz .LBB127_10
; %bb.9:
	s_wait_xcnt 0x0
	s_load_b32 s31, s[30:31], 0x4
.LBB127_10:
	s_wait_kmcnt 0x0
	s_mov_b32 s38, s31
.LBB127_11:
	s_load_b64 s[30:31], s[0:1], 0x0
	v_lshl_add_u32 v20, v0, 3, 0
	v_or_b32_e32 v21, 0xfffffe00, v0
	v_mov_b32_e32 v1, 0
	s_wait_xcnt 0x0
	s_mov_b32 s0, 0
	s_delay_alu instid0(VALU_DEP_2)
	v_dual_mov_b32 v4, v20 :: v_dual_mov_b32 v5, v21
	s_wait_kmcnt 0x0
	v_mov_b64_e32 v[2:3], s[30:31]
.LBB127_12:                             ; =>This Inner Loop Header: Depth=1
	s_delay_alu instid0(VALU_DEP_2)
	v_add_co_u32 v5, s1, 0x200, v5
	s_xor_b32 s1, s1, -1
	v_add_nc_u32_e32 v6, 0x2000, v4
	ds_store_b64 v4, v[2:3]
	v_add_nc_u32_e32 v4, 0x1000, v4
	s_and_b32 s1, exec_lo, s1
	s_delay_alu instid0(SALU_CYCLE_1)
	s_or_b32 s0, s1, s0
	ds_store_2addr_b32 v6, v1, v1 offset1:1
	s_and_not1_b32 exec_lo, exec_lo, s0
	s_cbranch_execnz .LBB127_12
; %bb.13:
	s_or_b32 exec_lo, exec_lo, s0
	s_wait_dscnt 0x0
	s_barrier_signal -1
	s_barrier_wait -1
	s_load_b64 s[0:1], s[34:35], 0x0
	s_wait_xcnt 0x0
	s_bfe_u32 s34, ttmp6, 0x4000c
	s_and_b32 s35, ttmp6, 15
	s_add_co_i32 s34, s34, 1
	s_getreg_b32 s41, hwreg(HW_REG_IB_STS2, 6, 4)
	s_mul_i32 s34, ttmp9, s34
	s_delay_alu instid0(SALU_CYCLE_1)
	s_add_co_i32 s35, s35, s34
	s_wait_kmcnt 0x0
	s_lshl_b64 s[0:1], s[0:1], 3
	s_cmp_eq_u32 s41, 0
	s_add_nc_u64 s[0:1], s[36:37], s[0:1]
	s_cselect_b32 s34, ttmp9, s35
	s_and_b32 vcc_lo, exec_lo, s40
	s_load_b64 s[34:35], s[0:1], s34 offset:0x0 scale_offset
	s_wait_xcnt 0x0
	s_mov_b32 s1, 0
	s_cbranch_vccz .LBB127_33
; %bb.14:
	s_wait_kmcnt 0x0
	s_lshl_b64 s[36:37], s[34:35], 3
	v_dual_mov_b32 v5, 0 :: v_dual_lshrrev_b32 v4, 5, v0
	s_add_nc_u64 s[12:13], s[12:13], s[36:37]
	s_mov_b32 s0, s20
	s_load_b128 s[40:43], s[12:13], 0x0
	s_mov_b32 s20, exec_lo
	v_sub_nc_u64_e64 v[2:3], v[4:5], s[0:1]
	s_wait_kmcnt 0x0
	s_delay_alu instid0(VALU_DEP_1)
	v_add_nc_u64_e32 v[2:3], s[40:41], v[2:3]
	s_sub_nc_u64 s[12:13], s[42:43], s[0:1]
	s_delay_alu instid0(VALU_DEP_1) | instid1(SALU_CYCLE_1)
	v_cmpx_gt_i64_e64 s[12:13], v[2:3]
	s_cbranch_execz .LBB127_32
; %bb.15:
	v_and_b32_e32 v4, 31, v0
	s_mov_b32 s37, 0
	s_mov_b32 s36, s21
	;; [unrolled: 1-line block ×3, first 2 shown]
	s_delay_alu instid0(VALU_DEP_1)
	v_sub_nc_u64_e64 v[4:5], v[4:5], s[36:37]
	s_branch .LBB127_17
.LBB127_16:                             ;   in Loop: Header=BB127_17 Depth=1
	s_or_b32 exec_lo, exec_lo, s40
	v_add_nc_u64_e32 v[2:3], 16, v[2:3]
	s_delay_alu instid0(VALU_DEP_1) | instskip(SKIP_1) | instid1(SALU_CYCLE_1)
	v_cmp_le_i64_e32 vcc_lo, s[12:13], v[2:3]
	s_or_b32 s21, vcc_lo, s21
	s_and_not1_b32 exec_lo, exec_lo, s21
	s_cbranch_execz .LBB127_32
.LBB127_17:                             ; =>This Loop Header: Depth=1
                                        ;     Child Loop BB127_21 Depth 2
                                        ;       Child Loop BB127_24 Depth 3
	v_lshl_add_u64 v[6:7], v[2:3], 3, s[14:15]
	s_mov_b32 s40, exec_lo
	global_load_b64 v[6:7], v[6:7], off
	s_wait_loadcnt 0x0
	s_wait_xcnt 0x0
	v_sub_nc_u64_e64 v[6:7], v[6:7], s[0:1]
	s_delay_alu instid0(VALU_DEP_1)
	v_lshl_add_u64 v[6:7], v[6:7], 3, s[18:19]
	global_load_b128 v[8:11], v[6:7], off
	s_wait_loadcnt 0x0
	s_wait_xcnt 0x0
	v_sub_nc_u64_e64 v[6:7], v[10:11], s[36:37]
	v_add_nc_u64_e32 v[8:9], v[8:9], v[4:5]
	s_delay_alu instid0(VALU_DEP_1)
	v_cmpx_lt_i64_e64 v[8:9], v[6:7]
	s_cbranch_execz .LBB127_16
; %bb.18:                               ;   in Loop: Header=BB127_17 Depth=1
	v_lshl_add_u64 v[10:11], v[2:3], 3, s[16:17]
	s_mov_b32 s41, 0
	global_load_b64 v[10:11], v[10:11], off
	s_wait_loadcnt 0x0
	v_mul_f32_e64 v1, v11, -s3
	s_delay_alu instid0(VALU_DEP_1) | instskip(NEXT) | instid1(VALU_DEP_1)
	v_dual_mul_f32 v22, s39, v11 :: v_dual_fmac_f32 v1, s39, v10
	v_fmac_f32_e32 v22, s3, v10
	s_branch .LBB127_21
.LBB127_19:                             ;   in Loop: Header=BB127_21 Depth=2
	s_or_b32 exec_lo, exec_lo, s43
.LBB127_20:                             ;   in Loop: Header=BB127_21 Depth=2
	s_delay_alu instid0(SALU_CYCLE_1) | instskip(SKIP_4) | instid1(VALU_DEP_3)
	s_or_b32 exec_lo, exec_lo, s42
	s_wait_loadcnt 0x0
	v_dual_mul_f32 v13, v11, -v22 :: v_dual_mul_f32 v11, v1, v11
	v_lshl_add_u32 v12, v12, 3, 0
	v_add_nc_u64_e32 v[8:9], 32, v[8:9]
	v_dual_fmac_f32 v13, v1, v10 :: v_dual_fmac_f32 v11, v22, v10
	ds_add_f32 v12, v13 offset:8192
	ds_add_f32 v12, v11 offset:8196
	v_cmp_ge_i64_e32 vcc_lo, v[8:9], v[6:7]
	s_or_b32 s41, vcc_lo, s41
	s_delay_alu instid0(SALU_CYCLE_1)
	s_and_not1_b32 exec_lo, exec_lo, s41
	s_cbranch_execz .LBB127_16
.LBB127_21:                             ;   Parent Loop BB127_17 Depth=1
                                        ; =>  This Loop Header: Depth=2
                                        ;       Child Loop BB127_24 Depth 3
	s_wait_xcnt 0x0
	v_lshlrev_b64_e32 v[10:11], 3, v[8:9]
	s_mov_b32 s42, exec_lo
	s_delay_alu instid0(VALU_DEP_1)
	v_add_nc_u64_e32 v[12:13], s[24:25], v[10:11]
	v_add_nc_u64_e32 v[10:11], s[26:27], v[10:11]
	global_load_b64 v[12:13], v[12:13], off
	global_load_b64 v[10:11], v[10:11], off
	s_wait_loadcnt 0x1
	v_sub_nc_u64_e64 v[14:15], v[12:13], s[36:37]
	s_wait_xcnt 0x1
	s_delay_alu instid0(VALU_DEP_1) | instskip(NEXT) | instid1(VALU_DEP_1)
	v_mul_lo_u32 v12, 0x89, v14
	v_and_b32_e32 v12, 0x3ff, v12
	s_delay_alu instid0(VALU_DEP_1)
	v_lshl_add_u32 v23, v12, 3, 0
	ds_load_b64 v[18:19], v23
	s_wait_dscnt 0x0
	s_wait_xcnt 0x0
	v_cmpx_ne_u64_e64 v[18:19], v[14:15]
	s_cbranch_execz .LBB127_20
; %bb.22:                               ;   in Loop: Header=BB127_21 Depth=2
	s_mov_b32 s43, 0
                                        ; implicit-def: $sgpr44
                                        ; implicit-def: $sgpr45
	s_branch .LBB127_24
.LBB127_23:                             ;   in Loop: Header=BB127_24 Depth=3
	s_or_b32 exec_lo, exec_lo, s48
	s_delay_alu instid0(SALU_CYCLE_1) | instskip(NEXT) | instid1(SALU_CYCLE_1)
	s_and_b32 s46, exec_lo, s47
	s_or_b32 s43, s46, s43
	s_and_not1_b32 s44, s44, exec_lo
	s_and_b32 s46, s45, exec_lo
	s_delay_alu instid0(SALU_CYCLE_1)
	s_or_b32 s44, s44, s46
	s_and_not1_b32 exec_lo, exec_lo, s43
	s_cbranch_execz .LBB127_30
.LBB127_24:                             ;   Parent Loop BB127_17 Depth=1
                                        ;     Parent Loop BB127_21 Depth=2
                                        ; =>    This Inner Loop Header: Depth=3
	v_mov_b64_e32 v[16:17], v[12:13]
	s_mov_b32 s46, 0
	s_mov_b32 s47, exec_lo
                                        ; implicit-def: $vgpr12_vgpr13
	v_cmpx_ne_u64_e64 s[30:31], v[18:19]
	s_xor_b32 s47, exec_lo, s47
; %bb.25:                               ;   in Loop: Header=BB127_24 Depth=3
	s_delay_alu instid0(VALU_DEP_2) | instskip(SKIP_1) | instid1(VALU_DEP_1)
	v_add_nc_u32_e32 v12, 1, v16
	s_mov_b32 s46, exec_lo
                                        ; implicit-def: $vgpr23
	v_and_b32_e32 v12, 0x3ff, v12
; %bb.26:                               ;   in Loop: Header=BB127_24 Depth=3
	s_and_not1_saveexec_b32 s47, s47
	s_cbranch_execz .LBB127_28
; %bb.27:                               ;   in Loop: Header=BB127_24 Depth=3
	v_mov_b64_e32 v[12:13], s[30:31]
	s_and_not1_b32 s46, s46, exec_lo
	ds_cmpstore_rtn_b64 v[12:13], v23, v[14:15], v[12:13]
	s_wait_dscnt 0x0
	v_cmp_ne_u64_e32 vcc_lo, s[30:31], v[12:13]
	v_mov_b64_e32 v[12:13], v[16:17]
	s_and_b32 s48, vcc_lo, exec_lo
	s_delay_alu instid0(SALU_CYCLE_1)
	s_or_b32 s46, s46, s48
.LBB127_28:                             ;   in Loop: Header=BB127_24 Depth=3
	s_or_b32 exec_lo, exec_lo, s47
	s_mov_b32 s47, -1
	s_or_b32 s45, s45, exec_lo
                                        ; implicit-def: $vgpr23
                                        ; implicit-def: $vgpr18_vgpr19
	s_and_saveexec_b32 s48, s46
	s_cbranch_execz .LBB127_23
; %bb.29:                               ;   in Loop: Header=BB127_24 Depth=3
	v_lshl_add_u32 v23, v12, 3, 0
	s_and_not1_b32 s45, s45, exec_lo
	ds_load_b64 v[18:19], v23
	s_wait_dscnt 0x0
	v_cmp_eq_u64_e32 vcc_lo, v[18:19], v[14:15]
	s_or_not1_b32 s47, vcc_lo, exec_lo
	s_branch .LBB127_23
.LBB127_30:                             ;   in Loop: Header=BB127_21 Depth=2
	s_or_b32 exec_lo, exec_lo, s43
	s_and_saveexec_b32 s43, s44
	s_delay_alu instid0(SALU_CYCLE_1)
	s_xor_b32 s43, exec_lo, s43
	s_cbranch_execz .LBB127_19
; %bb.31:                               ;   in Loop: Header=BB127_21 Depth=2
	v_mov_b32_e32 v12, v16
	s_branch .LBB127_19
.LBB127_32:
	s_or_b32 exec_lo, exec_lo, s20
.LBB127_33:
	s_delay_alu instid0(SALU_CYCLE_1)
	s_and_not1_b32 vcc_lo, exec_lo, s2
	s_cbranch_vccnz .LBB127_50
; %bb.34:
	s_wait_kmcnt 0x0
	s_lshl_b64 s[0:1], s[34:35], 3
	v_mov_b32_e32 v1, 0
	s_add_nc_u64 s[0:1], s[4:5], s[0:1]
	s_mov_b32 s4, exec_lo
	s_load_b128 s[12:15], s[0:1], 0x0
	s_wait_xcnt 0x0
	s_mov_b32 s1, 0
	s_mov_b32 s0, s23
	s_delay_alu instid0(SALU_CYCLE_1) | instskip(SKIP_1) | instid1(VALU_DEP_1)
	v_sub_nc_u64_e64 v[2:3], v[0:1], s[0:1]
	s_wait_kmcnt 0x0
	v_add_nc_u64_e32 v[2:3], s[12:13], v[2:3]
	s_sub_nc_u64 s[2:3], s[14:15], s[0:1]
	s_delay_alu instid0(VALU_DEP_1) | instid1(SALU_CYCLE_1)
	v_cmpx_gt_i64_e64 s[2:3], v[2:3]
	s_cbranch_execz .LBB127_49
; %bb.35:
	s_mov_b32 s5, s1
	s_branch .LBB127_38
.LBB127_36:                             ;   in Loop: Header=BB127_38 Depth=1
	s_or_b32 exec_lo, exec_lo, s13
.LBB127_37:                             ;   in Loop: Header=BB127_38 Depth=1
	s_delay_alu instid0(SALU_CYCLE_1)
	s_or_b32 exec_lo, exec_lo, s12
	s_wait_loadcnt 0x0
	v_mul_f32_e64 v1, v5, -s38
	v_mul_f32_e32 v5, s33, v5
	v_lshl_add_u32 v6, v6, 3, 0
	v_add_nc_u64_e32 v[2:3], 0x200, v[2:3]
	s_delay_alu instid0(VALU_DEP_4) | instskip(NEXT) | instid1(VALU_DEP_4)
	v_fmac_f32_e32 v1, s33, v4
	v_fmac_f32_e32 v5, s38, v4
	ds_add_f32 v6, v1 offset:8192
	ds_add_f32 v6, v5 offset:8196
	v_cmp_le_i64_e32 vcc_lo, s[2:3], v[2:3]
	s_or_b32 s5, vcc_lo, s5
	s_delay_alu instid0(SALU_CYCLE_1)
	s_and_not1_b32 exec_lo, exec_lo, s5
	s_cbranch_execz .LBB127_49
.LBB127_38:                             ; =>This Loop Header: Depth=1
                                        ;     Child Loop BB127_41 Depth 2
	v_lshlrev_b64_e32 v[4:5], 3, v[2:3]
	s_mov_b32 s12, exec_lo
	s_delay_alu instid0(VALU_DEP_1)
	v_add_nc_u64_e32 v[6:7], s[6:7], v[4:5]
	v_add_nc_u64_e32 v[4:5], s[8:9], v[4:5]
	global_load_b64 v[6:7], v[6:7], off
	global_load_b64 v[4:5], v[4:5], off
	s_wait_loadcnt 0x1
	v_sub_nc_u64_e64 v[8:9], v[6:7], s[0:1]
	s_delay_alu instid0(VALU_DEP_1) | instskip(NEXT) | instid1(VALU_DEP_1)
	v_mul_lo_u32 v1, 0x89, v8
	v_and_b32_e32 v6, 0x3ff, v1
	s_delay_alu instid0(VALU_DEP_1)
	v_lshl_add_u32 v1, v6, 3, 0
	ds_load_b64 v[12:13], v1
	s_wait_dscnt 0x0
	s_wait_xcnt 0x0
	v_cmpx_ne_u64_e64 v[12:13], v[8:9]
	s_cbranch_execz .LBB127_37
; %bb.39:                               ;   in Loop: Header=BB127_38 Depth=1
	s_mov_b32 s13, 0
                                        ; implicit-def: $sgpr14
                                        ; implicit-def: $sgpr15
	s_branch .LBB127_41
.LBB127_40:                             ;   in Loop: Header=BB127_41 Depth=2
	s_or_b32 exec_lo, exec_lo, s18
	s_delay_alu instid0(SALU_CYCLE_1) | instskip(NEXT) | instid1(SALU_CYCLE_1)
	s_and_b32 s16, exec_lo, s17
	s_or_b32 s13, s16, s13
	s_and_not1_b32 s14, s14, exec_lo
	s_and_b32 s16, s15, exec_lo
	s_delay_alu instid0(SALU_CYCLE_1)
	s_or_b32 s14, s14, s16
	s_and_not1_b32 exec_lo, exec_lo, s13
	s_cbranch_execz .LBB127_47
.LBB127_41:                             ;   Parent Loop BB127_38 Depth=1
                                        ; =>  This Inner Loop Header: Depth=2
	v_mov_b64_e32 v[10:11], v[6:7]
	s_mov_b32 s16, 0
	s_mov_b32 s17, exec_lo
                                        ; implicit-def: $vgpr6_vgpr7
	v_cmpx_ne_u64_e64 s[30:31], v[12:13]
	s_xor_b32 s17, exec_lo, s17
; %bb.42:                               ;   in Loop: Header=BB127_41 Depth=2
	s_delay_alu instid0(VALU_DEP_2) | instskip(SKIP_1) | instid1(VALU_DEP_1)
	v_add_nc_u32_e32 v1, 1, v10
	s_mov_b32 s16, exec_lo
	v_and_b32_e32 v6, 0x3ff, v1
                                        ; implicit-def: $vgpr1
; %bb.43:                               ;   in Loop: Header=BB127_41 Depth=2
	s_and_not1_saveexec_b32 s17, s17
	s_cbranch_execz .LBB127_45
; %bb.44:                               ;   in Loop: Header=BB127_41 Depth=2
	v_mov_b64_e32 v[6:7], s[30:31]
	s_and_not1_b32 s16, s16, exec_lo
	ds_cmpstore_rtn_b64 v[6:7], v1, v[8:9], v[6:7]
	s_wait_dscnt 0x0
	v_cmp_ne_u64_e32 vcc_lo, s[30:31], v[6:7]
	v_mov_b64_e32 v[6:7], v[10:11]
	s_and_b32 s18, vcc_lo, exec_lo
	s_delay_alu instid0(SALU_CYCLE_1)
	s_or_b32 s16, s16, s18
.LBB127_45:                             ;   in Loop: Header=BB127_41 Depth=2
	s_or_b32 exec_lo, exec_lo, s17
	s_mov_b32 s17, -1
	s_or_b32 s15, s15, exec_lo
                                        ; implicit-def: $vgpr1
                                        ; implicit-def: $vgpr12_vgpr13
	s_and_saveexec_b32 s18, s16
	s_cbranch_execz .LBB127_40
; %bb.46:                               ;   in Loop: Header=BB127_41 Depth=2
	v_lshl_add_u32 v1, v6, 3, 0
	s_and_not1_b32 s15, s15, exec_lo
	ds_load_b64 v[12:13], v1
	s_wait_dscnt 0x0
	v_cmp_eq_u64_e32 vcc_lo, v[12:13], v[8:9]
	s_or_not1_b32 s17, vcc_lo, exec_lo
	s_branch .LBB127_40
.LBB127_47:                             ;   in Loop: Header=BB127_38 Depth=1
	s_or_b32 exec_lo, exec_lo, s13
	s_and_saveexec_b32 s13, s14
	s_delay_alu instid0(SALU_CYCLE_1)
	s_xor_b32 s13, exec_lo, s13
	s_cbranch_execz .LBB127_36
; %bb.48:                               ;   in Loop: Header=BB127_38 Depth=1
	v_mov_b32_e32 v6, v10
	s_branch .LBB127_36
.LBB127_49:
	s_or_b32 exec_lo, exec_lo, s4
.LBB127_50:
	v_mbcnt_lo_u32_b32 v1, -1, 0
	v_dual_mov_b32 v3, 0 :: v_dual_lshrrev_b32 v2, 3, v0
	v_mov_b64_e32 v[6:7], 0
	v_cmp_lt_u32_e64 s0, 63, v0
	s_delay_alu instid0(VALU_DEP_4) | instskip(NEXT) | instid1(VALU_DEP_4)
	v_xor_b32_e32 v1, 31, v1
	v_and_b32_e32 v2, 56, v2
	v_cmp_lt_u32_e64 s1, 0x7f, v0
	v_cmp_lt_u32_e64 s2, 0xbf, v0
	;; [unrolled: 1-line block ×3, first 2 shown]
	v_lshrrev_b32_e64 v4, v1, -1
	v_add_nc_u32_e32 v1, 0, v2
	v_cmp_lt_u32_e64 s4, 0x13f, v0
	v_cmp_lt_u32_e64 s5, 0x17f, v0
	;; [unrolled: 1-line block ×3, first 2 shown]
	s_mov_b32 s8, 0
	s_wait_dscnt 0x0
	v_cmp_eq_u32_e32 vcc_lo, 0x1ff, v0
	s_barrier_signal -1
	s_barrier_wait -1
	s_branch .LBB127_52
.LBB127_51:                             ;   in Loop: Header=BB127_52 Depth=1
	s_or_b32 exec_lo, exec_lo, s7
	s_wait_dscnt 0x0
	s_barrier_signal -1
	s_barrier_wait -1
	ds_load_b64 v[8:9], v3 offset:16440
	v_add_co_u32 v21, s7, 0x200, v21
	s_xor_b32 s7, s7, -1
	v_add_nc_u32_e32 v20, 0x1000, v20
	s_and_b32 s7, exec_lo, s7
	s_delay_alu instid0(SALU_CYCLE_1)
	s_or_b32 s8, s7, s8
	s_wait_dscnt 0x0
	v_add_nc_u64_e32 v[6:7], v[8:9], v[6:7]
	s_and_not1_b32 exec_lo, exec_lo, s8
	s_cbranch_execz .LBB127_70
.LBB127_52:                             ; =>This Inner Loop Header: Depth=1
	ds_load_b64 v[8:9], v20
	v_add_nc_u32_e32 v2, 0x2000, v20
	ds_load_2addr_b32 v[10:11], v2 offset1:1
	s_wait_dscnt 0x0
	s_barrier_signal -1
	s_barrier_wait -1
	v_cmp_gt_i64_e64 s7, s[30:31], v[8:9]
	s_bcnt1_i32_b32 s9, s7
	s_delay_alu instid0(SALU_CYCLE_1) | instskip(NEXT) | instid1(VALU_DEP_1)
	v_dual_mov_b32 v2, s9 :: v_dual_bitop2_b32 v5, s7, v4 bitop3:0x40
	v_bcnt_u32_b32 v12, v5, 0
	ds_store_b64 v1, v[2:3] offset:16384
	s_wait_dscnt 0x0
	s_barrier_signal -1
	s_barrier_wait -1
	s_and_saveexec_b32 s9, s0
	s_cbranch_execnz .LBB127_61
; %bb.53:                               ;   in Loop: Header=BB127_52 Depth=1
	s_or_b32 exec_lo, exec_lo, s9
	s_and_saveexec_b32 s9, s1
	s_cbranch_execnz .LBB127_62
.LBB127_54:                             ;   in Loop: Header=BB127_52 Depth=1
	s_or_b32 exec_lo, exec_lo, s9
	s_and_saveexec_b32 s9, s2
	s_cbranch_execnz .LBB127_63
.LBB127_55:                             ;   in Loop: Header=BB127_52 Depth=1
	s_or_b32 exec_lo, exec_lo, s9
	s_and_saveexec_b32 s9, s3
	s_cbranch_execnz .LBB127_64
.LBB127_56:                             ;   in Loop: Header=BB127_52 Depth=1
	s_or_b32 exec_lo, exec_lo, s9
	s_and_saveexec_b32 s9, s4
	s_cbranch_execnz .LBB127_65
.LBB127_57:                             ;   in Loop: Header=BB127_52 Depth=1
	s_or_b32 exec_lo, exec_lo, s9
	s_and_saveexec_b32 s9, s5
	s_cbranch_execnz .LBB127_66
.LBB127_58:                             ;   in Loop: Header=BB127_52 Depth=1
	s_or_b32 exec_lo, exec_lo, s9
	s_and_saveexec_b32 s9, s6
	s_cbranch_execnz .LBB127_67
.LBB127_59:                             ;   in Loop: Header=BB127_52 Depth=1
	s_or_b32 exec_lo, exec_lo, s9
	v_ashrrev_i32_e32 v13, 31, v12
	s_and_saveexec_b32 s9, s7
	s_cbranch_execnz .LBB127_68
.LBB127_60:                             ;   in Loop: Header=BB127_52 Depth=1
	s_or_b32 exec_lo, exec_lo, s9
	s_and_saveexec_b32 s7, vcc_lo
	s_cbranch_execz .LBB127_51
	s_branch .LBB127_69
.LBB127_61:                             ;   in Loop: Header=BB127_52 Depth=1
	ds_load_b32 v2, v3 offset:16384
	s_wait_dscnt 0x0
	v_add_nc_u32_e32 v12, v2, v12
	s_or_b32 exec_lo, exec_lo, s9
	s_and_saveexec_b32 s9, s1
	s_cbranch_execz .LBB127_54
.LBB127_62:                             ;   in Loop: Header=BB127_52 Depth=1
	ds_load_b32 v2, v3 offset:16392
	s_wait_dscnt 0x0
	v_add_nc_u32_e32 v12, v12, v2
	s_or_b32 exec_lo, exec_lo, s9
	s_and_saveexec_b32 s9, s2
	s_cbranch_execz .LBB127_55
.LBB127_63:                             ;   in Loop: Header=BB127_52 Depth=1
	ds_load_b32 v2, v3 offset:16400
	s_wait_dscnt 0x0
	v_add_nc_u32_e32 v12, v12, v2
	s_or_b32 exec_lo, exec_lo, s9
	s_and_saveexec_b32 s9, s3
	s_cbranch_execz .LBB127_56
.LBB127_64:                             ;   in Loop: Header=BB127_52 Depth=1
	ds_load_b32 v2, v3 offset:16408
	s_wait_dscnt 0x0
	v_add_nc_u32_e32 v12, v12, v2
	s_or_b32 exec_lo, exec_lo, s9
	s_and_saveexec_b32 s9, s4
	s_cbranch_execz .LBB127_57
.LBB127_65:                             ;   in Loop: Header=BB127_52 Depth=1
	ds_load_b32 v2, v3 offset:16416
	s_wait_dscnt 0x0
	v_add_nc_u32_e32 v12, v12, v2
	s_or_b32 exec_lo, exec_lo, s9
	s_and_saveexec_b32 s9, s5
	s_cbranch_execz .LBB127_58
.LBB127_66:                             ;   in Loop: Header=BB127_52 Depth=1
	ds_load_b32 v2, v3 offset:16424
	s_wait_dscnt 0x0
	v_add_nc_u32_e32 v12, v12, v2
	s_or_b32 exec_lo, exec_lo, s9
	s_and_saveexec_b32 s9, s6
	s_cbranch_execz .LBB127_59
.LBB127_67:                             ;   in Loop: Header=BB127_52 Depth=1
	ds_load_b32 v2, v3 offset:16432
	s_wait_dscnt 0x0
	v_add_nc_u32_e32 v12, v12, v2
	s_or_b32 exec_lo, exec_lo, s9
	s_delay_alu instid0(VALU_DEP_1)
	v_ashrrev_i32_e32 v13, 31, v12
	s_and_saveexec_b32 s9, s7
	s_cbranch_execz .LBB127_60
.LBB127_68:                             ;   in Loop: Header=BB127_52 Depth=1
	v_add3_u32 v2, v6, -1, v12
	v_add_lshl_u32 v5, v6, v12, 3
	s_delay_alu instid0(VALU_DEP_2) | instskip(NEXT) | instid1(VALU_DEP_2)
	v_lshl_add_u32 v2, v2, 3, 0
	v_add3_u32 v5, 0, v5, 0x1ff8
	ds_store_b64 v2, v[8:9]
	ds_store_2addr_b32 v5, v10, v11 offset1:1
	s_or_b32 exec_lo, exec_lo, s9
	s_and_saveexec_b32 s7, vcc_lo
	s_cbranch_execz .LBB127_51
.LBB127_69:                             ;   in Loop: Header=BB127_52 Depth=1
	ds_store_b64 v3, v[12:13] offset:16440
	s_branch .LBB127_51
.LBB127_70:
	s_or_b32 exec_lo, exec_lo, s8
	s_wait_kmcnt 0x0
	s_lshl_b64 s[0:1], s[34:35], 3
	v_mov_b32_e32 v1, 0
	s_add_nc_u64 s[4:5], s[10:11], s[0:1]
	s_mov_b32 s6, exec_lo
	s_load_b128 s[0:3], s[4:5], 0x0
	s_wait_kmcnt 0x0
	s_sub_nc_u64 s[4:5], s[2:3], s[0:1]
	s_delay_alu instid0(SALU_CYCLE_1)
	v_cmpx_gt_i64_e64 s[4:5], v[0:1]
	s_cbranch_execz .LBB127_80
; %bb.71:
	s_sub_nc_u64 s[8:9], s[0:1], s[2:3]
	s_and_b64 s[6:7], s[4:5], 7
	v_cmp_lt_u64_e64 s10, s[8:9], -7
	s_and_b64 s[2:3], s[4:5], -8
	s_mov_b32 s23, 0
	s_cmp_lg_u64 s[6:7], 0
	s_sub_nc_u64 s[0:1], s[0:1], s[22:23]
	s_cselect_b32 s11, -1, 0
	s_mov_b32 s12, 0
	s_branch .LBB127_73
.LBB127_72:                             ;   in Loop: Header=BB127_73 Depth=1
	v_add_nc_u64_e32 v[0:1], 0x200, v[0:1]
	s_wait_dscnt 0x1
	s_delay_alu instid0(VALU_DEP_2)
	v_lshl_add_u64 v[4:5], v[6:7], 3, s[28:29]
	s_wait_dscnt 0x0
	global_store_b64 v[4:5], v[2:3], off
	v_cmp_le_i64_e32 vcc_lo, s[4:5], v[0:1]
	s_or_b32 s12, vcc_lo, s12
	s_wait_xcnt 0x0
	s_and_not1_b32 exec_lo, exec_lo, s12
	s_cbranch_execz .LBB127_80
.LBB127_73:                             ; =>This Loop Header: Depth=1
                                        ;     Child Loop BB127_75 Depth 2
                                        ;     Child Loop BB127_79 Depth 2
	v_lshl_add_u32 v2, v0, 3, 0
	v_mov_b64_e32 v[6:7], s[0:1]
	s_and_not1_b32 vcc_lo, exec_lo, s10
	s_mov_b64 s[8:9], 0
	s_delay_alu instid0(VALU_DEP_2)
	v_add_nc_u32_e32 v3, 0x2000, v2
	ds_load_b64 v[4:5], v2
	ds_load_2addr_b32 v[2:3], v3 offset1:1
	s_cbranch_vccnz .LBB127_77
; %bb.74:                               ;   in Loop: Header=BB127_73 Depth=1
	v_mov_b64_e32 v[6:7], s[0:1]
	s_mov_b32 s13, 0
.LBB127_75:                             ;   Parent Loop BB127_73 Depth=1
                                        ; =>  This Inner Loop Header: Depth=2
	s_delay_alu instid0(SALU_CYCLE_1)
	v_dual_mov_b32 v20, s13 :: v_dual_mov_b32 v17, s23
	v_mov_b32_e32 v19, s23
	s_add_nc_u64 s[8:9], s[8:9], 8
	s_add_co_i32 s13, s13, 64
	ds_load_2addr_b64 v[8:11], v20 offset1:1
	ds_load_2addr_b64 v[12:15], v20 offset0:2 offset1:3
	s_cmp_eq_u64 s[2:3], s[8:9]
	s_wait_dscnt 0x1
	v_cmp_gt_i64_e32 vcc_lo, v[4:5], v[8:9]
	v_cndmask_b32_e64 v16, 0, 1, vcc_lo
	v_cmp_gt_i64_e32 vcc_lo, v[4:5], v[10:11]
	s_delay_alu instid0(VALU_DEP_2) | instskip(SKIP_4) | instid1(VALU_DEP_2)
	v_add_nc_u64_e32 v[10:11], v[6:7], v[16:17]
	ds_load_2addr_b64 v[6:9], v20 offset0:4 offset1:5
	v_cndmask_b32_e64 v18, 0, 1, vcc_lo
	s_wait_dscnt 0x1
	v_cmp_gt_i64_e32 vcc_lo, v[4:5], v[12:13]
	v_add_nc_u64_e32 v[10:11], v[10:11], v[18:19]
	v_cndmask_b32_e64 v16, 0, 1, vcc_lo
	v_cmp_gt_i64_e32 vcc_lo, v[4:5], v[14:15]
	s_delay_alu instid0(VALU_DEP_2)
	v_add_nc_u64_e32 v[14:15], v[10:11], v[16:17]
	ds_load_2addr_b64 v[10:13], v20 offset0:6 offset1:7
	v_cndmask_b32_e64 v18, 0, 1, vcc_lo
	s_wait_dscnt 0x1
	v_cmp_gt_i64_e32 vcc_lo, v[4:5], v[6:7]
	v_mov_b32_e32 v7, s23
	s_delay_alu instid0(VALU_DEP_3) | instskip(SKIP_3) | instid1(VALU_DEP_3)
	v_add_nc_u64_e32 v[14:15], v[14:15], v[18:19]
	v_cndmask_b32_e64 v16, 0, 1, vcc_lo
	v_cmp_gt_i64_e32 vcc_lo, v[4:5], v[8:9]
	v_mov_b32_e32 v9, s23
	v_add_nc_u64_e32 v[14:15], v[14:15], v[16:17]
	v_cndmask_b32_e64 v6, 0, 1, vcc_lo
	s_wait_dscnt 0x0
	v_cmp_gt_i64_e32 vcc_lo, v[4:5], v[10:11]
	v_mov_b32_e32 v11, s23
	s_delay_alu instid0(VALU_DEP_3) | instskip(SKIP_2) | instid1(VALU_DEP_2)
	v_add_nc_u64_e32 v[6:7], v[14:15], v[6:7]
	v_cndmask_b32_e64 v8, 0, 1, vcc_lo
	v_cmp_gt_i64_e32 vcc_lo, v[4:5], v[12:13]
	v_add_nc_u64_e32 v[6:7], v[6:7], v[8:9]
	v_cndmask_b32_e64 v10, 0, 1, vcc_lo
	s_delay_alu instid0(VALU_DEP_1)
	v_add_nc_u64_e32 v[6:7], v[6:7], v[10:11]
	s_cbranch_scc0 .LBB127_75
; %bb.76:                               ;   in Loop: Header=BB127_73 Depth=1
	s_mov_b64 s[8:9], s[2:3]
.LBB127_77:                             ;   in Loop: Header=BB127_73 Depth=1
	s_and_not1_b32 vcc_lo, exec_lo, s11
	s_cbranch_vccnz .LBB127_72
; %bb.78:                               ;   in Loop: Header=BB127_73 Depth=1
	s_lshl_b32 s8, s8, 3
	s_delay_alu instid0(SALU_CYCLE_1)
	s_add_co_i32 s13, s8, 0
	s_mov_b64 s[8:9], s[6:7]
.LBB127_79:                             ;   Parent Loop BB127_73 Depth=1
                                        ; =>  This Inner Loop Header: Depth=2
	v_dual_mov_b32 v8, s13 :: v_dual_mov_b32 v11, s23
	s_add_nc_u64 s[8:9], s[8:9], -1
	s_add_co_i32 s13, s13, 8
	s_cmp_lg_u64 s[8:9], 0
	ds_load_b64 v[8:9], v8
	s_wait_dscnt 0x0
	v_cmp_gt_i64_e32 vcc_lo, v[4:5], v[8:9]
	v_cndmask_b32_e64 v10, 0, 1, vcc_lo
	s_delay_alu instid0(VALU_DEP_1)
	v_add_nc_u64_e32 v[6:7], v[6:7], v[10:11]
	s_cbranch_scc1 .LBB127_79
	s_branch .LBB127_72
.LBB127_80:
	s_endpgm
	.section	.rodata,"a",@progbits
	.p2align	6, 0x0
	.amdhsa_kernel _ZN9rocsparseL41csrgemm_numeric_fill_block_per_row_kernelILj512ELj32ELj1024ELj137ELj64Ell21rocsparse_complex_numIfEEEvT5_PKS3_S5_NS_24const_host_device_scalarIT6_EEPKT4_S5_PKS7_SB_S5_SD_S8_SB_S5_SD_SB_S5_PS7_21rocsparse_index_base_SF_SF_SF_bbb
		.amdhsa_group_segment_fixed_size 0
		.amdhsa_private_segment_fixed_size 0
		.amdhsa_kernarg_size 156
		.amdhsa_user_sgpr_count 2
		.amdhsa_user_sgpr_dispatch_ptr 0
		.amdhsa_user_sgpr_queue_ptr 0
		.amdhsa_user_sgpr_kernarg_segment_ptr 1
		.amdhsa_user_sgpr_dispatch_id 0
		.amdhsa_user_sgpr_kernarg_preload_length 0
		.amdhsa_user_sgpr_kernarg_preload_offset 0
		.amdhsa_user_sgpr_private_segment_size 0
		.amdhsa_wavefront_size32 1
		.amdhsa_uses_dynamic_stack 0
		.amdhsa_enable_private_segment 0
		.amdhsa_system_sgpr_workgroup_id_x 1
		.amdhsa_system_sgpr_workgroup_id_y 0
		.amdhsa_system_sgpr_workgroup_id_z 0
		.amdhsa_system_sgpr_workgroup_info 0
		.amdhsa_system_vgpr_workitem_id 0
		.amdhsa_next_free_vgpr 24
		.amdhsa_next_free_sgpr 49
		.amdhsa_named_barrier_count 0
		.amdhsa_reserve_vcc 1
		.amdhsa_float_round_mode_32 0
		.amdhsa_float_round_mode_16_64 0
		.amdhsa_float_denorm_mode_32 3
		.amdhsa_float_denorm_mode_16_64 3
		.amdhsa_fp16_overflow 0
		.amdhsa_memory_ordered 1
		.amdhsa_forward_progress 1
		.amdhsa_inst_pref_size 24
		.amdhsa_round_robin_scheduling 0
		.amdhsa_exception_fp_ieee_invalid_op 0
		.amdhsa_exception_fp_denorm_src 0
		.amdhsa_exception_fp_ieee_div_zero 0
		.amdhsa_exception_fp_ieee_overflow 0
		.amdhsa_exception_fp_ieee_underflow 0
		.amdhsa_exception_fp_ieee_inexact 0
		.amdhsa_exception_int_div_zero 0
	.end_amdhsa_kernel
	.section	.text._ZN9rocsparseL41csrgemm_numeric_fill_block_per_row_kernelILj512ELj32ELj1024ELj137ELj64Ell21rocsparse_complex_numIfEEEvT5_PKS3_S5_NS_24const_host_device_scalarIT6_EEPKT4_S5_PKS7_SB_S5_SD_S8_SB_S5_SD_SB_S5_PS7_21rocsparse_index_base_SF_SF_SF_bbb,"axG",@progbits,_ZN9rocsparseL41csrgemm_numeric_fill_block_per_row_kernelILj512ELj32ELj1024ELj137ELj64Ell21rocsparse_complex_numIfEEEvT5_PKS3_S5_NS_24const_host_device_scalarIT6_EEPKT4_S5_PKS7_SB_S5_SD_S8_SB_S5_SD_SB_S5_PS7_21rocsparse_index_base_SF_SF_SF_bbb,comdat
.Lfunc_end127:
	.size	_ZN9rocsparseL41csrgemm_numeric_fill_block_per_row_kernelILj512ELj32ELj1024ELj137ELj64Ell21rocsparse_complex_numIfEEEvT5_PKS3_S5_NS_24const_host_device_scalarIT6_EEPKT4_S5_PKS7_SB_S5_SD_S8_SB_S5_SD_SB_S5_PS7_21rocsparse_index_base_SF_SF_SF_bbb, .Lfunc_end127-_ZN9rocsparseL41csrgemm_numeric_fill_block_per_row_kernelILj512ELj32ELj1024ELj137ELj64Ell21rocsparse_complex_numIfEEEvT5_PKS3_S5_NS_24const_host_device_scalarIT6_EEPKT4_S5_PKS7_SB_S5_SD_S8_SB_S5_SD_SB_S5_PS7_21rocsparse_index_base_SF_SF_SF_bbb
                                        ; -- End function
	.set _ZN9rocsparseL41csrgemm_numeric_fill_block_per_row_kernelILj512ELj32ELj1024ELj137ELj64Ell21rocsparse_complex_numIfEEEvT5_PKS3_S5_NS_24const_host_device_scalarIT6_EEPKT4_S5_PKS7_SB_S5_SD_S8_SB_S5_SD_SB_S5_PS7_21rocsparse_index_base_SF_SF_SF_bbb.num_vgpr, 24
	.set _ZN9rocsparseL41csrgemm_numeric_fill_block_per_row_kernelILj512ELj32ELj1024ELj137ELj64Ell21rocsparse_complex_numIfEEEvT5_PKS3_S5_NS_24const_host_device_scalarIT6_EEPKT4_S5_PKS7_SB_S5_SD_S8_SB_S5_SD_SB_S5_PS7_21rocsparse_index_base_SF_SF_SF_bbb.num_agpr, 0
	.set _ZN9rocsparseL41csrgemm_numeric_fill_block_per_row_kernelILj512ELj32ELj1024ELj137ELj64Ell21rocsparse_complex_numIfEEEvT5_PKS3_S5_NS_24const_host_device_scalarIT6_EEPKT4_S5_PKS7_SB_S5_SD_S8_SB_S5_SD_SB_S5_PS7_21rocsparse_index_base_SF_SF_SF_bbb.numbered_sgpr, 49
	.set _ZN9rocsparseL41csrgemm_numeric_fill_block_per_row_kernelILj512ELj32ELj1024ELj137ELj64Ell21rocsparse_complex_numIfEEEvT5_PKS3_S5_NS_24const_host_device_scalarIT6_EEPKT4_S5_PKS7_SB_S5_SD_S8_SB_S5_SD_SB_S5_PS7_21rocsparse_index_base_SF_SF_SF_bbb.num_named_barrier, 0
	.set _ZN9rocsparseL41csrgemm_numeric_fill_block_per_row_kernelILj512ELj32ELj1024ELj137ELj64Ell21rocsparse_complex_numIfEEEvT5_PKS3_S5_NS_24const_host_device_scalarIT6_EEPKT4_S5_PKS7_SB_S5_SD_S8_SB_S5_SD_SB_S5_PS7_21rocsparse_index_base_SF_SF_SF_bbb.private_seg_size, 0
	.set _ZN9rocsparseL41csrgemm_numeric_fill_block_per_row_kernelILj512ELj32ELj1024ELj137ELj64Ell21rocsparse_complex_numIfEEEvT5_PKS3_S5_NS_24const_host_device_scalarIT6_EEPKT4_S5_PKS7_SB_S5_SD_S8_SB_S5_SD_SB_S5_PS7_21rocsparse_index_base_SF_SF_SF_bbb.uses_vcc, 1
	.set _ZN9rocsparseL41csrgemm_numeric_fill_block_per_row_kernelILj512ELj32ELj1024ELj137ELj64Ell21rocsparse_complex_numIfEEEvT5_PKS3_S5_NS_24const_host_device_scalarIT6_EEPKT4_S5_PKS7_SB_S5_SD_S8_SB_S5_SD_SB_S5_PS7_21rocsparse_index_base_SF_SF_SF_bbb.uses_flat_scratch, 0
	.set _ZN9rocsparseL41csrgemm_numeric_fill_block_per_row_kernelILj512ELj32ELj1024ELj137ELj64Ell21rocsparse_complex_numIfEEEvT5_PKS3_S5_NS_24const_host_device_scalarIT6_EEPKT4_S5_PKS7_SB_S5_SD_S8_SB_S5_SD_SB_S5_PS7_21rocsparse_index_base_SF_SF_SF_bbb.has_dyn_sized_stack, 0
	.set _ZN9rocsparseL41csrgemm_numeric_fill_block_per_row_kernelILj512ELj32ELj1024ELj137ELj64Ell21rocsparse_complex_numIfEEEvT5_PKS3_S5_NS_24const_host_device_scalarIT6_EEPKT4_S5_PKS7_SB_S5_SD_S8_SB_S5_SD_SB_S5_PS7_21rocsparse_index_base_SF_SF_SF_bbb.has_recursion, 0
	.set _ZN9rocsparseL41csrgemm_numeric_fill_block_per_row_kernelILj512ELj32ELj1024ELj137ELj64Ell21rocsparse_complex_numIfEEEvT5_PKS3_S5_NS_24const_host_device_scalarIT6_EEPKT4_S5_PKS7_SB_S5_SD_S8_SB_S5_SD_SB_S5_PS7_21rocsparse_index_base_SF_SF_SF_bbb.has_indirect_call, 0
	.section	.AMDGPU.csdata,"",@progbits
; Kernel info:
; codeLenInByte = 3048
; TotalNumSgprs: 51
; NumVgprs: 24
; ScratchSize: 0
; MemoryBound: 0
; FloatMode: 240
; IeeeMode: 1
; LDSByteSize: 0 bytes/workgroup (compile time only)
; SGPRBlocks: 0
; VGPRBlocks: 1
; NumSGPRsForWavesPerEU: 51
; NumVGPRsForWavesPerEU: 24
; NamedBarCnt: 0
; Occupancy: 16
; WaveLimiterHint : 1
; COMPUTE_PGM_RSRC2:SCRATCH_EN: 0
; COMPUTE_PGM_RSRC2:USER_SGPR: 2
; COMPUTE_PGM_RSRC2:TRAP_HANDLER: 0
; COMPUTE_PGM_RSRC2:TGID_X_EN: 1
; COMPUTE_PGM_RSRC2:TGID_Y_EN: 0
; COMPUTE_PGM_RSRC2:TGID_Z_EN: 0
; COMPUTE_PGM_RSRC2:TIDIG_COMP_CNT: 0
	.section	.text._ZN9rocsparseL41csrgemm_numeric_fill_block_per_row_kernelILj1024ELj32ELj2048ELj137ELj32Ell21rocsparse_complex_numIfEEEvT5_PKS3_S5_NS_24const_host_device_scalarIT6_EEPKT4_S5_PKS7_SB_S5_SD_S8_SB_S5_SD_SB_S5_PS7_21rocsparse_index_base_SF_SF_SF_bbb,"axG",@progbits,_ZN9rocsparseL41csrgemm_numeric_fill_block_per_row_kernelILj1024ELj32ELj2048ELj137ELj32Ell21rocsparse_complex_numIfEEEvT5_PKS3_S5_NS_24const_host_device_scalarIT6_EEPKT4_S5_PKS7_SB_S5_SD_S8_SB_S5_SD_SB_S5_PS7_21rocsparse_index_base_SF_SF_SF_bbb,comdat
	.globl	_ZN9rocsparseL41csrgemm_numeric_fill_block_per_row_kernelILj1024ELj32ELj2048ELj137ELj32Ell21rocsparse_complex_numIfEEEvT5_PKS3_S5_NS_24const_host_device_scalarIT6_EEPKT4_S5_PKS7_SB_S5_SD_S8_SB_S5_SD_SB_S5_PS7_21rocsparse_index_base_SF_SF_SF_bbb ; -- Begin function _ZN9rocsparseL41csrgemm_numeric_fill_block_per_row_kernelILj1024ELj32ELj2048ELj137ELj32Ell21rocsparse_complex_numIfEEEvT5_PKS3_S5_NS_24const_host_device_scalarIT6_EEPKT4_S5_PKS7_SB_S5_SD_S8_SB_S5_SD_SB_S5_PS7_21rocsparse_index_base_SF_SF_SF_bbb
	.p2align	8
	.type	_ZN9rocsparseL41csrgemm_numeric_fill_block_per_row_kernelILj1024ELj32ELj2048ELj137ELj32Ell21rocsparse_complex_numIfEEEvT5_PKS3_S5_NS_24const_host_device_scalarIT6_EEPKT4_S5_PKS7_SB_S5_SD_S8_SB_S5_SD_SB_S5_PS7_21rocsparse_index_base_SF_SF_SF_bbb,@function
_ZN9rocsparseL41csrgemm_numeric_fill_block_per_row_kernelILj1024ELj32ELj2048ELj137ELj32Ell21rocsparse_complex_numIfEEEvT5_PKS3_S5_NS_24const_host_device_scalarIT6_EEPKT4_S5_PKS7_SB_S5_SD_S8_SB_S5_SD_SB_S5_PS7_21rocsparse_index_base_SF_SF_SF_bbb: ; @_ZN9rocsparseL41csrgemm_numeric_fill_block_per_row_kernelILj1024ELj32ELj2048ELj137ELj32Ell21rocsparse_complex_numIfEEEvT5_PKS3_S5_NS_24const_host_device_scalarIT6_EEPKT4_S5_PKS7_SB_S5_SD_S8_SB_S5_SD_SB_S5_PS7_21rocsparse_index_base_SF_SF_SF_bbb
; %bb.0:
	s_clause 0x3
	s_load_b32 s22, s[0:1], 0x98
	s_load_b128 s[44:47], s[0:1], 0x88
	s_load_b64 s[16:17], s[0:1], 0x8
	s_load_b64 s[20:21], s[0:1], 0x50
	s_mov_b32 s3, 0
	s_mov_b32 s24, 0
	s_wait_kmcnt 0x0
	s_bitcmp1_b32 s22, 0
	s_cselect_b32 s25, -1, 0
	s_bitcmp1_b32 s22, 16
	s_cselect_b32 s2, -1, 0
	s_delay_alu instid0(SALU_CYCLE_1) | instskip(SKIP_2) | instid1(VALU_DEP_1)
	s_xor_b32 s4, s2, -1
	s_bitcmp0_b32 s22, 0
	v_cndmask_b32_e64 v1, 0, 1, s4
	v_cmp_ne_u32_e32 vcc_lo, 1, v1
	s_cbranch_scc1 .LBB128_5
; %bb.1:
	s_load_b64 s[2:3], s[0:1], 0x18
	s_and_b32 vcc_lo, exec_lo, vcc_lo
	s_wait_kmcnt 0x0
	s_mov_b32 s24, s2
	s_cbranch_vccnz .LBB128_3
; %bb.2:
	s_load_b32 s24, s[2:3], 0x0
.LBB128_3:
	s_and_not1_b32 vcc_lo, exec_lo, s4
	s_cbranch_vccnz .LBB128_5
; %bb.4:
	s_wait_xcnt 0x0
	s_load_b32 s3, s[2:3], 0x4
.LBB128_5:
	s_clause 0x4
	s_load_b64 s[34:35], s[0:1], 0x80
	s_load_b256 s[36:43], s[0:1], 0x58
	s_load_b128 s[12:15], s[0:1], 0x40
	s_load_b64 s[18:19], s[0:1], 0x10
	s_load_b256 s[4:11], s[0:1], 0x20
	s_bitcmp1_b32 s22, 8
	s_wait_xcnt 0x0
	s_cselect_b32 s2, -1, 0
	s_bfe_u32 s23, s22, 0x10008
	s_mov_b32 s22, 0
	s_cmp_eq_u32 s23, 0
	s_mov_b32 s23, 0
	s_cbranch_scc1 .LBB128_11
; %bb.6:
	v_cmp_ne_u32_e32 vcc_lo, 1, v1
	s_mov_b32 s22, s20
	s_cbranch_vccnz .LBB128_8
; %bb.7:
	s_load_b32 s22, s[20:21], 0x0
.LBB128_8:
	v_cmp_ne_u32_e32 vcc_lo, 1, v1
	s_cbranch_vccnz .LBB128_10
; %bb.9:
	s_wait_xcnt 0x0
	s_load_b32 s21, s[20:21], 0x4
.LBB128_10:
	s_wait_kmcnt 0x0
	s_mov_b32 s23, s21
.LBB128_11:
	s_load_b64 s[48:49], s[0:1], 0x0
	v_lshl_add_u32 v22, v0, 3, 0
	v_or_b32_e32 v23, 0xfffffc00, v0
	v_mov_b32_e32 v1, 0
	s_wait_xcnt 0x0
	s_mov_b32 s0, 0
	s_delay_alu instid0(VALU_DEP_2)
	v_dual_mov_b32 v4, v22 :: v_dual_mov_b32 v5, v23
	s_wait_kmcnt 0x0
	v_mov_b64_e32 v[2:3], s[48:49]
.LBB128_12:                             ; =>This Inner Loop Header: Depth=1
	s_delay_alu instid0(VALU_DEP_2)
	v_add_co_u32 v5, s1, 0x400, v5
	s_xor_b32 s1, s1, -1
	v_add_nc_u32_e32 v6, 0x4000, v4
	ds_store_b64 v4, v[2:3]
	v_add_nc_u32_e32 v4, 0x2000, v4
	s_and_b32 s1, exec_lo, s1
	s_delay_alu instid0(SALU_CYCLE_1)
	s_or_b32 s0, s1, s0
	ds_store_2addr_b32 v6, v1, v1 offset1:1
	s_and_not1_b32 exec_lo, exec_lo, s0
	s_cbranch_execnz .LBB128_12
; %bb.13:
	s_or_b32 exec_lo, exec_lo, s0
	s_wait_dscnt 0x0
	s_barrier_signal -1
	s_barrier_wait -1
	s_load_b64 s[0:1], s[16:17], 0x0
	s_wait_xcnt 0x0
	s_bfe_u32 s16, ttmp6, 0x4000c
	s_and_b32 s17, ttmp6, 15
	s_add_co_i32 s16, s16, 1
	s_getreg_b32 s20, hwreg(HW_REG_IB_STS2, 6, 4)
	s_mul_i32 s16, ttmp9, s16
	v_lshrrev_b32_e32 v2, 5, v0
	s_add_co_i32 s17, s17, s16
	s_wait_kmcnt 0x0
	s_lshl_b64 s[0:1], s[0:1], 3
	s_cmp_eq_u32 s20, 0
	s_add_nc_u64 s[0:1], s[18:19], s[0:1]
	s_cselect_b32 s16, ttmp9, s17
	s_and_b32 vcc_lo, exec_lo, s25
	s_load_b64 s[50:51], s[0:1], s16 offset:0x0 scale_offset
	s_wait_xcnt 0x0
	s_mov_b32 s1, 0
	s_cbranch_vccz .LBB128_33
; %bb.14:
	s_wait_kmcnt 0x0
	s_lshl_b64 s[16:17], s[50:51], 3
	v_mov_b32_e32 v3, 0
	s_add_nc_u64 s[4:5], s[4:5], s[16:17]
	s_mov_b32 s0, s44
	s_load_b128 s[16:19], s[4:5], 0x0
	s_delay_alu instid0(VALU_DEP_1) | instskip(SKIP_1) | instid1(VALU_DEP_1)
	v_sub_nc_u64_e64 v[4:5], v[2:3], s[0:1]
	s_wait_kmcnt 0x0
	v_add_nc_u64_e32 v[4:5], s[16:17], v[4:5]
	s_sub_nc_u64 s[4:5], s[18:19], s[0:1]
	s_mov_b32 s18, exec_lo
	s_delay_alu instid0(VALU_DEP_1)
	v_cmpx_gt_i64_e64 s[4:5], v[4:5]
	s_cbranch_execz .LBB128_32
; %bb.15:
	v_dual_mov_b32 v7, v3 :: v_dual_bitop2_b32 v6, 31, v0 bitop3:0x40
	s_mov_b32 s17, 0
	s_mov_b32 s16, s45
	;; [unrolled: 1-line block ×3, first 2 shown]
	s_delay_alu instid0(VALU_DEP_1)
	v_sub_nc_u64_e64 v[6:7], v[6:7], s[16:17]
	s_branch .LBB128_17
.LBB128_16:                             ;   in Loop: Header=BB128_17 Depth=1
	s_or_b32 exec_lo, exec_lo, s20
	v_add_nc_u64_e32 v[4:5], 32, v[4:5]
	s_delay_alu instid0(VALU_DEP_1) | instskip(SKIP_1) | instid1(SALU_CYCLE_1)
	v_cmp_le_i64_e32 vcc_lo, s[4:5], v[4:5]
	s_or_b32 s19, vcc_lo, s19
	s_and_not1_b32 exec_lo, exec_lo, s19
	s_cbranch_execz .LBB128_32
.LBB128_17:                             ; =>This Loop Header: Depth=1
                                        ;     Child Loop BB128_21 Depth 2
                                        ;       Child Loop BB128_24 Depth 3
	v_lshl_add_u64 v[8:9], v[4:5], 3, s[6:7]
	s_mov_b32 s20, exec_lo
	global_load_b64 v[8:9], v[8:9], off
	s_wait_loadcnt 0x0
	s_wait_xcnt 0x0
	v_sub_nc_u64_e64 v[8:9], v[8:9], s[0:1]
	s_delay_alu instid0(VALU_DEP_1)
	v_lshl_add_u64 v[8:9], v[8:9], 3, s[10:11]
	global_load_b128 v[10:13], v[8:9], off
	s_wait_loadcnt 0x0
	s_wait_xcnt 0x0
	v_sub_nc_u64_e64 v[8:9], v[12:13], s[16:17]
	v_add_nc_u64_e32 v[10:11], v[10:11], v[6:7]
	s_delay_alu instid0(VALU_DEP_1)
	v_cmpx_lt_i64_e64 v[10:11], v[8:9]
	s_cbranch_execz .LBB128_16
; %bb.18:                               ;   in Loop: Header=BB128_17 Depth=1
	v_lshl_add_u64 v[12:13], v[4:5], 3, s[8:9]
	s_mov_b32 s21, 0
	global_load_b64 v[12:13], v[12:13], off
	s_wait_loadcnt 0x0
	v_mul_f32_e64 v1, v13, -s3
	s_delay_alu instid0(VALU_DEP_1) | instskip(NEXT) | instid1(VALU_DEP_1)
	v_dual_mul_f32 v3, s24, v13 :: v_dual_fmac_f32 v1, s24, v12
	v_fmac_f32_e32 v3, s3, v12
	s_branch .LBB128_21
.LBB128_19:                             ;   in Loop: Header=BB128_21 Depth=2
	s_or_b32 exec_lo, exec_lo, s26
.LBB128_20:                             ;   in Loop: Header=BB128_21 Depth=2
	s_delay_alu instid0(SALU_CYCLE_1)
	s_or_b32 exec_lo, exec_lo, s25
	s_wait_loadcnt 0x0
	v_mul_f32_e64 v15, v13, -v3
	v_mul_f32_e32 v13, v1, v13
	v_lshl_add_u32 v14, v14, 3, 0
	v_add_nc_u64_e32 v[10:11], 32, v[10:11]
	s_delay_alu instid0(VALU_DEP_3) | instskip(SKIP_4) | instid1(SALU_CYCLE_1)
	v_dual_fmac_f32 v13, v3, v12 :: v_dual_fmac_f32 v15, v1, v12
	ds_add_f32 v14, v15 offset:16384
	ds_add_f32 v14, v13 offset:16388
	v_cmp_ge_i64_e32 vcc_lo, v[10:11], v[8:9]
	s_or_b32 s21, vcc_lo, s21
	s_and_not1_b32 exec_lo, exec_lo, s21
	s_cbranch_execz .LBB128_16
.LBB128_21:                             ;   Parent Loop BB128_17 Depth=1
                                        ; =>  This Loop Header: Depth=2
                                        ;       Child Loop BB128_24 Depth 3
	s_wait_xcnt 0x0
	v_lshlrev_b64_e32 v[12:13], 3, v[10:11]
	s_mov_b32 s25, exec_lo
	s_delay_alu instid0(VALU_DEP_1)
	v_add_nc_u64_e32 v[14:15], s[12:13], v[12:13]
	v_add_nc_u64_e32 v[12:13], s[14:15], v[12:13]
	global_load_b64 v[14:15], v[14:15], off
	global_load_b64 v[12:13], v[12:13], off
	s_wait_loadcnt 0x1
	v_sub_nc_u64_e64 v[16:17], v[14:15], s[16:17]
	s_wait_xcnt 0x1
	s_delay_alu instid0(VALU_DEP_1) | instskip(NEXT) | instid1(VALU_DEP_1)
	v_mul_lo_u32 v14, 0x89, v16
	v_and_b32_e32 v14, 0x7ff, v14
	s_delay_alu instid0(VALU_DEP_1)
	v_lshl_add_u32 v24, v14, 3, 0
	ds_load_b64 v[20:21], v24
	s_wait_dscnt 0x0
	s_wait_xcnt 0x0
	v_cmpx_ne_u64_e64 v[20:21], v[16:17]
	s_cbranch_execz .LBB128_20
; %bb.22:                               ;   in Loop: Header=BB128_21 Depth=2
	s_mov_b32 s26, 0
                                        ; implicit-def: $sgpr27
                                        ; implicit-def: $sgpr28
	s_branch .LBB128_24
.LBB128_23:                             ;   in Loop: Header=BB128_24 Depth=3
	s_or_b32 exec_lo, exec_lo, s31
	s_delay_alu instid0(SALU_CYCLE_1) | instskip(NEXT) | instid1(SALU_CYCLE_1)
	s_and_b32 s29, exec_lo, s30
	s_or_b32 s26, s29, s26
	s_and_not1_b32 s27, s27, exec_lo
	s_and_b32 s29, s28, exec_lo
	s_delay_alu instid0(SALU_CYCLE_1)
	s_or_b32 s27, s27, s29
	s_and_not1_b32 exec_lo, exec_lo, s26
	s_cbranch_execz .LBB128_30
.LBB128_24:                             ;   Parent Loop BB128_17 Depth=1
                                        ;     Parent Loop BB128_21 Depth=2
                                        ; =>    This Inner Loop Header: Depth=3
	v_mov_b64_e32 v[18:19], v[14:15]
	s_mov_b32 s29, 0
	s_mov_b32 s30, exec_lo
                                        ; implicit-def: $vgpr14_vgpr15
	v_cmpx_ne_u64_e64 s[48:49], v[20:21]
	s_xor_b32 s30, exec_lo, s30
; %bb.25:                               ;   in Loop: Header=BB128_24 Depth=3
	s_delay_alu instid0(VALU_DEP_2) | instskip(SKIP_1) | instid1(VALU_DEP_1)
	v_add_nc_u32_e32 v14, 1, v18
	s_mov_b32 s29, exec_lo
                                        ; implicit-def: $vgpr24
	v_and_b32_e32 v14, 0x7ff, v14
; %bb.26:                               ;   in Loop: Header=BB128_24 Depth=3
	s_and_not1_saveexec_b32 s30, s30
	s_cbranch_execz .LBB128_28
; %bb.27:                               ;   in Loop: Header=BB128_24 Depth=3
	v_mov_b64_e32 v[14:15], s[48:49]
	s_and_not1_b32 s29, s29, exec_lo
	ds_cmpstore_rtn_b64 v[14:15], v24, v[16:17], v[14:15]
	s_wait_dscnt 0x0
	v_cmp_ne_u64_e32 vcc_lo, s[48:49], v[14:15]
	v_mov_b64_e32 v[14:15], v[18:19]
	s_and_b32 s31, vcc_lo, exec_lo
	s_delay_alu instid0(SALU_CYCLE_1)
	s_or_b32 s29, s29, s31
.LBB128_28:                             ;   in Loop: Header=BB128_24 Depth=3
	s_or_b32 exec_lo, exec_lo, s30
	s_mov_b32 s30, -1
	s_or_b32 s28, s28, exec_lo
                                        ; implicit-def: $vgpr24
                                        ; implicit-def: $vgpr20_vgpr21
	s_and_saveexec_b32 s31, s29
	s_cbranch_execz .LBB128_23
; %bb.29:                               ;   in Loop: Header=BB128_24 Depth=3
	v_lshl_add_u32 v24, v14, 3, 0
	s_and_not1_b32 s28, s28, exec_lo
	ds_load_b64 v[20:21], v24
	s_wait_dscnt 0x0
	v_cmp_eq_u64_e32 vcc_lo, v[20:21], v[16:17]
	s_or_not1_b32 s30, vcc_lo, exec_lo
	s_branch .LBB128_23
.LBB128_30:                             ;   in Loop: Header=BB128_21 Depth=2
	s_or_b32 exec_lo, exec_lo, s26
	s_and_saveexec_b32 s26, s27
	s_delay_alu instid0(SALU_CYCLE_1)
	s_xor_b32 s26, exec_lo, s26
	s_cbranch_execz .LBB128_19
; %bb.31:                               ;   in Loop: Header=BB128_21 Depth=2
	v_mov_b32_e32 v14, v18
	s_branch .LBB128_19
.LBB128_32:
	s_or_b32 exec_lo, exec_lo, s18
.LBB128_33:
	s_delay_alu instid0(SALU_CYCLE_1)
	s_and_not1_b32 vcc_lo, exec_lo, s2
	s_cbranch_vccnz .LBB128_50
; %bb.34:
	s_wait_kmcnt 0x0
	s_lshl_b64 s[0:1], s[50:51], 3
	v_mov_b32_e32 v1, 0
	s_add_nc_u64 s[0:1], s[36:37], s[0:1]
	s_load_b128 s[4:7], s[0:1], 0x0
	s_wait_xcnt 0x0
	s_mov_b32 s1, 0
	s_mov_b32 s0, s47
	s_delay_alu instid0(SALU_CYCLE_1) | instskip(SKIP_1) | instid1(VALU_DEP_1)
	v_sub_nc_u64_e64 v[4:5], v[0:1], s[0:1]
	s_wait_kmcnt 0x0
	v_add_nc_u64_e32 v[4:5], s[4:5], v[4:5]
	s_sub_nc_u64 s[2:3], s[6:7], s[0:1]
	s_mov_b32 s4, exec_lo
	s_delay_alu instid0(VALU_DEP_1)
	v_cmpx_gt_i64_e64 s[2:3], v[4:5]
	s_cbranch_execz .LBB128_49
; %bb.35:
	s_mov_b32 s5, s1
	s_branch .LBB128_38
.LBB128_36:                             ;   in Loop: Header=BB128_38 Depth=1
	s_or_b32 exec_lo, exec_lo, s7
.LBB128_37:                             ;   in Loop: Header=BB128_38 Depth=1
	s_delay_alu instid0(SALU_CYCLE_1)
	s_or_b32 exec_lo, exec_lo, s6
	s_wait_loadcnt 0x0
	v_mul_f32_e64 v1, v7, -s23
	v_mul_f32_e32 v3, s22, v7
	v_lshl_add_u32 v7, v8, 3, 0
	v_add_nc_u64_e32 v[4:5], 0x400, v[4:5]
	s_delay_alu instid0(VALU_DEP_3) | instskip(SKIP_4) | instid1(SALU_CYCLE_1)
	v_dual_fmac_f32 v1, s22, v6 :: v_dual_fmac_f32 v3, s23, v6
	ds_add_f32 v7, v1 offset:16384
	ds_add_f32 v7, v3 offset:16388
	v_cmp_le_i64_e32 vcc_lo, s[2:3], v[4:5]
	s_or_b32 s5, vcc_lo, s5
	s_and_not1_b32 exec_lo, exec_lo, s5
	s_cbranch_execz .LBB128_49
.LBB128_38:                             ; =>This Loop Header: Depth=1
                                        ;     Child Loop BB128_41 Depth 2
	v_lshlrev_b64_e32 v[6:7], 3, v[4:5]
	s_mov_b32 s6, exec_lo
	s_delay_alu instid0(VALU_DEP_1)
	v_add_nc_u64_e32 v[8:9], s[38:39], v[6:7]
	v_add_nc_u64_e32 v[6:7], s[40:41], v[6:7]
	global_load_b64 v[8:9], v[8:9], off
	global_load_b64 v[6:7], v[6:7], off
	s_wait_loadcnt 0x1
	v_sub_nc_u64_e64 v[10:11], v[8:9], s[0:1]
	s_delay_alu instid0(VALU_DEP_1) | instskip(NEXT) | instid1(VALU_DEP_1)
	v_mul_lo_u32 v1, 0x89, v10
	v_and_b32_e32 v8, 0x7ff, v1
	s_delay_alu instid0(VALU_DEP_1)
	v_lshl_add_u32 v1, v8, 3, 0
	ds_load_b64 v[14:15], v1
	s_wait_dscnt 0x0
	s_wait_xcnt 0x0
	v_cmpx_ne_u64_e64 v[14:15], v[10:11]
	s_cbranch_execz .LBB128_37
; %bb.39:                               ;   in Loop: Header=BB128_38 Depth=1
	s_mov_b32 s7, 0
                                        ; implicit-def: $sgpr8
                                        ; implicit-def: $sgpr9
	s_branch .LBB128_41
.LBB128_40:                             ;   in Loop: Header=BB128_41 Depth=2
	s_or_b32 exec_lo, exec_lo, s12
	s_delay_alu instid0(SALU_CYCLE_1) | instskip(NEXT) | instid1(SALU_CYCLE_1)
	s_and_b32 s10, exec_lo, s11
	s_or_b32 s7, s10, s7
	s_and_not1_b32 s8, s8, exec_lo
	s_and_b32 s10, s9, exec_lo
	s_delay_alu instid0(SALU_CYCLE_1)
	s_or_b32 s8, s8, s10
	s_and_not1_b32 exec_lo, exec_lo, s7
	s_cbranch_execz .LBB128_47
.LBB128_41:                             ;   Parent Loop BB128_38 Depth=1
                                        ; =>  This Inner Loop Header: Depth=2
	v_mov_b64_e32 v[12:13], v[8:9]
	s_mov_b32 s10, 0
	s_mov_b32 s11, exec_lo
                                        ; implicit-def: $vgpr8_vgpr9
	v_cmpx_ne_u64_e64 s[48:49], v[14:15]
	s_xor_b32 s11, exec_lo, s11
; %bb.42:                               ;   in Loop: Header=BB128_41 Depth=2
	s_delay_alu instid0(VALU_DEP_2) | instskip(SKIP_1) | instid1(VALU_DEP_1)
	v_add_nc_u32_e32 v1, 1, v12
	s_mov_b32 s10, exec_lo
	v_and_b32_e32 v8, 0x7ff, v1
                                        ; implicit-def: $vgpr1
; %bb.43:                               ;   in Loop: Header=BB128_41 Depth=2
	s_and_not1_saveexec_b32 s11, s11
	s_cbranch_execz .LBB128_45
; %bb.44:                               ;   in Loop: Header=BB128_41 Depth=2
	v_mov_b64_e32 v[8:9], s[48:49]
	s_and_not1_b32 s10, s10, exec_lo
	ds_cmpstore_rtn_b64 v[8:9], v1, v[10:11], v[8:9]
	s_wait_dscnt 0x0
	v_cmp_ne_u64_e32 vcc_lo, s[48:49], v[8:9]
	v_mov_b64_e32 v[8:9], v[12:13]
	s_and_b32 s12, vcc_lo, exec_lo
	s_delay_alu instid0(SALU_CYCLE_1)
	s_or_b32 s10, s10, s12
.LBB128_45:                             ;   in Loop: Header=BB128_41 Depth=2
	s_or_b32 exec_lo, exec_lo, s11
	s_mov_b32 s11, -1
	s_or_b32 s9, s9, exec_lo
                                        ; implicit-def: $vgpr1
                                        ; implicit-def: $vgpr14_vgpr15
	s_and_saveexec_b32 s12, s10
	s_cbranch_execz .LBB128_40
; %bb.46:                               ;   in Loop: Header=BB128_41 Depth=2
	v_lshl_add_u32 v1, v8, 3, 0
	s_and_not1_b32 s9, s9, exec_lo
	ds_load_b64 v[14:15], v1
	s_wait_dscnt 0x0
	v_cmp_eq_u64_e32 vcc_lo, v[14:15], v[10:11]
	s_or_not1_b32 s11, vcc_lo, exec_lo
	s_branch .LBB128_40
.LBB128_47:                             ;   in Loop: Header=BB128_38 Depth=1
	s_or_b32 exec_lo, exec_lo, s7
	s_and_saveexec_b32 s7, s8
	s_delay_alu instid0(SALU_CYCLE_1)
	s_xor_b32 s7, exec_lo, s7
	s_cbranch_execz .LBB128_36
; %bb.48:                               ;   in Loop: Header=BB128_38 Depth=1
	v_mov_b32_e32 v8, v12
	s_branch .LBB128_36
.LBB128_49:
	s_or_b32 exec_lo, exec_lo, s4
.LBB128_50:
	v_mbcnt_lo_u32_b32 v4, -1, 0
	v_mov_b32_e32 v3, 0
	v_lshl_add_u32 v1, v2, 3, 0
	v_mov_b64_e32 v[6:7], 0
	v_cmp_lt_u32_e64 s0, 31, v0
	v_xor_b32_e32 v2, 31, v4
	v_cmp_lt_u32_e64 s1, 63, v0
	v_cmp_lt_u32_e64 s2, 0x5f, v0
	;; [unrolled: 1-line block ×4, first 2 shown]
	v_lshrrev_b32_e64 v4, v2, -1
	v_cmp_lt_u32_e64 s5, 0xbf, v0
	v_cmp_lt_u32_e64 s6, 0xdf, v0
	;; [unrolled: 1-line block ×26, first 2 shown]
	s_mov_b32 s33, 0
	s_wait_dscnt 0x0
	v_cmp_eq_u32_e32 vcc_lo, 0x3ff, v0
	s_barrier_signal -1
	s_barrier_wait -1
	s_branch .LBB128_52
.LBB128_51:                             ;   in Loop: Header=BB128_52 Depth=1
	s_or_b32 exec_lo, exec_lo, s31
	s_wait_dscnt 0x0
	s_barrier_signal -1
	s_barrier_wait -1
	ds_load_b64 v[8:9], v3 offset:33016
	v_add_co_u32 v23, s31, 0x400, v23
	s_xor_b32 s31, s31, -1
	v_add_nc_u32_e32 v22, 0x2000, v22
	s_and_b32 s31, exec_lo, s31
	s_delay_alu instid0(SALU_CYCLE_1)
	s_or_b32 s33, s31, s33
	s_wait_dscnt 0x0
	v_add_nc_u64_e32 v[6:7], v[8:9], v[6:7]
	s_and_not1_b32 exec_lo, exec_lo, s33
	s_cbranch_execz .LBB128_118
.LBB128_52:                             ; =>This Inner Loop Header: Depth=1
	ds_load_b64 v[8:9], v22
	v_add_nc_u32_e32 v2, 0x4000, v22
	ds_load_2addr_b32 v[10:11], v2 offset1:1
	s_wait_dscnt 0x0
	s_barrier_signal -1
	s_barrier_wait -1
	v_cmp_gt_i64_e64 s31, s[48:49], v[8:9]
	s_bcnt1_i32_b32 s36, s31
	s_delay_alu instid0(SALU_CYCLE_1) | instskip(NEXT) | instid1(VALU_DEP_1)
	v_dual_mov_b32 v2, s36 :: v_dual_bitop2_b32 v5, s31, v4 bitop3:0x40
	v_bcnt_u32_b32 v12, v5, 0
	ds_store_b64 v1, v[2:3] offset:32768
	s_wait_dscnt 0x0
	s_barrier_signal -1
	s_barrier_wait -1
	s_and_saveexec_b32 s36, s0
	s_cbranch_execnz .LBB128_85
; %bb.53:                               ;   in Loop: Header=BB128_52 Depth=1
	s_or_b32 exec_lo, exec_lo, s36
	s_and_saveexec_b32 s36, s1
	s_cbranch_execnz .LBB128_86
.LBB128_54:                             ;   in Loop: Header=BB128_52 Depth=1
	s_or_b32 exec_lo, exec_lo, s36
	s_and_saveexec_b32 s36, s2
	s_cbranch_execnz .LBB128_87
.LBB128_55:                             ;   in Loop: Header=BB128_52 Depth=1
	s_or_b32 exec_lo, exec_lo, s36
	s_and_saveexec_b32 s36, s3
	s_cbranch_execnz .LBB128_88
.LBB128_56:                             ;   in Loop: Header=BB128_52 Depth=1
	s_or_b32 exec_lo, exec_lo, s36
	s_and_saveexec_b32 s36, s4
	s_cbranch_execnz .LBB128_89
.LBB128_57:                             ;   in Loop: Header=BB128_52 Depth=1
	s_or_b32 exec_lo, exec_lo, s36
	s_and_saveexec_b32 s36, s5
	s_cbranch_execnz .LBB128_90
.LBB128_58:                             ;   in Loop: Header=BB128_52 Depth=1
	s_or_b32 exec_lo, exec_lo, s36
	s_and_saveexec_b32 s36, s6
	s_cbranch_execnz .LBB128_91
.LBB128_59:                             ;   in Loop: Header=BB128_52 Depth=1
	s_or_b32 exec_lo, exec_lo, s36
	s_and_saveexec_b32 s36, s7
	s_cbranch_execnz .LBB128_92
.LBB128_60:                             ;   in Loop: Header=BB128_52 Depth=1
	s_or_b32 exec_lo, exec_lo, s36
	s_and_saveexec_b32 s36, s8
	s_cbranch_execnz .LBB128_93
.LBB128_61:                             ;   in Loop: Header=BB128_52 Depth=1
	s_or_b32 exec_lo, exec_lo, s36
	s_and_saveexec_b32 s36, s9
	s_cbranch_execnz .LBB128_94
.LBB128_62:                             ;   in Loop: Header=BB128_52 Depth=1
	s_or_b32 exec_lo, exec_lo, s36
	s_and_saveexec_b32 s36, s10
	s_cbranch_execnz .LBB128_95
.LBB128_63:                             ;   in Loop: Header=BB128_52 Depth=1
	s_or_b32 exec_lo, exec_lo, s36
	s_and_saveexec_b32 s36, s11
	s_cbranch_execnz .LBB128_96
.LBB128_64:                             ;   in Loop: Header=BB128_52 Depth=1
	s_or_b32 exec_lo, exec_lo, s36
	s_and_saveexec_b32 s36, s12
	s_cbranch_execnz .LBB128_97
.LBB128_65:                             ;   in Loop: Header=BB128_52 Depth=1
	s_or_b32 exec_lo, exec_lo, s36
	s_and_saveexec_b32 s36, s13
	s_cbranch_execnz .LBB128_98
.LBB128_66:                             ;   in Loop: Header=BB128_52 Depth=1
	s_or_b32 exec_lo, exec_lo, s36
	s_and_saveexec_b32 s36, s14
	s_cbranch_execnz .LBB128_99
.LBB128_67:                             ;   in Loop: Header=BB128_52 Depth=1
	s_or_b32 exec_lo, exec_lo, s36
	s_and_saveexec_b32 s36, s15
	s_cbranch_execnz .LBB128_100
.LBB128_68:                             ;   in Loop: Header=BB128_52 Depth=1
	s_or_b32 exec_lo, exec_lo, s36
	s_and_saveexec_b32 s36, s16
	s_cbranch_execnz .LBB128_101
.LBB128_69:                             ;   in Loop: Header=BB128_52 Depth=1
	s_or_b32 exec_lo, exec_lo, s36
	s_and_saveexec_b32 s36, s17
	s_cbranch_execnz .LBB128_102
.LBB128_70:                             ;   in Loop: Header=BB128_52 Depth=1
	s_or_b32 exec_lo, exec_lo, s36
	s_and_saveexec_b32 s36, s18
	s_cbranch_execnz .LBB128_103
.LBB128_71:                             ;   in Loop: Header=BB128_52 Depth=1
	s_or_b32 exec_lo, exec_lo, s36
	s_and_saveexec_b32 s36, s19
	s_cbranch_execnz .LBB128_104
.LBB128_72:                             ;   in Loop: Header=BB128_52 Depth=1
	s_or_b32 exec_lo, exec_lo, s36
	s_and_saveexec_b32 s36, s20
	s_cbranch_execnz .LBB128_105
.LBB128_73:                             ;   in Loop: Header=BB128_52 Depth=1
	s_or_b32 exec_lo, exec_lo, s36
	s_and_saveexec_b32 s36, s21
	s_cbranch_execnz .LBB128_106
.LBB128_74:                             ;   in Loop: Header=BB128_52 Depth=1
	s_or_b32 exec_lo, exec_lo, s36
	s_and_saveexec_b32 s36, s22
	s_cbranch_execnz .LBB128_107
.LBB128_75:                             ;   in Loop: Header=BB128_52 Depth=1
	s_or_b32 exec_lo, exec_lo, s36
	s_and_saveexec_b32 s36, s23
	s_cbranch_execnz .LBB128_108
.LBB128_76:                             ;   in Loop: Header=BB128_52 Depth=1
	s_or_b32 exec_lo, exec_lo, s36
	s_and_saveexec_b32 s36, s24
	s_cbranch_execnz .LBB128_109
.LBB128_77:                             ;   in Loop: Header=BB128_52 Depth=1
	s_or_b32 exec_lo, exec_lo, s36
	s_and_saveexec_b32 s36, s25
	s_cbranch_execnz .LBB128_110
.LBB128_78:                             ;   in Loop: Header=BB128_52 Depth=1
	s_or_b32 exec_lo, exec_lo, s36
	s_and_saveexec_b32 s36, s26
	s_cbranch_execnz .LBB128_111
.LBB128_79:                             ;   in Loop: Header=BB128_52 Depth=1
	s_or_b32 exec_lo, exec_lo, s36
	s_and_saveexec_b32 s36, s27
	s_cbranch_execnz .LBB128_112
.LBB128_80:                             ;   in Loop: Header=BB128_52 Depth=1
	s_or_b32 exec_lo, exec_lo, s36
	s_and_saveexec_b32 s36, s28
	s_cbranch_execnz .LBB128_113
.LBB128_81:                             ;   in Loop: Header=BB128_52 Depth=1
	s_or_b32 exec_lo, exec_lo, s36
	s_and_saveexec_b32 s36, s29
	s_cbranch_execnz .LBB128_114
.LBB128_82:                             ;   in Loop: Header=BB128_52 Depth=1
	s_or_b32 exec_lo, exec_lo, s36
	s_and_saveexec_b32 s36, s30
	s_cbranch_execnz .LBB128_115
.LBB128_83:                             ;   in Loop: Header=BB128_52 Depth=1
	s_or_b32 exec_lo, exec_lo, s36
	v_ashrrev_i32_e32 v13, 31, v12
	s_and_saveexec_b32 s36, s31
	s_cbranch_execnz .LBB128_116
.LBB128_84:                             ;   in Loop: Header=BB128_52 Depth=1
	s_or_b32 exec_lo, exec_lo, s36
	s_and_saveexec_b32 s31, vcc_lo
	s_cbranch_execz .LBB128_51
	s_branch .LBB128_117
.LBB128_85:                             ;   in Loop: Header=BB128_52 Depth=1
	ds_load_b32 v2, v3 offset:32768
	s_wait_dscnt 0x0
	v_add_nc_u32_e32 v12, v2, v12
	s_or_b32 exec_lo, exec_lo, s36
	s_and_saveexec_b32 s36, s1
	s_cbranch_execz .LBB128_54
.LBB128_86:                             ;   in Loop: Header=BB128_52 Depth=1
	ds_load_b32 v2, v3 offset:32776
	s_wait_dscnt 0x0
	v_add_nc_u32_e32 v12, v12, v2
	s_or_b32 exec_lo, exec_lo, s36
	s_and_saveexec_b32 s36, s2
	s_cbranch_execz .LBB128_55
.LBB128_87:                             ;   in Loop: Header=BB128_52 Depth=1
	ds_load_b32 v2, v3 offset:32784
	s_wait_dscnt 0x0
	v_add_nc_u32_e32 v12, v12, v2
	s_or_b32 exec_lo, exec_lo, s36
	s_and_saveexec_b32 s36, s3
	s_cbranch_execz .LBB128_56
.LBB128_88:                             ;   in Loop: Header=BB128_52 Depth=1
	ds_load_b32 v2, v3 offset:32792
	s_wait_dscnt 0x0
	v_add_nc_u32_e32 v12, v12, v2
	s_or_b32 exec_lo, exec_lo, s36
	s_and_saveexec_b32 s36, s4
	s_cbranch_execz .LBB128_57
.LBB128_89:                             ;   in Loop: Header=BB128_52 Depth=1
	ds_load_b32 v2, v3 offset:32800
	s_wait_dscnt 0x0
	v_add_nc_u32_e32 v12, v12, v2
	s_or_b32 exec_lo, exec_lo, s36
	s_and_saveexec_b32 s36, s5
	s_cbranch_execz .LBB128_58
.LBB128_90:                             ;   in Loop: Header=BB128_52 Depth=1
	ds_load_b32 v2, v3 offset:32808
	s_wait_dscnt 0x0
	v_add_nc_u32_e32 v12, v12, v2
	s_or_b32 exec_lo, exec_lo, s36
	s_and_saveexec_b32 s36, s6
	s_cbranch_execz .LBB128_59
.LBB128_91:                             ;   in Loop: Header=BB128_52 Depth=1
	ds_load_b32 v2, v3 offset:32816
	s_wait_dscnt 0x0
	v_add_nc_u32_e32 v12, v12, v2
	s_or_b32 exec_lo, exec_lo, s36
	s_and_saveexec_b32 s36, s7
	s_cbranch_execz .LBB128_60
.LBB128_92:                             ;   in Loop: Header=BB128_52 Depth=1
	ds_load_b32 v2, v3 offset:32824
	s_wait_dscnt 0x0
	v_add_nc_u32_e32 v12, v12, v2
	s_or_b32 exec_lo, exec_lo, s36
	s_and_saveexec_b32 s36, s8
	s_cbranch_execz .LBB128_61
.LBB128_93:                             ;   in Loop: Header=BB128_52 Depth=1
	ds_load_b32 v2, v3 offset:32832
	s_wait_dscnt 0x0
	v_add_nc_u32_e32 v12, v12, v2
	s_or_b32 exec_lo, exec_lo, s36
	s_and_saveexec_b32 s36, s9
	s_cbranch_execz .LBB128_62
.LBB128_94:                             ;   in Loop: Header=BB128_52 Depth=1
	ds_load_b32 v2, v3 offset:32840
	s_wait_dscnt 0x0
	v_add_nc_u32_e32 v12, v12, v2
	s_or_b32 exec_lo, exec_lo, s36
	s_and_saveexec_b32 s36, s10
	s_cbranch_execz .LBB128_63
.LBB128_95:                             ;   in Loop: Header=BB128_52 Depth=1
	ds_load_b32 v2, v3 offset:32848
	s_wait_dscnt 0x0
	v_add_nc_u32_e32 v12, v12, v2
	s_or_b32 exec_lo, exec_lo, s36
	s_and_saveexec_b32 s36, s11
	s_cbranch_execz .LBB128_64
.LBB128_96:                             ;   in Loop: Header=BB128_52 Depth=1
	ds_load_b32 v2, v3 offset:32856
	s_wait_dscnt 0x0
	v_add_nc_u32_e32 v12, v12, v2
	s_or_b32 exec_lo, exec_lo, s36
	s_and_saveexec_b32 s36, s12
	s_cbranch_execz .LBB128_65
.LBB128_97:                             ;   in Loop: Header=BB128_52 Depth=1
	ds_load_b32 v2, v3 offset:32864
	s_wait_dscnt 0x0
	v_add_nc_u32_e32 v12, v12, v2
	s_or_b32 exec_lo, exec_lo, s36
	s_and_saveexec_b32 s36, s13
	s_cbranch_execz .LBB128_66
.LBB128_98:                             ;   in Loop: Header=BB128_52 Depth=1
	ds_load_b32 v2, v3 offset:32872
	s_wait_dscnt 0x0
	v_add_nc_u32_e32 v12, v12, v2
	s_or_b32 exec_lo, exec_lo, s36
	s_and_saveexec_b32 s36, s14
	s_cbranch_execz .LBB128_67
.LBB128_99:                             ;   in Loop: Header=BB128_52 Depth=1
	ds_load_b32 v2, v3 offset:32880
	s_wait_dscnt 0x0
	v_add_nc_u32_e32 v12, v12, v2
	s_or_b32 exec_lo, exec_lo, s36
	s_and_saveexec_b32 s36, s15
	s_cbranch_execz .LBB128_68
.LBB128_100:                            ;   in Loop: Header=BB128_52 Depth=1
	ds_load_b32 v2, v3 offset:32888
	s_wait_dscnt 0x0
	v_add_nc_u32_e32 v12, v12, v2
	s_or_b32 exec_lo, exec_lo, s36
	s_and_saveexec_b32 s36, s16
	s_cbranch_execz .LBB128_69
.LBB128_101:                            ;   in Loop: Header=BB128_52 Depth=1
	ds_load_b32 v2, v3 offset:32896
	s_wait_dscnt 0x0
	v_add_nc_u32_e32 v12, v12, v2
	s_or_b32 exec_lo, exec_lo, s36
	s_and_saveexec_b32 s36, s17
	s_cbranch_execz .LBB128_70
.LBB128_102:                            ;   in Loop: Header=BB128_52 Depth=1
	ds_load_b32 v2, v3 offset:32904
	s_wait_dscnt 0x0
	v_add_nc_u32_e32 v12, v12, v2
	s_or_b32 exec_lo, exec_lo, s36
	s_and_saveexec_b32 s36, s18
	s_cbranch_execz .LBB128_71
.LBB128_103:                            ;   in Loop: Header=BB128_52 Depth=1
	ds_load_b32 v2, v3 offset:32912
	s_wait_dscnt 0x0
	v_add_nc_u32_e32 v12, v12, v2
	s_or_b32 exec_lo, exec_lo, s36
	s_and_saveexec_b32 s36, s19
	s_cbranch_execz .LBB128_72
.LBB128_104:                            ;   in Loop: Header=BB128_52 Depth=1
	ds_load_b32 v2, v3 offset:32920
	s_wait_dscnt 0x0
	v_add_nc_u32_e32 v12, v12, v2
	s_or_b32 exec_lo, exec_lo, s36
	s_and_saveexec_b32 s36, s20
	s_cbranch_execz .LBB128_73
.LBB128_105:                            ;   in Loop: Header=BB128_52 Depth=1
	ds_load_b32 v2, v3 offset:32928
	s_wait_dscnt 0x0
	v_add_nc_u32_e32 v12, v12, v2
	s_or_b32 exec_lo, exec_lo, s36
	s_and_saveexec_b32 s36, s21
	s_cbranch_execz .LBB128_74
.LBB128_106:                            ;   in Loop: Header=BB128_52 Depth=1
	ds_load_b32 v2, v3 offset:32936
	s_wait_dscnt 0x0
	v_add_nc_u32_e32 v12, v12, v2
	s_or_b32 exec_lo, exec_lo, s36
	s_and_saveexec_b32 s36, s22
	s_cbranch_execz .LBB128_75
.LBB128_107:                            ;   in Loop: Header=BB128_52 Depth=1
	ds_load_b32 v2, v3 offset:32944
	s_wait_dscnt 0x0
	v_add_nc_u32_e32 v12, v12, v2
	s_or_b32 exec_lo, exec_lo, s36
	s_and_saveexec_b32 s36, s23
	s_cbranch_execz .LBB128_76
.LBB128_108:                            ;   in Loop: Header=BB128_52 Depth=1
	ds_load_b32 v2, v3 offset:32952
	s_wait_dscnt 0x0
	v_add_nc_u32_e32 v12, v12, v2
	s_or_b32 exec_lo, exec_lo, s36
	s_and_saveexec_b32 s36, s24
	s_cbranch_execz .LBB128_77
.LBB128_109:                            ;   in Loop: Header=BB128_52 Depth=1
	ds_load_b32 v2, v3 offset:32960
	s_wait_dscnt 0x0
	v_add_nc_u32_e32 v12, v12, v2
	s_or_b32 exec_lo, exec_lo, s36
	s_and_saveexec_b32 s36, s25
	s_cbranch_execz .LBB128_78
.LBB128_110:                            ;   in Loop: Header=BB128_52 Depth=1
	ds_load_b32 v2, v3 offset:32968
	s_wait_dscnt 0x0
	v_add_nc_u32_e32 v12, v12, v2
	s_or_b32 exec_lo, exec_lo, s36
	s_and_saveexec_b32 s36, s26
	s_cbranch_execz .LBB128_79
.LBB128_111:                            ;   in Loop: Header=BB128_52 Depth=1
	ds_load_b32 v2, v3 offset:32976
	s_wait_dscnt 0x0
	v_add_nc_u32_e32 v12, v12, v2
	s_or_b32 exec_lo, exec_lo, s36
	s_and_saveexec_b32 s36, s27
	s_cbranch_execz .LBB128_80
.LBB128_112:                            ;   in Loop: Header=BB128_52 Depth=1
	ds_load_b32 v2, v3 offset:32984
	s_wait_dscnt 0x0
	v_add_nc_u32_e32 v12, v12, v2
	s_or_b32 exec_lo, exec_lo, s36
	s_and_saveexec_b32 s36, s28
	s_cbranch_execz .LBB128_81
.LBB128_113:                            ;   in Loop: Header=BB128_52 Depth=1
	ds_load_b32 v2, v3 offset:32992
	s_wait_dscnt 0x0
	v_add_nc_u32_e32 v12, v12, v2
	s_or_b32 exec_lo, exec_lo, s36
	s_and_saveexec_b32 s36, s29
	s_cbranch_execz .LBB128_82
.LBB128_114:                            ;   in Loop: Header=BB128_52 Depth=1
	ds_load_b32 v2, v3 offset:33000
	s_wait_dscnt 0x0
	v_add_nc_u32_e32 v12, v12, v2
	s_or_b32 exec_lo, exec_lo, s36
	s_and_saveexec_b32 s36, s30
	s_cbranch_execz .LBB128_83
.LBB128_115:                            ;   in Loop: Header=BB128_52 Depth=1
	ds_load_b32 v2, v3 offset:33008
	s_wait_dscnt 0x0
	v_add_nc_u32_e32 v12, v12, v2
	s_or_b32 exec_lo, exec_lo, s36
	s_delay_alu instid0(VALU_DEP_1)
	v_ashrrev_i32_e32 v13, 31, v12
	s_and_saveexec_b32 s36, s31
	s_cbranch_execz .LBB128_84
.LBB128_116:                            ;   in Loop: Header=BB128_52 Depth=1
	v_add3_u32 v2, v6, -1, v12
	v_add_lshl_u32 v5, v6, v12, 3
	s_delay_alu instid0(VALU_DEP_2) | instskip(NEXT) | instid1(VALU_DEP_2)
	v_lshl_add_u32 v2, v2, 3, 0
	v_add3_u32 v5, 0, v5, 0x3ff8
	ds_store_b64 v2, v[8:9]
	ds_store_2addr_b32 v5, v10, v11 offset1:1
	s_or_b32 exec_lo, exec_lo, s36
	s_and_saveexec_b32 s31, vcc_lo
	s_cbranch_execz .LBB128_51
.LBB128_117:                            ;   in Loop: Header=BB128_52 Depth=1
	ds_store_b64 v3, v[12:13] offset:33016
	s_branch .LBB128_51
.LBB128_118:
	s_or_b32 exec_lo, exec_lo, s33
	s_wait_kmcnt 0x0
	s_lshl_b64 s[0:1], s[50:51], 3
	v_mov_b32_e32 v1, 0
	s_add_nc_u64 s[4:5], s[42:43], s[0:1]
	s_mov_b32 s6, exec_lo
	s_load_b128 s[0:3], s[4:5], 0x0
	s_wait_kmcnt 0x0
	s_sub_nc_u64 s[4:5], s[2:3], s[0:1]
	s_delay_alu instid0(SALU_CYCLE_1)
	v_cmpx_gt_i64_e64 s[4:5], v[0:1]
	s_cbranch_execz .LBB128_128
; %bb.119:
	s_sub_nc_u64 s[8:9], s[0:1], s[2:3]
	s_and_b64 s[6:7], s[4:5], 7
	v_cmp_lt_u64_e64 s10, s[8:9], -7
	s_and_b64 s[2:3], s[4:5], -8
	s_mov_b32 s47, 0
	s_cmp_lg_u64 s[6:7], 0
	s_sub_nc_u64 s[0:1], s[0:1], s[46:47]
	s_cselect_b32 s11, -1, 0
	s_mov_b32 s12, 0
	s_branch .LBB128_121
.LBB128_120:                            ;   in Loop: Header=BB128_121 Depth=1
	v_add_nc_u64_e32 v[0:1], 0x400, v[0:1]
	s_wait_dscnt 0x1
	s_delay_alu instid0(VALU_DEP_2)
	v_lshl_add_u64 v[4:5], v[6:7], 3, s[34:35]
	s_wait_dscnt 0x0
	global_store_b64 v[4:5], v[2:3], off
	v_cmp_le_i64_e32 vcc_lo, s[4:5], v[0:1]
	s_or_b32 s12, vcc_lo, s12
	s_wait_xcnt 0x0
	s_and_not1_b32 exec_lo, exec_lo, s12
	s_cbranch_execz .LBB128_128
.LBB128_121:                            ; =>This Loop Header: Depth=1
                                        ;     Child Loop BB128_123 Depth 2
                                        ;     Child Loop BB128_127 Depth 2
	v_lshl_add_u32 v2, v0, 3, 0
	v_mov_b64_e32 v[6:7], s[0:1]
	s_and_not1_b32 vcc_lo, exec_lo, s10
	s_mov_b64 s[8:9], 0
	s_delay_alu instid0(VALU_DEP_2)
	v_add_nc_u32_e32 v3, 0x4000, v2
	ds_load_b64 v[4:5], v2
	ds_load_2addr_b32 v[2:3], v3 offset1:1
	s_cbranch_vccnz .LBB128_125
; %bb.122:                              ;   in Loop: Header=BB128_121 Depth=1
	v_mov_b64_e32 v[6:7], s[0:1]
	s_mov_b32 s13, 0
.LBB128_123:                            ;   Parent Loop BB128_121 Depth=1
                                        ; =>  This Inner Loop Header: Depth=2
	s_delay_alu instid0(SALU_CYCLE_1)
	v_dual_mov_b32 v20, s13 :: v_dual_mov_b32 v17, s47
	v_mov_b32_e32 v19, s47
	s_add_nc_u64 s[8:9], s[8:9], 8
	s_add_co_i32 s13, s13, 64
	ds_load_2addr_b64 v[8:11], v20 offset1:1
	ds_load_2addr_b64 v[12:15], v20 offset0:2 offset1:3
	s_cmp_eq_u64 s[2:3], s[8:9]
	s_wait_dscnt 0x1
	v_cmp_gt_i64_e32 vcc_lo, v[4:5], v[8:9]
	v_cndmask_b32_e64 v16, 0, 1, vcc_lo
	v_cmp_gt_i64_e32 vcc_lo, v[4:5], v[10:11]
	s_delay_alu instid0(VALU_DEP_2) | instskip(SKIP_4) | instid1(VALU_DEP_2)
	v_add_nc_u64_e32 v[10:11], v[6:7], v[16:17]
	ds_load_2addr_b64 v[6:9], v20 offset0:4 offset1:5
	v_cndmask_b32_e64 v18, 0, 1, vcc_lo
	s_wait_dscnt 0x1
	v_cmp_gt_i64_e32 vcc_lo, v[4:5], v[12:13]
	v_add_nc_u64_e32 v[10:11], v[10:11], v[18:19]
	v_cndmask_b32_e64 v16, 0, 1, vcc_lo
	v_cmp_gt_i64_e32 vcc_lo, v[4:5], v[14:15]
	s_delay_alu instid0(VALU_DEP_2)
	v_add_nc_u64_e32 v[14:15], v[10:11], v[16:17]
	ds_load_2addr_b64 v[10:13], v20 offset0:6 offset1:7
	v_cndmask_b32_e64 v18, 0, 1, vcc_lo
	s_wait_dscnt 0x1
	v_cmp_gt_i64_e32 vcc_lo, v[4:5], v[6:7]
	v_mov_b32_e32 v7, s47
	s_delay_alu instid0(VALU_DEP_3) | instskip(SKIP_3) | instid1(VALU_DEP_3)
	v_add_nc_u64_e32 v[14:15], v[14:15], v[18:19]
	v_cndmask_b32_e64 v16, 0, 1, vcc_lo
	v_cmp_gt_i64_e32 vcc_lo, v[4:5], v[8:9]
	v_mov_b32_e32 v9, s47
	v_add_nc_u64_e32 v[14:15], v[14:15], v[16:17]
	v_cndmask_b32_e64 v6, 0, 1, vcc_lo
	s_wait_dscnt 0x0
	v_cmp_gt_i64_e32 vcc_lo, v[4:5], v[10:11]
	v_mov_b32_e32 v11, s47
	s_delay_alu instid0(VALU_DEP_3) | instskip(SKIP_2) | instid1(VALU_DEP_2)
	v_add_nc_u64_e32 v[6:7], v[14:15], v[6:7]
	v_cndmask_b32_e64 v8, 0, 1, vcc_lo
	v_cmp_gt_i64_e32 vcc_lo, v[4:5], v[12:13]
	v_add_nc_u64_e32 v[6:7], v[6:7], v[8:9]
	v_cndmask_b32_e64 v10, 0, 1, vcc_lo
	s_delay_alu instid0(VALU_DEP_1)
	v_add_nc_u64_e32 v[6:7], v[6:7], v[10:11]
	s_cbranch_scc0 .LBB128_123
; %bb.124:                              ;   in Loop: Header=BB128_121 Depth=1
	s_mov_b64 s[8:9], s[2:3]
.LBB128_125:                            ;   in Loop: Header=BB128_121 Depth=1
	s_and_not1_b32 vcc_lo, exec_lo, s11
	s_cbranch_vccnz .LBB128_120
; %bb.126:                              ;   in Loop: Header=BB128_121 Depth=1
	s_lshl_b32 s8, s8, 3
	s_delay_alu instid0(SALU_CYCLE_1)
	s_add_co_i32 s13, s8, 0
	s_mov_b64 s[8:9], s[6:7]
.LBB128_127:                            ;   Parent Loop BB128_121 Depth=1
                                        ; =>  This Inner Loop Header: Depth=2
	v_dual_mov_b32 v8, s13 :: v_dual_mov_b32 v11, s47
	s_add_nc_u64 s[8:9], s[8:9], -1
	s_add_co_i32 s13, s13, 8
	s_cmp_lg_u64 s[8:9], 0
	ds_load_b64 v[8:9], v8
	s_wait_dscnt 0x0
	v_cmp_gt_i64_e32 vcc_lo, v[4:5], v[8:9]
	v_cndmask_b32_e64 v10, 0, 1, vcc_lo
	s_delay_alu instid0(VALU_DEP_1)
	v_add_nc_u64_e32 v[6:7], v[6:7], v[10:11]
	s_cbranch_scc1 .LBB128_127
	s_branch .LBB128_120
.LBB128_128:
	s_endpgm
	.section	.rodata,"a",@progbits
	.p2align	6, 0x0
	.amdhsa_kernel _ZN9rocsparseL41csrgemm_numeric_fill_block_per_row_kernelILj1024ELj32ELj2048ELj137ELj32Ell21rocsparse_complex_numIfEEEvT5_PKS3_S5_NS_24const_host_device_scalarIT6_EEPKT4_S5_PKS7_SB_S5_SD_S8_SB_S5_SD_SB_S5_PS7_21rocsparse_index_base_SF_SF_SF_bbb
		.amdhsa_group_segment_fixed_size 0
		.amdhsa_private_segment_fixed_size 0
		.amdhsa_kernarg_size 156
		.amdhsa_user_sgpr_count 2
		.amdhsa_user_sgpr_dispatch_ptr 0
		.amdhsa_user_sgpr_queue_ptr 0
		.amdhsa_user_sgpr_kernarg_segment_ptr 1
		.amdhsa_user_sgpr_dispatch_id 0
		.amdhsa_user_sgpr_kernarg_preload_length 0
		.amdhsa_user_sgpr_kernarg_preload_offset 0
		.amdhsa_user_sgpr_private_segment_size 0
		.amdhsa_wavefront_size32 1
		.amdhsa_uses_dynamic_stack 0
		.amdhsa_enable_private_segment 0
		.amdhsa_system_sgpr_workgroup_id_x 1
		.amdhsa_system_sgpr_workgroup_id_y 0
		.amdhsa_system_sgpr_workgroup_id_z 0
		.amdhsa_system_sgpr_workgroup_info 0
		.amdhsa_system_vgpr_workitem_id 0
		.amdhsa_next_free_vgpr 25
		.amdhsa_next_free_sgpr 52
		.amdhsa_named_barrier_count 0
		.amdhsa_reserve_vcc 1
		.amdhsa_float_round_mode_32 0
		.amdhsa_float_round_mode_16_64 0
		.amdhsa_float_denorm_mode_32 3
		.amdhsa_float_denorm_mode_16_64 3
		.amdhsa_fp16_overflow 0
		.amdhsa_memory_ordered 1
		.amdhsa_forward_progress 1
		.amdhsa_inst_pref_size 34
		.amdhsa_round_robin_scheduling 0
		.amdhsa_exception_fp_ieee_invalid_op 0
		.amdhsa_exception_fp_denorm_src 0
		.amdhsa_exception_fp_ieee_div_zero 0
		.amdhsa_exception_fp_ieee_overflow 0
		.amdhsa_exception_fp_ieee_underflow 0
		.amdhsa_exception_fp_ieee_inexact 0
		.amdhsa_exception_int_div_zero 0
	.end_amdhsa_kernel
	.section	.text._ZN9rocsparseL41csrgemm_numeric_fill_block_per_row_kernelILj1024ELj32ELj2048ELj137ELj32Ell21rocsparse_complex_numIfEEEvT5_PKS3_S5_NS_24const_host_device_scalarIT6_EEPKT4_S5_PKS7_SB_S5_SD_S8_SB_S5_SD_SB_S5_PS7_21rocsparse_index_base_SF_SF_SF_bbb,"axG",@progbits,_ZN9rocsparseL41csrgemm_numeric_fill_block_per_row_kernelILj1024ELj32ELj2048ELj137ELj32Ell21rocsparse_complex_numIfEEEvT5_PKS3_S5_NS_24const_host_device_scalarIT6_EEPKT4_S5_PKS7_SB_S5_SD_S8_SB_S5_SD_SB_S5_PS7_21rocsparse_index_base_SF_SF_SF_bbb,comdat
.Lfunc_end128:
	.size	_ZN9rocsparseL41csrgemm_numeric_fill_block_per_row_kernelILj1024ELj32ELj2048ELj137ELj32Ell21rocsparse_complex_numIfEEEvT5_PKS3_S5_NS_24const_host_device_scalarIT6_EEPKT4_S5_PKS7_SB_S5_SD_S8_SB_S5_SD_SB_S5_PS7_21rocsparse_index_base_SF_SF_SF_bbb, .Lfunc_end128-_ZN9rocsparseL41csrgemm_numeric_fill_block_per_row_kernelILj1024ELj32ELj2048ELj137ELj32Ell21rocsparse_complex_numIfEEEvT5_PKS3_S5_NS_24const_host_device_scalarIT6_EEPKT4_S5_PKS7_SB_S5_SD_S8_SB_S5_SD_SB_S5_PS7_21rocsparse_index_base_SF_SF_SF_bbb
                                        ; -- End function
	.set _ZN9rocsparseL41csrgemm_numeric_fill_block_per_row_kernelILj1024ELj32ELj2048ELj137ELj32Ell21rocsparse_complex_numIfEEEvT5_PKS3_S5_NS_24const_host_device_scalarIT6_EEPKT4_S5_PKS7_SB_S5_SD_S8_SB_S5_SD_SB_S5_PS7_21rocsparse_index_base_SF_SF_SF_bbb.num_vgpr, 25
	.set _ZN9rocsparseL41csrgemm_numeric_fill_block_per_row_kernelILj1024ELj32ELj2048ELj137ELj32Ell21rocsparse_complex_numIfEEEvT5_PKS3_S5_NS_24const_host_device_scalarIT6_EEPKT4_S5_PKS7_SB_S5_SD_S8_SB_S5_SD_SB_S5_PS7_21rocsparse_index_base_SF_SF_SF_bbb.num_agpr, 0
	.set _ZN9rocsparseL41csrgemm_numeric_fill_block_per_row_kernelILj1024ELj32ELj2048ELj137ELj32Ell21rocsparse_complex_numIfEEEvT5_PKS3_S5_NS_24const_host_device_scalarIT6_EEPKT4_S5_PKS7_SB_S5_SD_S8_SB_S5_SD_SB_S5_PS7_21rocsparse_index_base_SF_SF_SF_bbb.numbered_sgpr, 52
	.set _ZN9rocsparseL41csrgemm_numeric_fill_block_per_row_kernelILj1024ELj32ELj2048ELj137ELj32Ell21rocsparse_complex_numIfEEEvT5_PKS3_S5_NS_24const_host_device_scalarIT6_EEPKT4_S5_PKS7_SB_S5_SD_S8_SB_S5_SD_SB_S5_PS7_21rocsparse_index_base_SF_SF_SF_bbb.num_named_barrier, 0
	.set _ZN9rocsparseL41csrgemm_numeric_fill_block_per_row_kernelILj1024ELj32ELj2048ELj137ELj32Ell21rocsparse_complex_numIfEEEvT5_PKS3_S5_NS_24const_host_device_scalarIT6_EEPKT4_S5_PKS7_SB_S5_SD_S8_SB_S5_SD_SB_S5_PS7_21rocsparse_index_base_SF_SF_SF_bbb.private_seg_size, 0
	.set _ZN9rocsparseL41csrgemm_numeric_fill_block_per_row_kernelILj1024ELj32ELj2048ELj137ELj32Ell21rocsparse_complex_numIfEEEvT5_PKS3_S5_NS_24const_host_device_scalarIT6_EEPKT4_S5_PKS7_SB_S5_SD_S8_SB_S5_SD_SB_S5_PS7_21rocsparse_index_base_SF_SF_SF_bbb.uses_vcc, 1
	.set _ZN9rocsparseL41csrgemm_numeric_fill_block_per_row_kernelILj1024ELj32ELj2048ELj137ELj32Ell21rocsparse_complex_numIfEEEvT5_PKS3_S5_NS_24const_host_device_scalarIT6_EEPKT4_S5_PKS7_SB_S5_SD_S8_SB_S5_SD_SB_S5_PS7_21rocsparse_index_base_SF_SF_SF_bbb.uses_flat_scratch, 0
	.set _ZN9rocsparseL41csrgemm_numeric_fill_block_per_row_kernelILj1024ELj32ELj2048ELj137ELj32Ell21rocsparse_complex_numIfEEEvT5_PKS3_S5_NS_24const_host_device_scalarIT6_EEPKT4_S5_PKS7_SB_S5_SD_S8_SB_S5_SD_SB_S5_PS7_21rocsparse_index_base_SF_SF_SF_bbb.has_dyn_sized_stack, 0
	.set _ZN9rocsparseL41csrgemm_numeric_fill_block_per_row_kernelILj1024ELj32ELj2048ELj137ELj32Ell21rocsparse_complex_numIfEEEvT5_PKS3_S5_NS_24const_host_device_scalarIT6_EEPKT4_S5_PKS7_SB_S5_SD_S8_SB_S5_SD_SB_S5_PS7_21rocsparse_index_base_SF_SF_SF_bbb.has_recursion, 0
	.set _ZN9rocsparseL41csrgemm_numeric_fill_block_per_row_kernelILj1024ELj32ELj2048ELj137ELj32Ell21rocsparse_complex_numIfEEEvT5_PKS3_S5_NS_24const_host_device_scalarIT6_EEPKT4_S5_PKS7_SB_S5_SD_S8_SB_S5_SD_SB_S5_PS7_21rocsparse_index_base_SF_SF_SF_bbb.has_indirect_call, 0
	.section	.AMDGPU.csdata,"",@progbits
; Kernel info:
; codeLenInByte = 4292
; TotalNumSgprs: 54
; NumVgprs: 25
; ScratchSize: 0
; MemoryBound: 0
; FloatMode: 240
; IeeeMode: 1
; LDSByteSize: 0 bytes/workgroup (compile time only)
; SGPRBlocks: 0
; VGPRBlocks: 1
; NumSGPRsForWavesPerEU: 54
; NumVGPRsForWavesPerEU: 25
; NamedBarCnt: 0
; Occupancy: 16
; WaveLimiterHint : 1
; COMPUTE_PGM_RSRC2:SCRATCH_EN: 0
; COMPUTE_PGM_RSRC2:USER_SGPR: 2
; COMPUTE_PGM_RSRC2:TRAP_HANDLER: 0
; COMPUTE_PGM_RSRC2:TGID_X_EN: 1
; COMPUTE_PGM_RSRC2:TGID_Y_EN: 0
; COMPUTE_PGM_RSRC2:TGID_Z_EN: 0
; COMPUTE_PGM_RSRC2:TIDIG_COMP_CNT: 0
	.section	.text._ZN9rocsparseL41csrgemm_numeric_fill_block_per_row_kernelILj1024ELj32ELj2048ELj137ELj64Ell21rocsparse_complex_numIfEEEvT5_PKS3_S5_NS_24const_host_device_scalarIT6_EEPKT4_S5_PKS7_SB_S5_SD_S8_SB_S5_SD_SB_S5_PS7_21rocsparse_index_base_SF_SF_SF_bbb,"axG",@progbits,_ZN9rocsparseL41csrgemm_numeric_fill_block_per_row_kernelILj1024ELj32ELj2048ELj137ELj64Ell21rocsparse_complex_numIfEEEvT5_PKS3_S5_NS_24const_host_device_scalarIT6_EEPKT4_S5_PKS7_SB_S5_SD_S8_SB_S5_SD_SB_S5_PS7_21rocsparse_index_base_SF_SF_SF_bbb,comdat
	.globl	_ZN9rocsparseL41csrgemm_numeric_fill_block_per_row_kernelILj1024ELj32ELj2048ELj137ELj64Ell21rocsparse_complex_numIfEEEvT5_PKS3_S5_NS_24const_host_device_scalarIT6_EEPKT4_S5_PKS7_SB_S5_SD_S8_SB_S5_SD_SB_S5_PS7_21rocsparse_index_base_SF_SF_SF_bbb ; -- Begin function _ZN9rocsparseL41csrgemm_numeric_fill_block_per_row_kernelILj1024ELj32ELj2048ELj137ELj64Ell21rocsparse_complex_numIfEEEvT5_PKS3_S5_NS_24const_host_device_scalarIT6_EEPKT4_S5_PKS7_SB_S5_SD_S8_SB_S5_SD_SB_S5_PS7_21rocsparse_index_base_SF_SF_SF_bbb
	.p2align	8
	.type	_ZN9rocsparseL41csrgemm_numeric_fill_block_per_row_kernelILj1024ELj32ELj2048ELj137ELj64Ell21rocsparse_complex_numIfEEEvT5_PKS3_S5_NS_24const_host_device_scalarIT6_EEPKT4_S5_PKS7_SB_S5_SD_S8_SB_S5_SD_SB_S5_PS7_21rocsparse_index_base_SF_SF_SF_bbb,@function
_ZN9rocsparseL41csrgemm_numeric_fill_block_per_row_kernelILj1024ELj32ELj2048ELj137ELj64Ell21rocsparse_complex_numIfEEEvT5_PKS3_S5_NS_24const_host_device_scalarIT6_EEPKT4_S5_PKS7_SB_S5_SD_S8_SB_S5_SD_SB_S5_PS7_21rocsparse_index_base_SF_SF_SF_bbb: ; @_ZN9rocsparseL41csrgemm_numeric_fill_block_per_row_kernelILj1024ELj32ELj2048ELj137ELj64Ell21rocsparse_complex_numIfEEEvT5_PKS3_S5_NS_24const_host_device_scalarIT6_EEPKT4_S5_PKS7_SB_S5_SD_S8_SB_S5_SD_SB_S5_PS7_21rocsparse_index_base_SF_SF_SF_bbb
; %bb.0:
	s_clause 0x3
	s_load_b32 s33, s[0:1], 0x98
	s_load_b128 s[20:23], s[0:1], 0x88
	s_load_b64 s[34:35], s[0:1], 0x8
	s_load_b64 s[30:31], s[0:1], 0x50
	s_mov_b32 s3, 0
	s_mov_b32 s39, 0
	s_wait_kmcnt 0x0
	s_bitcmp1_b32 s33, 0
	s_cselect_b32 s40, -1, 0
	s_bitcmp1_b32 s33, 16
	s_cselect_b32 s2, -1, 0
	s_delay_alu instid0(SALU_CYCLE_1) | instskip(SKIP_2) | instid1(VALU_DEP_1)
	s_xor_b32 s4, s2, -1
	s_bitcmp0_b32 s33, 0
	v_cndmask_b32_e64 v1, 0, 1, s4
	v_cmp_ne_u32_e32 vcc_lo, 1, v1
	s_cbranch_scc1 .LBB129_5
; %bb.1:
	s_load_b64 s[2:3], s[0:1], 0x18
	s_and_b32 vcc_lo, exec_lo, vcc_lo
	s_wait_kmcnt 0x0
	s_mov_b32 s39, s2
	s_cbranch_vccnz .LBB129_3
; %bb.2:
	s_load_b32 s39, s[2:3], 0x0
.LBB129_3:
	s_and_not1_b32 vcc_lo, exec_lo, s4
	s_cbranch_vccnz .LBB129_5
; %bb.4:
	s_wait_xcnt 0x0
	s_load_b32 s3, s[2:3], 0x4
.LBB129_5:
	s_clause 0x4
	s_load_b64 s[28:29], s[0:1], 0x80
	s_load_b256 s[12:19], s[0:1], 0x58
	s_load_b128 s[24:27], s[0:1], 0x40
	s_load_b64 s[36:37], s[0:1], 0x10
	s_load_b256 s[4:11], s[0:1], 0x20
	s_bitcmp1_b32 s33, 8
	s_wait_xcnt 0x0
	s_cselect_b32 s2, -1, 0
	s_bfe_u32 s38, s33, 0x10008
	s_mov_b32 s33, 0
	s_cmp_eq_u32 s38, 0
	s_mov_b32 s38, 0
	s_cbranch_scc1 .LBB129_11
; %bb.6:
	v_cmp_ne_u32_e32 vcc_lo, 1, v1
	s_mov_b32 s33, s30
	s_cbranch_vccnz .LBB129_8
; %bb.7:
	s_load_b32 s33, s[30:31], 0x0
.LBB129_8:
	v_cmp_ne_u32_e32 vcc_lo, 1, v1
	s_cbranch_vccnz .LBB129_10
; %bb.9:
	s_wait_xcnt 0x0
	s_load_b32 s31, s[30:31], 0x4
.LBB129_10:
	s_wait_kmcnt 0x0
	s_mov_b32 s38, s31
.LBB129_11:
	s_load_b64 s[30:31], s[0:1], 0x0
	v_lshl_add_u32 v20, v0, 3, 0
	v_or_b32_e32 v21, 0xfffffc00, v0
	v_mov_b32_e32 v1, 0
	s_wait_xcnt 0x0
	s_mov_b32 s0, 0
	s_delay_alu instid0(VALU_DEP_2)
	v_dual_mov_b32 v4, v20 :: v_dual_mov_b32 v5, v21
	s_wait_kmcnt 0x0
	v_mov_b64_e32 v[2:3], s[30:31]
.LBB129_12:                             ; =>This Inner Loop Header: Depth=1
	s_delay_alu instid0(VALU_DEP_2)
	v_add_co_u32 v5, s1, 0x400, v5
	s_xor_b32 s1, s1, -1
	v_add_nc_u32_e32 v6, 0x4000, v4
	ds_store_b64 v4, v[2:3]
	v_add_nc_u32_e32 v4, 0x2000, v4
	s_and_b32 s1, exec_lo, s1
	s_delay_alu instid0(SALU_CYCLE_1)
	s_or_b32 s0, s1, s0
	ds_store_2addr_b32 v6, v1, v1 offset1:1
	s_and_not1_b32 exec_lo, exec_lo, s0
	s_cbranch_execnz .LBB129_12
; %bb.13:
	s_or_b32 exec_lo, exec_lo, s0
	s_wait_dscnt 0x0
	s_barrier_signal -1
	s_barrier_wait -1
	s_load_b64 s[0:1], s[34:35], 0x0
	s_wait_xcnt 0x0
	s_bfe_u32 s34, ttmp6, 0x4000c
	s_and_b32 s35, ttmp6, 15
	s_add_co_i32 s34, s34, 1
	s_getreg_b32 s41, hwreg(HW_REG_IB_STS2, 6, 4)
	s_mul_i32 s34, ttmp9, s34
	s_delay_alu instid0(SALU_CYCLE_1)
	s_add_co_i32 s35, s35, s34
	s_wait_kmcnt 0x0
	s_lshl_b64 s[0:1], s[0:1], 3
	s_cmp_eq_u32 s41, 0
	s_add_nc_u64 s[0:1], s[36:37], s[0:1]
	s_cselect_b32 s34, ttmp9, s35
	s_and_b32 vcc_lo, exec_lo, s40
	s_load_b64 s[34:35], s[0:1], s34 offset:0x0 scale_offset
	s_wait_xcnt 0x0
	s_mov_b32 s1, 0
	s_cbranch_vccz .LBB129_33
; %bb.14:
	s_wait_kmcnt 0x0
	s_lshl_b64 s[36:37], s[34:35], 3
	v_dual_mov_b32 v5, 0 :: v_dual_lshrrev_b32 v4, 5, v0
	s_add_nc_u64 s[4:5], s[4:5], s[36:37]
	s_mov_b32 s0, s20
	s_load_b128 s[40:43], s[4:5], 0x0
	s_mov_b32 s20, exec_lo
	v_sub_nc_u64_e64 v[2:3], v[4:5], s[0:1]
	s_wait_kmcnt 0x0
	s_delay_alu instid0(VALU_DEP_1)
	v_add_nc_u64_e32 v[2:3], s[40:41], v[2:3]
	s_sub_nc_u64 s[4:5], s[42:43], s[0:1]
	s_delay_alu instid0(VALU_DEP_1) | instid1(SALU_CYCLE_1)
	v_cmpx_gt_i64_e64 s[4:5], v[2:3]
	s_cbranch_execz .LBB129_32
; %bb.15:
	v_and_b32_e32 v4, 31, v0
	s_mov_b32 s37, 0
	s_mov_b32 s36, s21
	;; [unrolled: 1-line block ×3, first 2 shown]
	s_delay_alu instid0(VALU_DEP_1)
	v_sub_nc_u64_e64 v[4:5], v[4:5], s[36:37]
	s_branch .LBB129_17
.LBB129_16:                             ;   in Loop: Header=BB129_17 Depth=1
	s_or_b32 exec_lo, exec_lo, s40
	v_add_nc_u64_e32 v[2:3], 32, v[2:3]
	s_delay_alu instid0(VALU_DEP_1) | instskip(SKIP_1) | instid1(SALU_CYCLE_1)
	v_cmp_le_i64_e32 vcc_lo, s[4:5], v[2:3]
	s_or_b32 s21, vcc_lo, s21
	s_and_not1_b32 exec_lo, exec_lo, s21
	s_cbranch_execz .LBB129_32
.LBB129_17:                             ; =>This Loop Header: Depth=1
                                        ;     Child Loop BB129_21 Depth 2
                                        ;       Child Loop BB129_24 Depth 3
	v_lshl_add_u64 v[6:7], v[2:3], 3, s[6:7]
	s_mov_b32 s40, exec_lo
	global_load_b64 v[6:7], v[6:7], off
	s_wait_loadcnt 0x0
	s_wait_xcnt 0x0
	v_sub_nc_u64_e64 v[6:7], v[6:7], s[0:1]
	s_delay_alu instid0(VALU_DEP_1)
	v_lshl_add_u64 v[6:7], v[6:7], 3, s[10:11]
	global_load_b128 v[8:11], v[6:7], off
	s_wait_loadcnt 0x0
	s_wait_xcnt 0x0
	v_sub_nc_u64_e64 v[6:7], v[10:11], s[36:37]
	v_add_nc_u64_e32 v[8:9], v[8:9], v[4:5]
	s_delay_alu instid0(VALU_DEP_1)
	v_cmpx_lt_i64_e64 v[8:9], v[6:7]
	s_cbranch_execz .LBB129_16
; %bb.18:                               ;   in Loop: Header=BB129_17 Depth=1
	v_lshl_add_u64 v[10:11], v[2:3], 3, s[8:9]
	s_mov_b32 s41, 0
	global_load_b64 v[10:11], v[10:11], off
	s_wait_loadcnt 0x0
	v_mul_f32_e64 v1, v11, -s3
	s_delay_alu instid0(VALU_DEP_1) | instskip(NEXT) | instid1(VALU_DEP_1)
	v_dual_mul_f32 v22, s39, v11 :: v_dual_fmac_f32 v1, s39, v10
	v_fmac_f32_e32 v22, s3, v10
	s_branch .LBB129_21
.LBB129_19:                             ;   in Loop: Header=BB129_21 Depth=2
	s_or_b32 exec_lo, exec_lo, s43
.LBB129_20:                             ;   in Loop: Header=BB129_21 Depth=2
	s_delay_alu instid0(SALU_CYCLE_1) | instskip(SKIP_4) | instid1(VALU_DEP_3)
	s_or_b32 exec_lo, exec_lo, s42
	s_wait_loadcnt 0x0
	v_dual_mul_f32 v13, v11, -v22 :: v_dual_mul_f32 v11, v1, v11
	v_lshl_add_u32 v12, v12, 3, 0
	v_add_nc_u64_e32 v[8:9], 32, v[8:9]
	v_dual_fmac_f32 v13, v1, v10 :: v_dual_fmac_f32 v11, v22, v10
	ds_add_f32 v12, v13 offset:16384
	ds_add_f32 v12, v11 offset:16388
	v_cmp_ge_i64_e32 vcc_lo, v[8:9], v[6:7]
	s_or_b32 s41, vcc_lo, s41
	s_delay_alu instid0(SALU_CYCLE_1)
	s_and_not1_b32 exec_lo, exec_lo, s41
	s_cbranch_execz .LBB129_16
.LBB129_21:                             ;   Parent Loop BB129_17 Depth=1
                                        ; =>  This Loop Header: Depth=2
                                        ;       Child Loop BB129_24 Depth 3
	s_wait_xcnt 0x0
	v_lshlrev_b64_e32 v[10:11], 3, v[8:9]
	s_mov_b32 s42, exec_lo
	s_delay_alu instid0(VALU_DEP_1)
	v_add_nc_u64_e32 v[12:13], s[24:25], v[10:11]
	v_add_nc_u64_e32 v[10:11], s[26:27], v[10:11]
	global_load_b64 v[12:13], v[12:13], off
	global_load_b64 v[10:11], v[10:11], off
	s_wait_loadcnt 0x1
	v_sub_nc_u64_e64 v[14:15], v[12:13], s[36:37]
	s_wait_xcnt 0x1
	s_delay_alu instid0(VALU_DEP_1) | instskip(NEXT) | instid1(VALU_DEP_1)
	v_mul_lo_u32 v12, 0x89, v14
	v_and_b32_e32 v12, 0x7ff, v12
	s_delay_alu instid0(VALU_DEP_1)
	v_lshl_add_u32 v23, v12, 3, 0
	ds_load_b64 v[18:19], v23
	s_wait_dscnt 0x0
	s_wait_xcnt 0x0
	v_cmpx_ne_u64_e64 v[18:19], v[14:15]
	s_cbranch_execz .LBB129_20
; %bb.22:                               ;   in Loop: Header=BB129_21 Depth=2
	s_mov_b32 s43, 0
                                        ; implicit-def: $sgpr44
                                        ; implicit-def: $sgpr45
	s_branch .LBB129_24
.LBB129_23:                             ;   in Loop: Header=BB129_24 Depth=3
	s_or_b32 exec_lo, exec_lo, s48
	s_delay_alu instid0(SALU_CYCLE_1) | instskip(NEXT) | instid1(SALU_CYCLE_1)
	s_and_b32 s46, exec_lo, s47
	s_or_b32 s43, s46, s43
	s_and_not1_b32 s44, s44, exec_lo
	s_and_b32 s46, s45, exec_lo
	s_delay_alu instid0(SALU_CYCLE_1)
	s_or_b32 s44, s44, s46
	s_and_not1_b32 exec_lo, exec_lo, s43
	s_cbranch_execz .LBB129_30
.LBB129_24:                             ;   Parent Loop BB129_17 Depth=1
                                        ;     Parent Loop BB129_21 Depth=2
                                        ; =>    This Inner Loop Header: Depth=3
	v_mov_b64_e32 v[16:17], v[12:13]
	s_mov_b32 s46, 0
	s_mov_b32 s47, exec_lo
                                        ; implicit-def: $vgpr12_vgpr13
	v_cmpx_ne_u64_e64 s[30:31], v[18:19]
	s_xor_b32 s47, exec_lo, s47
; %bb.25:                               ;   in Loop: Header=BB129_24 Depth=3
	s_delay_alu instid0(VALU_DEP_2) | instskip(SKIP_1) | instid1(VALU_DEP_1)
	v_add_nc_u32_e32 v12, 1, v16
	s_mov_b32 s46, exec_lo
                                        ; implicit-def: $vgpr23
	v_and_b32_e32 v12, 0x7ff, v12
; %bb.26:                               ;   in Loop: Header=BB129_24 Depth=3
	s_and_not1_saveexec_b32 s47, s47
	s_cbranch_execz .LBB129_28
; %bb.27:                               ;   in Loop: Header=BB129_24 Depth=3
	v_mov_b64_e32 v[12:13], s[30:31]
	s_and_not1_b32 s46, s46, exec_lo
	ds_cmpstore_rtn_b64 v[12:13], v23, v[14:15], v[12:13]
	s_wait_dscnt 0x0
	v_cmp_ne_u64_e32 vcc_lo, s[30:31], v[12:13]
	v_mov_b64_e32 v[12:13], v[16:17]
	s_and_b32 s48, vcc_lo, exec_lo
	s_delay_alu instid0(SALU_CYCLE_1)
	s_or_b32 s46, s46, s48
.LBB129_28:                             ;   in Loop: Header=BB129_24 Depth=3
	s_or_b32 exec_lo, exec_lo, s47
	s_mov_b32 s47, -1
	s_or_b32 s45, s45, exec_lo
                                        ; implicit-def: $vgpr23
                                        ; implicit-def: $vgpr18_vgpr19
	s_and_saveexec_b32 s48, s46
	s_cbranch_execz .LBB129_23
; %bb.29:                               ;   in Loop: Header=BB129_24 Depth=3
	v_lshl_add_u32 v23, v12, 3, 0
	s_and_not1_b32 s45, s45, exec_lo
	ds_load_b64 v[18:19], v23
	s_wait_dscnt 0x0
	v_cmp_eq_u64_e32 vcc_lo, v[18:19], v[14:15]
	s_or_not1_b32 s47, vcc_lo, exec_lo
	s_branch .LBB129_23
.LBB129_30:                             ;   in Loop: Header=BB129_21 Depth=2
	s_or_b32 exec_lo, exec_lo, s43
	s_and_saveexec_b32 s43, s44
	s_delay_alu instid0(SALU_CYCLE_1)
	s_xor_b32 s43, exec_lo, s43
	s_cbranch_execz .LBB129_19
; %bb.31:                               ;   in Loop: Header=BB129_21 Depth=2
	v_mov_b32_e32 v12, v16
	s_branch .LBB129_19
.LBB129_32:
	s_or_b32 exec_lo, exec_lo, s20
.LBB129_33:
	s_delay_alu instid0(SALU_CYCLE_1)
	s_and_not1_b32 vcc_lo, exec_lo, s2
	s_cbranch_vccnz .LBB129_50
; %bb.34:
	s_wait_kmcnt 0x0
	s_lshl_b64 s[0:1], s[34:35], 3
	v_mov_b32_e32 v1, 0
	s_add_nc_u64 s[0:1], s[12:13], s[0:1]
	s_load_b128 s[4:7], s[0:1], 0x0
	s_wait_xcnt 0x0
	s_mov_b32 s1, 0
	s_mov_b32 s0, s23
	s_delay_alu instid0(SALU_CYCLE_1) | instskip(SKIP_1) | instid1(VALU_DEP_1)
	v_sub_nc_u64_e64 v[2:3], v[0:1], s[0:1]
	s_wait_kmcnt 0x0
	v_add_nc_u64_e32 v[2:3], s[4:5], v[2:3]
	s_sub_nc_u64 s[2:3], s[6:7], s[0:1]
	s_mov_b32 s4, exec_lo
	s_delay_alu instid0(VALU_DEP_1)
	v_cmpx_gt_i64_e64 s[2:3], v[2:3]
	s_cbranch_execz .LBB129_49
; %bb.35:
	s_mov_b32 s5, s1
	s_branch .LBB129_38
.LBB129_36:                             ;   in Loop: Header=BB129_38 Depth=1
	s_or_b32 exec_lo, exec_lo, s7
.LBB129_37:                             ;   in Loop: Header=BB129_38 Depth=1
	s_delay_alu instid0(SALU_CYCLE_1)
	s_or_b32 exec_lo, exec_lo, s6
	s_wait_loadcnt 0x0
	v_mul_f32_e64 v1, v5, -s38
	v_mul_f32_e32 v5, s33, v5
	v_lshl_add_u32 v6, v6, 3, 0
	v_add_nc_u64_e32 v[2:3], 0x400, v[2:3]
	s_delay_alu instid0(VALU_DEP_4) | instskip(NEXT) | instid1(VALU_DEP_4)
	v_fmac_f32_e32 v1, s33, v4
	v_fmac_f32_e32 v5, s38, v4
	ds_add_f32 v6, v1 offset:16384
	ds_add_f32 v6, v5 offset:16388
	v_cmp_le_i64_e32 vcc_lo, s[2:3], v[2:3]
	s_or_b32 s5, vcc_lo, s5
	s_delay_alu instid0(SALU_CYCLE_1)
	s_and_not1_b32 exec_lo, exec_lo, s5
	s_cbranch_execz .LBB129_49
.LBB129_38:                             ; =>This Loop Header: Depth=1
                                        ;     Child Loop BB129_41 Depth 2
	v_lshlrev_b64_e32 v[4:5], 3, v[2:3]
	s_mov_b32 s6, exec_lo
	s_delay_alu instid0(VALU_DEP_1)
	v_add_nc_u64_e32 v[6:7], s[14:15], v[4:5]
	v_add_nc_u64_e32 v[4:5], s[16:17], v[4:5]
	global_load_b64 v[6:7], v[6:7], off
	global_load_b64 v[4:5], v[4:5], off
	s_wait_loadcnt 0x1
	v_sub_nc_u64_e64 v[8:9], v[6:7], s[0:1]
	s_delay_alu instid0(VALU_DEP_1) | instskip(NEXT) | instid1(VALU_DEP_1)
	v_mul_lo_u32 v1, 0x89, v8
	v_and_b32_e32 v6, 0x7ff, v1
	s_delay_alu instid0(VALU_DEP_1)
	v_lshl_add_u32 v1, v6, 3, 0
	ds_load_b64 v[12:13], v1
	s_wait_dscnt 0x0
	s_wait_xcnt 0x0
	v_cmpx_ne_u64_e64 v[12:13], v[8:9]
	s_cbranch_execz .LBB129_37
; %bb.39:                               ;   in Loop: Header=BB129_38 Depth=1
	s_mov_b32 s7, 0
                                        ; implicit-def: $sgpr8
                                        ; implicit-def: $sgpr9
	s_branch .LBB129_41
.LBB129_40:                             ;   in Loop: Header=BB129_41 Depth=2
	s_or_b32 exec_lo, exec_lo, s12
	s_delay_alu instid0(SALU_CYCLE_1) | instskip(NEXT) | instid1(SALU_CYCLE_1)
	s_and_b32 s10, exec_lo, s11
	s_or_b32 s7, s10, s7
	s_and_not1_b32 s8, s8, exec_lo
	s_and_b32 s10, s9, exec_lo
	s_delay_alu instid0(SALU_CYCLE_1)
	s_or_b32 s8, s8, s10
	s_and_not1_b32 exec_lo, exec_lo, s7
	s_cbranch_execz .LBB129_47
.LBB129_41:                             ;   Parent Loop BB129_38 Depth=1
                                        ; =>  This Inner Loop Header: Depth=2
	v_mov_b64_e32 v[10:11], v[6:7]
	s_mov_b32 s10, 0
	s_mov_b32 s11, exec_lo
                                        ; implicit-def: $vgpr6_vgpr7
	v_cmpx_ne_u64_e64 s[30:31], v[12:13]
	s_xor_b32 s11, exec_lo, s11
; %bb.42:                               ;   in Loop: Header=BB129_41 Depth=2
	s_delay_alu instid0(VALU_DEP_2) | instskip(SKIP_1) | instid1(VALU_DEP_1)
	v_add_nc_u32_e32 v1, 1, v10
	s_mov_b32 s10, exec_lo
	v_and_b32_e32 v6, 0x7ff, v1
                                        ; implicit-def: $vgpr1
; %bb.43:                               ;   in Loop: Header=BB129_41 Depth=2
	s_and_not1_saveexec_b32 s11, s11
	s_cbranch_execz .LBB129_45
; %bb.44:                               ;   in Loop: Header=BB129_41 Depth=2
	v_mov_b64_e32 v[6:7], s[30:31]
	s_and_not1_b32 s10, s10, exec_lo
	ds_cmpstore_rtn_b64 v[6:7], v1, v[8:9], v[6:7]
	s_wait_dscnt 0x0
	v_cmp_ne_u64_e32 vcc_lo, s[30:31], v[6:7]
	v_mov_b64_e32 v[6:7], v[10:11]
	s_and_b32 s12, vcc_lo, exec_lo
	s_delay_alu instid0(SALU_CYCLE_1)
	s_or_b32 s10, s10, s12
.LBB129_45:                             ;   in Loop: Header=BB129_41 Depth=2
	s_or_b32 exec_lo, exec_lo, s11
	s_mov_b32 s11, -1
	s_or_b32 s9, s9, exec_lo
                                        ; implicit-def: $vgpr1
                                        ; implicit-def: $vgpr12_vgpr13
	s_and_saveexec_b32 s12, s10
	s_cbranch_execz .LBB129_40
; %bb.46:                               ;   in Loop: Header=BB129_41 Depth=2
	v_lshl_add_u32 v1, v6, 3, 0
	s_and_not1_b32 s9, s9, exec_lo
	ds_load_b64 v[12:13], v1
	s_wait_dscnt 0x0
	v_cmp_eq_u64_e32 vcc_lo, v[12:13], v[8:9]
	s_or_not1_b32 s11, vcc_lo, exec_lo
	s_branch .LBB129_40
.LBB129_47:                             ;   in Loop: Header=BB129_38 Depth=1
	s_or_b32 exec_lo, exec_lo, s7
	s_and_saveexec_b32 s7, s8
	s_delay_alu instid0(SALU_CYCLE_1)
	s_xor_b32 s7, exec_lo, s7
	s_cbranch_execz .LBB129_36
; %bb.48:                               ;   in Loop: Header=BB129_38 Depth=1
	v_mov_b32_e32 v6, v10
	s_branch .LBB129_36
.LBB129_49:
	s_or_b32 exec_lo, exec_lo, s4
.LBB129_50:
	v_mbcnt_lo_u32_b32 v1, -1, 0
	v_dual_mov_b32 v3, 0 :: v_dual_lshrrev_b32 v2, 3, v0
	v_mov_b64_e32 v[6:7], 0
	v_cmp_lt_u32_e64 s0, 63, v0
	s_delay_alu instid0(VALU_DEP_4) | instskip(NEXT) | instid1(VALU_DEP_4)
	v_xor_b32_e32 v1, 31, v1
	v_and_b32_e32 v2, 0x78, v2
	v_cmp_lt_u32_e64 s1, 0x7f, v0
	v_cmp_lt_u32_e64 s2, 0xbf, v0
	;; [unrolled: 1-line block ×3, first 2 shown]
	v_lshrrev_b32_e64 v4, v1, -1
	v_add_nc_u32_e32 v1, 0, v2
	v_cmp_lt_u32_e64 s4, 0x13f, v0
	v_cmp_lt_u32_e64 s5, 0x17f, v0
	;; [unrolled: 1-line block ×11, first 2 shown]
	s_mov_b32 s16, 0
	s_wait_dscnt 0x0
	v_cmp_eq_u32_e32 vcc_lo, 0x3ff, v0
	s_barrier_signal -1
	s_barrier_wait -1
	s_branch .LBB129_52
.LBB129_51:                             ;   in Loop: Header=BB129_52 Depth=1
	s_or_b32 exec_lo, exec_lo, s15
	s_wait_dscnt 0x0
	s_barrier_signal -1
	s_barrier_wait -1
	ds_load_b64 v[8:9], v3 offset:32888
	v_add_co_u32 v21, s15, 0x400, v21
	s_xor_b32 s15, s15, -1
	v_add_nc_u32_e32 v20, 0x2000, v20
	s_and_b32 s15, exec_lo, s15
	s_delay_alu instid0(SALU_CYCLE_1)
	s_or_b32 s16, s15, s16
	s_wait_dscnt 0x0
	v_add_nc_u64_e32 v[6:7], v[8:9], v[6:7]
	s_and_not1_b32 exec_lo, exec_lo, s16
	s_cbranch_execz .LBB129_86
.LBB129_52:                             ; =>This Inner Loop Header: Depth=1
	ds_load_b64 v[8:9], v20
	v_add_nc_u32_e32 v2, 0x4000, v20
	ds_load_2addr_b32 v[10:11], v2 offset1:1
	s_wait_dscnt 0x0
	s_barrier_signal -1
	s_barrier_wait -1
	v_cmp_gt_i64_e64 s15, s[30:31], v[8:9]
	s_bcnt1_i32_b32 s17, s15
	s_delay_alu instid0(SALU_CYCLE_1) | instskip(NEXT) | instid1(VALU_DEP_1)
	v_dual_mov_b32 v2, s17 :: v_dual_bitop2_b32 v5, s15, v4 bitop3:0x40
	v_bcnt_u32_b32 v12, v5, 0
	ds_store_b64 v1, v[2:3] offset:32768
	s_wait_dscnt 0x0
	s_barrier_signal -1
	s_barrier_wait -1
	s_and_saveexec_b32 s17, s0
	s_cbranch_execnz .LBB129_69
; %bb.53:                               ;   in Loop: Header=BB129_52 Depth=1
	s_or_b32 exec_lo, exec_lo, s17
	s_and_saveexec_b32 s17, s1
	s_cbranch_execnz .LBB129_70
.LBB129_54:                             ;   in Loop: Header=BB129_52 Depth=1
	s_or_b32 exec_lo, exec_lo, s17
	s_and_saveexec_b32 s17, s2
	s_cbranch_execnz .LBB129_71
.LBB129_55:                             ;   in Loop: Header=BB129_52 Depth=1
	s_or_b32 exec_lo, exec_lo, s17
	s_and_saveexec_b32 s17, s3
	s_cbranch_execnz .LBB129_72
.LBB129_56:                             ;   in Loop: Header=BB129_52 Depth=1
	s_or_b32 exec_lo, exec_lo, s17
	s_and_saveexec_b32 s17, s4
	s_cbranch_execnz .LBB129_73
.LBB129_57:                             ;   in Loop: Header=BB129_52 Depth=1
	s_or_b32 exec_lo, exec_lo, s17
	s_and_saveexec_b32 s17, s5
	s_cbranch_execnz .LBB129_74
.LBB129_58:                             ;   in Loop: Header=BB129_52 Depth=1
	s_or_b32 exec_lo, exec_lo, s17
	s_and_saveexec_b32 s17, s6
	s_cbranch_execnz .LBB129_75
.LBB129_59:                             ;   in Loop: Header=BB129_52 Depth=1
	s_or_b32 exec_lo, exec_lo, s17
	s_and_saveexec_b32 s17, s7
	s_cbranch_execnz .LBB129_76
.LBB129_60:                             ;   in Loop: Header=BB129_52 Depth=1
	s_or_b32 exec_lo, exec_lo, s17
	s_and_saveexec_b32 s17, s8
	s_cbranch_execnz .LBB129_77
.LBB129_61:                             ;   in Loop: Header=BB129_52 Depth=1
	s_or_b32 exec_lo, exec_lo, s17
	s_and_saveexec_b32 s17, s9
	s_cbranch_execnz .LBB129_78
.LBB129_62:                             ;   in Loop: Header=BB129_52 Depth=1
	s_or_b32 exec_lo, exec_lo, s17
	s_and_saveexec_b32 s17, s10
	s_cbranch_execnz .LBB129_79
.LBB129_63:                             ;   in Loop: Header=BB129_52 Depth=1
	s_or_b32 exec_lo, exec_lo, s17
	s_and_saveexec_b32 s17, s11
	s_cbranch_execnz .LBB129_80
.LBB129_64:                             ;   in Loop: Header=BB129_52 Depth=1
	s_or_b32 exec_lo, exec_lo, s17
	s_and_saveexec_b32 s17, s12
	s_cbranch_execnz .LBB129_81
.LBB129_65:                             ;   in Loop: Header=BB129_52 Depth=1
	s_or_b32 exec_lo, exec_lo, s17
	s_and_saveexec_b32 s17, s13
	s_cbranch_execnz .LBB129_82
.LBB129_66:                             ;   in Loop: Header=BB129_52 Depth=1
	s_or_b32 exec_lo, exec_lo, s17
	s_and_saveexec_b32 s17, s14
	s_cbranch_execnz .LBB129_83
.LBB129_67:                             ;   in Loop: Header=BB129_52 Depth=1
	s_or_b32 exec_lo, exec_lo, s17
	v_ashrrev_i32_e32 v13, 31, v12
	s_and_saveexec_b32 s17, s15
	s_cbranch_execnz .LBB129_84
.LBB129_68:                             ;   in Loop: Header=BB129_52 Depth=1
	s_or_b32 exec_lo, exec_lo, s17
	s_and_saveexec_b32 s15, vcc_lo
	s_cbranch_execz .LBB129_51
	s_branch .LBB129_85
.LBB129_69:                             ;   in Loop: Header=BB129_52 Depth=1
	ds_load_b32 v2, v3 offset:32768
	s_wait_dscnt 0x0
	v_add_nc_u32_e32 v12, v2, v12
	s_or_b32 exec_lo, exec_lo, s17
	s_and_saveexec_b32 s17, s1
	s_cbranch_execz .LBB129_54
.LBB129_70:                             ;   in Loop: Header=BB129_52 Depth=1
	ds_load_b32 v2, v3 offset:32776
	s_wait_dscnt 0x0
	v_add_nc_u32_e32 v12, v12, v2
	s_or_b32 exec_lo, exec_lo, s17
	s_and_saveexec_b32 s17, s2
	s_cbranch_execz .LBB129_55
.LBB129_71:                             ;   in Loop: Header=BB129_52 Depth=1
	ds_load_b32 v2, v3 offset:32784
	s_wait_dscnt 0x0
	v_add_nc_u32_e32 v12, v12, v2
	s_or_b32 exec_lo, exec_lo, s17
	s_and_saveexec_b32 s17, s3
	s_cbranch_execz .LBB129_56
.LBB129_72:                             ;   in Loop: Header=BB129_52 Depth=1
	ds_load_b32 v2, v3 offset:32792
	s_wait_dscnt 0x0
	v_add_nc_u32_e32 v12, v12, v2
	s_or_b32 exec_lo, exec_lo, s17
	s_and_saveexec_b32 s17, s4
	s_cbranch_execz .LBB129_57
.LBB129_73:                             ;   in Loop: Header=BB129_52 Depth=1
	ds_load_b32 v2, v3 offset:32800
	s_wait_dscnt 0x0
	v_add_nc_u32_e32 v12, v12, v2
	s_or_b32 exec_lo, exec_lo, s17
	s_and_saveexec_b32 s17, s5
	s_cbranch_execz .LBB129_58
.LBB129_74:                             ;   in Loop: Header=BB129_52 Depth=1
	ds_load_b32 v2, v3 offset:32808
	s_wait_dscnt 0x0
	v_add_nc_u32_e32 v12, v12, v2
	s_or_b32 exec_lo, exec_lo, s17
	s_and_saveexec_b32 s17, s6
	s_cbranch_execz .LBB129_59
.LBB129_75:                             ;   in Loop: Header=BB129_52 Depth=1
	ds_load_b32 v2, v3 offset:32816
	s_wait_dscnt 0x0
	v_add_nc_u32_e32 v12, v12, v2
	s_or_b32 exec_lo, exec_lo, s17
	s_and_saveexec_b32 s17, s7
	s_cbranch_execz .LBB129_60
.LBB129_76:                             ;   in Loop: Header=BB129_52 Depth=1
	ds_load_b32 v2, v3 offset:32824
	s_wait_dscnt 0x0
	v_add_nc_u32_e32 v12, v12, v2
	s_or_b32 exec_lo, exec_lo, s17
	s_and_saveexec_b32 s17, s8
	s_cbranch_execz .LBB129_61
.LBB129_77:                             ;   in Loop: Header=BB129_52 Depth=1
	ds_load_b32 v2, v3 offset:32832
	s_wait_dscnt 0x0
	v_add_nc_u32_e32 v12, v12, v2
	s_or_b32 exec_lo, exec_lo, s17
	s_and_saveexec_b32 s17, s9
	s_cbranch_execz .LBB129_62
.LBB129_78:                             ;   in Loop: Header=BB129_52 Depth=1
	ds_load_b32 v2, v3 offset:32840
	s_wait_dscnt 0x0
	v_add_nc_u32_e32 v12, v12, v2
	s_or_b32 exec_lo, exec_lo, s17
	s_and_saveexec_b32 s17, s10
	s_cbranch_execz .LBB129_63
.LBB129_79:                             ;   in Loop: Header=BB129_52 Depth=1
	ds_load_b32 v2, v3 offset:32848
	s_wait_dscnt 0x0
	v_add_nc_u32_e32 v12, v12, v2
	s_or_b32 exec_lo, exec_lo, s17
	s_and_saveexec_b32 s17, s11
	s_cbranch_execz .LBB129_64
.LBB129_80:                             ;   in Loop: Header=BB129_52 Depth=1
	ds_load_b32 v2, v3 offset:32856
	s_wait_dscnt 0x0
	v_add_nc_u32_e32 v12, v12, v2
	s_or_b32 exec_lo, exec_lo, s17
	s_and_saveexec_b32 s17, s12
	s_cbranch_execz .LBB129_65
.LBB129_81:                             ;   in Loop: Header=BB129_52 Depth=1
	ds_load_b32 v2, v3 offset:32864
	s_wait_dscnt 0x0
	v_add_nc_u32_e32 v12, v12, v2
	s_or_b32 exec_lo, exec_lo, s17
	s_and_saveexec_b32 s17, s13
	s_cbranch_execz .LBB129_66
.LBB129_82:                             ;   in Loop: Header=BB129_52 Depth=1
	ds_load_b32 v2, v3 offset:32872
	s_wait_dscnt 0x0
	v_add_nc_u32_e32 v12, v12, v2
	s_or_b32 exec_lo, exec_lo, s17
	s_and_saveexec_b32 s17, s14
	s_cbranch_execz .LBB129_67
.LBB129_83:                             ;   in Loop: Header=BB129_52 Depth=1
	ds_load_b32 v2, v3 offset:32880
	s_wait_dscnt 0x0
	v_add_nc_u32_e32 v12, v12, v2
	s_or_b32 exec_lo, exec_lo, s17
	s_delay_alu instid0(VALU_DEP_1)
	v_ashrrev_i32_e32 v13, 31, v12
	s_and_saveexec_b32 s17, s15
	s_cbranch_execz .LBB129_68
.LBB129_84:                             ;   in Loop: Header=BB129_52 Depth=1
	v_add3_u32 v2, v6, -1, v12
	v_add_lshl_u32 v5, v6, v12, 3
	s_delay_alu instid0(VALU_DEP_2) | instskip(NEXT) | instid1(VALU_DEP_2)
	v_lshl_add_u32 v2, v2, 3, 0
	v_add3_u32 v5, 0, v5, 0x3ff8
	ds_store_b64 v2, v[8:9]
	ds_store_2addr_b32 v5, v10, v11 offset1:1
	s_or_b32 exec_lo, exec_lo, s17
	s_and_saveexec_b32 s15, vcc_lo
	s_cbranch_execz .LBB129_51
.LBB129_85:                             ;   in Loop: Header=BB129_52 Depth=1
	ds_store_b64 v3, v[12:13] offset:32888
	s_branch .LBB129_51
.LBB129_86:
	s_or_b32 exec_lo, exec_lo, s16
	s_wait_kmcnt 0x0
	s_lshl_b64 s[0:1], s[34:35], 3
	v_mov_b32_e32 v1, 0
	s_add_nc_u64 s[4:5], s[18:19], s[0:1]
	s_mov_b32 s6, exec_lo
	s_load_b128 s[0:3], s[4:5], 0x0
	s_wait_kmcnt 0x0
	s_sub_nc_u64 s[4:5], s[2:3], s[0:1]
	s_delay_alu instid0(SALU_CYCLE_1)
	v_cmpx_gt_i64_e64 s[4:5], v[0:1]
	s_cbranch_execz .LBB129_96
; %bb.87:
	s_sub_nc_u64 s[8:9], s[0:1], s[2:3]
	s_and_b64 s[6:7], s[4:5], 7
	v_cmp_lt_u64_e64 s10, s[8:9], -7
	s_and_b64 s[2:3], s[4:5], -8
	s_mov_b32 s23, 0
	s_cmp_lg_u64 s[6:7], 0
	s_sub_nc_u64 s[0:1], s[0:1], s[22:23]
	s_cselect_b32 s11, -1, 0
	s_mov_b32 s12, 0
	s_branch .LBB129_89
.LBB129_88:                             ;   in Loop: Header=BB129_89 Depth=1
	v_add_nc_u64_e32 v[0:1], 0x400, v[0:1]
	s_wait_dscnt 0x1
	s_delay_alu instid0(VALU_DEP_2)
	v_lshl_add_u64 v[4:5], v[6:7], 3, s[28:29]
	s_wait_dscnt 0x0
	global_store_b64 v[4:5], v[2:3], off
	v_cmp_le_i64_e32 vcc_lo, s[4:5], v[0:1]
	s_or_b32 s12, vcc_lo, s12
	s_wait_xcnt 0x0
	s_and_not1_b32 exec_lo, exec_lo, s12
	s_cbranch_execz .LBB129_96
.LBB129_89:                             ; =>This Loop Header: Depth=1
                                        ;     Child Loop BB129_91 Depth 2
                                        ;     Child Loop BB129_95 Depth 2
	v_lshl_add_u32 v2, v0, 3, 0
	v_mov_b64_e32 v[6:7], s[0:1]
	s_and_not1_b32 vcc_lo, exec_lo, s10
	s_mov_b64 s[8:9], 0
	s_delay_alu instid0(VALU_DEP_2)
	v_add_nc_u32_e32 v3, 0x4000, v2
	ds_load_b64 v[4:5], v2
	ds_load_2addr_b32 v[2:3], v3 offset1:1
	s_cbranch_vccnz .LBB129_93
; %bb.90:                               ;   in Loop: Header=BB129_89 Depth=1
	v_mov_b64_e32 v[6:7], s[0:1]
	s_mov_b32 s13, 0
.LBB129_91:                             ;   Parent Loop BB129_89 Depth=1
                                        ; =>  This Inner Loop Header: Depth=2
	s_delay_alu instid0(SALU_CYCLE_1)
	v_dual_mov_b32 v20, s13 :: v_dual_mov_b32 v17, s23
	v_mov_b32_e32 v19, s23
	s_add_nc_u64 s[8:9], s[8:9], 8
	s_add_co_i32 s13, s13, 64
	ds_load_2addr_b64 v[8:11], v20 offset1:1
	ds_load_2addr_b64 v[12:15], v20 offset0:2 offset1:3
	s_cmp_eq_u64 s[2:3], s[8:9]
	s_wait_dscnt 0x1
	v_cmp_gt_i64_e32 vcc_lo, v[4:5], v[8:9]
	v_cndmask_b32_e64 v16, 0, 1, vcc_lo
	v_cmp_gt_i64_e32 vcc_lo, v[4:5], v[10:11]
	s_delay_alu instid0(VALU_DEP_2) | instskip(SKIP_4) | instid1(VALU_DEP_2)
	v_add_nc_u64_e32 v[10:11], v[6:7], v[16:17]
	ds_load_2addr_b64 v[6:9], v20 offset0:4 offset1:5
	v_cndmask_b32_e64 v18, 0, 1, vcc_lo
	s_wait_dscnt 0x1
	v_cmp_gt_i64_e32 vcc_lo, v[4:5], v[12:13]
	v_add_nc_u64_e32 v[10:11], v[10:11], v[18:19]
	v_cndmask_b32_e64 v16, 0, 1, vcc_lo
	v_cmp_gt_i64_e32 vcc_lo, v[4:5], v[14:15]
	s_delay_alu instid0(VALU_DEP_2)
	v_add_nc_u64_e32 v[14:15], v[10:11], v[16:17]
	ds_load_2addr_b64 v[10:13], v20 offset0:6 offset1:7
	v_cndmask_b32_e64 v18, 0, 1, vcc_lo
	s_wait_dscnt 0x1
	v_cmp_gt_i64_e32 vcc_lo, v[4:5], v[6:7]
	v_mov_b32_e32 v7, s23
	s_delay_alu instid0(VALU_DEP_3) | instskip(SKIP_3) | instid1(VALU_DEP_3)
	v_add_nc_u64_e32 v[14:15], v[14:15], v[18:19]
	v_cndmask_b32_e64 v16, 0, 1, vcc_lo
	v_cmp_gt_i64_e32 vcc_lo, v[4:5], v[8:9]
	v_mov_b32_e32 v9, s23
	v_add_nc_u64_e32 v[14:15], v[14:15], v[16:17]
	v_cndmask_b32_e64 v6, 0, 1, vcc_lo
	s_wait_dscnt 0x0
	v_cmp_gt_i64_e32 vcc_lo, v[4:5], v[10:11]
	v_mov_b32_e32 v11, s23
	s_delay_alu instid0(VALU_DEP_3) | instskip(SKIP_2) | instid1(VALU_DEP_2)
	v_add_nc_u64_e32 v[6:7], v[14:15], v[6:7]
	v_cndmask_b32_e64 v8, 0, 1, vcc_lo
	v_cmp_gt_i64_e32 vcc_lo, v[4:5], v[12:13]
	v_add_nc_u64_e32 v[6:7], v[6:7], v[8:9]
	v_cndmask_b32_e64 v10, 0, 1, vcc_lo
	s_delay_alu instid0(VALU_DEP_1)
	v_add_nc_u64_e32 v[6:7], v[6:7], v[10:11]
	s_cbranch_scc0 .LBB129_91
; %bb.92:                               ;   in Loop: Header=BB129_89 Depth=1
	s_mov_b64 s[8:9], s[2:3]
.LBB129_93:                             ;   in Loop: Header=BB129_89 Depth=1
	s_and_not1_b32 vcc_lo, exec_lo, s11
	s_cbranch_vccnz .LBB129_88
; %bb.94:                               ;   in Loop: Header=BB129_89 Depth=1
	s_lshl_b32 s8, s8, 3
	s_delay_alu instid0(SALU_CYCLE_1)
	s_add_co_i32 s13, s8, 0
	s_mov_b64 s[8:9], s[6:7]
.LBB129_95:                             ;   Parent Loop BB129_89 Depth=1
                                        ; =>  This Inner Loop Header: Depth=2
	v_dual_mov_b32 v8, s13 :: v_dual_mov_b32 v11, s23
	s_add_nc_u64 s[8:9], s[8:9], -1
	s_add_co_i32 s13, s13, 8
	s_cmp_lg_u64 s[8:9], 0
	ds_load_b64 v[8:9], v8
	s_wait_dscnt 0x0
	v_cmp_gt_i64_e32 vcc_lo, v[4:5], v[8:9]
	v_cndmask_b32_e64 v10, 0, 1, vcc_lo
	s_delay_alu instid0(VALU_DEP_1)
	v_add_nc_u64_e32 v[6:7], v[6:7], v[10:11]
	s_cbranch_scc1 .LBB129_95
	s_branch .LBB129_88
.LBB129_96:
	s_endpgm
	.section	.rodata,"a",@progbits
	.p2align	6, 0x0
	.amdhsa_kernel _ZN9rocsparseL41csrgemm_numeric_fill_block_per_row_kernelILj1024ELj32ELj2048ELj137ELj64Ell21rocsparse_complex_numIfEEEvT5_PKS3_S5_NS_24const_host_device_scalarIT6_EEPKT4_S5_PKS7_SB_S5_SD_S8_SB_S5_SD_SB_S5_PS7_21rocsparse_index_base_SF_SF_SF_bbb
		.amdhsa_group_segment_fixed_size 0
		.amdhsa_private_segment_fixed_size 0
		.amdhsa_kernarg_size 156
		.amdhsa_user_sgpr_count 2
		.amdhsa_user_sgpr_dispatch_ptr 0
		.amdhsa_user_sgpr_queue_ptr 0
		.amdhsa_user_sgpr_kernarg_segment_ptr 1
		.amdhsa_user_sgpr_dispatch_id 0
		.amdhsa_user_sgpr_kernarg_preload_length 0
		.amdhsa_user_sgpr_kernarg_preload_offset 0
		.amdhsa_user_sgpr_private_segment_size 0
		.amdhsa_wavefront_size32 1
		.amdhsa_uses_dynamic_stack 0
		.amdhsa_enable_private_segment 0
		.amdhsa_system_sgpr_workgroup_id_x 1
		.amdhsa_system_sgpr_workgroup_id_y 0
		.amdhsa_system_sgpr_workgroup_id_z 0
		.amdhsa_system_sgpr_workgroup_info 0
		.amdhsa_system_vgpr_workitem_id 0
		.amdhsa_next_free_vgpr 24
		.amdhsa_next_free_sgpr 49
		.amdhsa_named_barrier_count 0
		.amdhsa_reserve_vcc 1
		.amdhsa_float_round_mode_32 0
		.amdhsa_float_round_mode_16_64 0
		.amdhsa_float_denorm_mode_32 3
		.amdhsa_float_denorm_mode_16_64 3
		.amdhsa_fp16_overflow 0
		.amdhsa_memory_ordered 1
		.amdhsa_forward_progress 1
		.amdhsa_inst_pref_size 28
		.amdhsa_round_robin_scheduling 0
		.amdhsa_exception_fp_ieee_invalid_op 0
		.amdhsa_exception_fp_denorm_src 0
		.amdhsa_exception_fp_ieee_div_zero 0
		.amdhsa_exception_fp_ieee_overflow 0
		.amdhsa_exception_fp_ieee_underflow 0
		.amdhsa_exception_fp_ieee_inexact 0
		.amdhsa_exception_int_div_zero 0
	.end_amdhsa_kernel
	.section	.text._ZN9rocsparseL41csrgemm_numeric_fill_block_per_row_kernelILj1024ELj32ELj2048ELj137ELj64Ell21rocsparse_complex_numIfEEEvT5_PKS3_S5_NS_24const_host_device_scalarIT6_EEPKT4_S5_PKS7_SB_S5_SD_S8_SB_S5_SD_SB_S5_PS7_21rocsparse_index_base_SF_SF_SF_bbb,"axG",@progbits,_ZN9rocsparseL41csrgemm_numeric_fill_block_per_row_kernelILj1024ELj32ELj2048ELj137ELj64Ell21rocsparse_complex_numIfEEEvT5_PKS3_S5_NS_24const_host_device_scalarIT6_EEPKT4_S5_PKS7_SB_S5_SD_S8_SB_S5_SD_SB_S5_PS7_21rocsparse_index_base_SF_SF_SF_bbb,comdat
.Lfunc_end129:
	.size	_ZN9rocsparseL41csrgemm_numeric_fill_block_per_row_kernelILj1024ELj32ELj2048ELj137ELj64Ell21rocsparse_complex_numIfEEEvT5_PKS3_S5_NS_24const_host_device_scalarIT6_EEPKT4_S5_PKS7_SB_S5_SD_S8_SB_S5_SD_SB_S5_PS7_21rocsparse_index_base_SF_SF_SF_bbb, .Lfunc_end129-_ZN9rocsparseL41csrgemm_numeric_fill_block_per_row_kernelILj1024ELj32ELj2048ELj137ELj64Ell21rocsparse_complex_numIfEEEvT5_PKS3_S5_NS_24const_host_device_scalarIT6_EEPKT4_S5_PKS7_SB_S5_SD_S8_SB_S5_SD_SB_S5_PS7_21rocsparse_index_base_SF_SF_SF_bbb
                                        ; -- End function
	.set _ZN9rocsparseL41csrgemm_numeric_fill_block_per_row_kernelILj1024ELj32ELj2048ELj137ELj64Ell21rocsparse_complex_numIfEEEvT5_PKS3_S5_NS_24const_host_device_scalarIT6_EEPKT4_S5_PKS7_SB_S5_SD_S8_SB_S5_SD_SB_S5_PS7_21rocsparse_index_base_SF_SF_SF_bbb.num_vgpr, 24
	.set _ZN9rocsparseL41csrgemm_numeric_fill_block_per_row_kernelILj1024ELj32ELj2048ELj137ELj64Ell21rocsparse_complex_numIfEEEvT5_PKS3_S5_NS_24const_host_device_scalarIT6_EEPKT4_S5_PKS7_SB_S5_SD_S8_SB_S5_SD_SB_S5_PS7_21rocsparse_index_base_SF_SF_SF_bbb.num_agpr, 0
	.set _ZN9rocsparseL41csrgemm_numeric_fill_block_per_row_kernelILj1024ELj32ELj2048ELj137ELj64Ell21rocsparse_complex_numIfEEEvT5_PKS3_S5_NS_24const_host_device_scalarIT6_EEPKT4_S5_PKS7_SB_S5_SD_S8_SB_S5_SD_SB_S5_PS7_21rocsparse_index_base_SF_SF_SF_bbb.numbered_sgpr, 49
	.set _ZN9rocsparseL41csrgemm_numeric_fill_block_per_row_kernelILj1024ELj32ELj2048ELj137ELj64Ell21rocsparse_complex_numIfEEEvT5_PKS3_S5_NS_24const_host_device_scalarIT6_EEPKT4_S5_PKS7_SB_S5_SD_S8_SB_S5_SD_SB_S5_PS7_21rocsparse_index_base_SF_SF_SF_bbb.num_named_barrier, 0
	.set _ZN9rocsparseL41csrgemm_numeric_fill_block_per_row_kernelILj1024ELj32ELj2048ELj137ELj64Ell21rocsparse_complex_numIfEEEvT5_PKS3_S5_NS_24const_host_device_scalarIT6_EEPKT4_S5_PKS7_SB_S5_SD_S8_SB_S5_SD_SB_S5_PS7_21rocsparse_index_base_SF_SF_SF_bbb.private_seg_size, 0
	.set _ZN9rocsparseL41csrgemm_numeric_fill_block_per_row_kernelILj1024ELj32ELj2048ELj137ELj64Ell21rocsparse_complex_numIfEEEvT5_PKS3_S5_NS_24const_host_device_scalarIT6_EEPKT4_S5_PKS7_SB_S5_SD_S8_SB_S5_SD_SB_S5_PS7_21rocsparse_index_base_SF_SF_SF_bbb.uses_vcc, 1
	.set _ZN9rocsparseL41csrgemm_numeric_fill_block_per_row_kernelILj1024ELj32ELj2048ELj137ELj64Ell21rocsparse_complex_numIfEEEvT5_PKS3_S5_NS_24const_host_device_scalarIT6_EEPKT4_S5_PKS7_SB_S5_SD_S8_SB_S5_SD_SB_S5_PS7_21rocsparse_index_base_SF_SF_SF_bbb.uses_flat_scratch, 0
	.set _ZN9rocsparseL41csrgemm_numeric_fill_block_per_row_kernelILj1024ELj32ELj2048ELj137ELj64Ell21rocsparse_complex_numIfEEEvT5_PKS3_S5_NS_24const_host_device_scalarIT6_EEPKT4_S5_PKS7_SB_S5_SD_S8_SB_S5_SD_SB_S5_PS7_21rocsparse_index_base_SF_SF_SF_bbb.has_dyn_sized_stack, 0
	.set _ZN9rocsparseL41csrgemm_numeric_fill_block_per_row_kernelILj1024ELj32ELj2048ELj137ELj64Ell21rocsparse_complex_numIfEEEvT5_PKS3_S5_NS_24const_host_device_scalarIT6_EEPKT4_S5_PKS7_SB_S5_SD_S8_SB_S5_SD_SB_S5_PS7_21rocsparse_index_base_SF_SF_SF_bbb.has_recursion, 0
	.set _ZN9rocsparseL41csrgemm_numeric_fill_block_per_row_kernelILj1024ELj32ELj2048ELj137ELj64Ell21rocsparse_complex_numIfEEEvT5_PKS3_S5_NS_24const_host_device_scalarIT6_EEPKT4_S5_PKS7_SB_S5_SD_S8_SB_S5_SD_SB_S5_PS7_21rocsparse_index_base_SF_SF_SF_bbb.has_indirect_call, 0
	.section	.AMDGPU.csdata,"",@progbits
; Kernel info:
; codeLenInByte = 3468
; TotalNumSgprs: 51
; NumVgprs: 24
; ScratchSize: 0
; MemoryBound: 0
; FloatMode: 240
; IeeeMode: 1
; LDSByteSize: 0 bytes/workgroup (compile time only)
; SGPRBlocks: 0
; VGPRBlocks: 1
; NumSGPRsForWavesPerEU: 51
; NumVGPRsForWavesPerEU: 24
; NamedBarCnt: 0
; Occupancy: 16
; WaveLimiterHint : 1
; COMPUTE_PGM_RSRC2:SCRATCH_EN: 0
; COMPUTE_PGM_RSRC2:USER_SGPR: 2
; COMPUTE_PGM_RSRC2:TRAP_HANDLER: 0
; COMPUTE_PGM_RSRC2:TGID_X_EN: 1
; COMPUTE_PGM_RSRC2:TGID_Y_EN: 0
; COMPUTE_PGM_RSRC2:TGID_Z_EN: 0
; COMPUTE_PGM_RSRC2:TIDIG_COMP_CNT: 0
	.section	.text._ZN9rocsparseL41csrgemm_numeric_fill_block_per_row_kernelILj1024ELj64ELj4096ELj137ELj32Ell21rocsparse_complex_numIfEEEvT5_PKS3_S5_NS_24const_host_device_scalarIT6_EEPKT4_S5_PKS7_SB_S5_SD_S8_SB_S5_SD_SB_S5_PS7_21rocsparse_index_base_SF_SF_SF_bbb,"axG",@progbits,_ZN9rocsparseL41csrgemm_numeric_fill_block_per_row_kernelILj1024ELj64ELj4096ELj137ELj32Ell21rocsparse_complex_numIfEEEvT5_PKS3_S5_NS_24const_host_device_scalarIT6_EEPKT4_S5_PKS7_SB_S5_SD_S8_SB_S5_SD_SB_S5_PS7_21rocsparse_index_base_SF_SF_SF_bbb,comdat
	.globl	_ZN9rocsparseL41csrgemm_numeric_fill_block_per_row_kernelILj1024ELj64ELj4096ELj137ELj32Ell21rocsparse_complex_numIfEEEvT5_PKS3_S5_NS_24const_host_device_scalarIT6_EEPKT4_S5_PKS7_SB_S5_SD_S8_SB_S5_SD_SB_S5_PS7_21rocsparse_index_base_SF_SF_SF_bbb ; -- Begin function _ZN9rocsparseL41csrgemm_numeric_fill_block_per_row_kernelILj1024ELj64ELj4096ELj137ELj32Ell21rocsparse_complex_numIfEEEvT5_PKS3_S5_NS_24const_host_device_scalarIT6_EEPKT4_S5_PKS7_SB_S5_SD_S8_SB_S5_SD_SB_S5_PS7_21rocsparse_index_base_SF_SF_SF_bbb
	.p2align	8
	.type	_ZN9rocsparseL41csrgemm_numeric_fill_block_per_row_kernelILj1024ELj64ELj4096ELj137ELj32Ell21rocsparse_complex_numIfEEEvT5_PKS3_S5_NS_24const_host_device_scalarIT6_EEPKT4_S5_PKS7_SB_S5_SD_S8_SB_S5_SD_SB_S5_PS7_21rocsparse_index_base_SF_SF_SF_bbb,@function
_ZN9rocsparseL41csrgemm_numeric_fill_block_per_row_kernelILj1024ELj64ELj4096ELj137ELj32Ell21rocsparse_complex_numIfEEEvT5_PKS3_S5_NS_24const_host_device_scalarIT6_EEPKT4_S5_PKS7_SB_S5_SD_S8_SB_S5_SD_SB_S5_PS7_21rocsparse_index_base_SF_SF_SF_bbb: ; @_ZN9rocsparseL41csrgemm_numeric_fill_block_per_row_kernelILj1024ELj64ELj4096ELj137ELj32Ell21rocsparse_complex_numIfEEEvT5_PKS3_S5_NS_24const_host_device_scalarIT6_EEPKT4_S5_PKS7_SB_S5_SD_S8_SB_S5_SD_SB_S5_PS7_21rocsparse_index_base_SF_SF_SF_bbb
; %bb.0:
	s_clause 0x3
	s_load_b32 s22, s[0:1], 0x98
	s_load_b128 s[44:47], s[0:1], 0x88
	s_load_b64 s[16:17], s[0:1], 0x8
	s_load_b64 s[20:21], s[0:1], 0x50
	s_mov_b32 s3, 0
	s_mov_b32 s24, 0
	s_wait_kmcnt 0x0
	s_bitcmp1_b32 s22, 0
	s_cselect_b32 s25, -1, 0
	s_bitcmp1_b32 s22, 16
	s_cselect_b32 s2, -1, 0
	s_delay_alu instid0(SALU_CYCLE_1) | instskip(SKIP_2) | instid1(VALU_DEP_1)
	s_xor_b32 s4, s2, -1
	s_bitcmp0_b32 s22, 0
	v_cndmask_b32_e64 v1, 0, 1, s4
	v_cmp_ne_u32_e32 vcc_lo, 1, v1
	s_cbranch_scc1 .LBB130_5
; %bb.1:
	s_load_b64 s[2:3], s[0:1], 0x18
	s_and_b32 vcc_lo, exec_lo, vcc_lo
	s_wait_kmcnt 0x0
	s_mov_b32 s24, s2
	s_cbranch_vccnz .LBB130_3
; %bb.2:
	s_load_b32 s24, s[2:3], 0x0
.LBB130_3:
	s_and_not1_b32 vcc_lo, exec_lo, s4
	s_cbranch_vccnz .LBB130_5
; %bb.4:
	s_wait_xcnt 0x0
	s_load_b32 s3, s[2:3], 0x4
.LBB130_5:
	s_clause 0x4
	s_load_b64 s[34:35], s[0:1], 0x80
	s_load_b256 s[36:43], s[0:1], 0x58
	s_load_b128 s[12:15], s[0:1], 0x40
	s_load_b64 s[18:19], s[0:1], 0x10
	s_load_b256 s[4:11], s[0:1], 0x20
	s_bitcmp1_b32 s22, 8
	s_wait_xcnt 0x0
	s_cselect_b32 s2, -1, 0
	s_bfe_u32 s23, s22, 0x10008
	s_mov_b32 s22, 0
	s_cmp_eq_u32 s23, 0
	s_mov_b32 s23, 0
	s_cbranch_scc1 .LBB130_11
; %bb.6:
	v_cmp_ne_u32_e32 vcc_lo, 1, v1
	s_mov_b32 s22, s20
	s_cbranch_vccnz .LBB130_8
; %bb.7:
	s_load_b32 s22, s[20:21], 0x0
.LBB130_8:
	v_cmp_ne_u32_e32 vcc_lo, 1, v1
	s_cbranch_vccnz .LBB130_10
; %bb.9:
	s_wait_xcnt 0x0
	s_load_b32 s21, s[20:21], 0x4
.LBB130_10:
	s_wait_kmcnt 0x0
	s_mov_b32 s23, s21
.LBB130_11:
	s_load_b64 s[48:49], s[0:1], 0x0
	v_lshl_add_u32 v20, v0, 3, 0
	v_or_b32_e32 v21, 0xfffffc00, v0
	v_mov_b32_e32 v1, 0
	s_wait_xcnt 0x0
	s_mov_b32 s0, 0
	s_delay_alu instid0(VALU_DEP_2)
	v_dual_mov_b32 v4, v20 :: v_dual_mov_b32 v5, v21
	s_wait_kmcnt 0x0
	v_mov_b64_e32 v[2:3], s[48:49]
.LBB130_12:                             ; =>This Inner Loop Header: Depth=1
	s_delay_alu instid0(VALU_DEP_2) | instskip(NEXT) | instid1(VALU_DEP_3)
	v_add_nc_u32_e32 v5, 0x400, v5
	v_add_nc_u32_e32 v6, 0x8000, v4
	ds_store_b64 v4, v[2:3]
	v_add_nc_u32_e32 v4, 0x2000, v4
	v_cmp_lt_u32_e32 vcc_lo, 0xbff, v5
	ds_store_2addr_b32 v6, v1, v1 offset1:1
	s_or_b32 s0, vcc_lo, s0
	s_delay_alu instid0(SALU_CYCLE_1)
	s_and_not1_b32 exec_lo, exec_lo, s0
	s_cbranch_execnz .LBB130_12
; %bb.13:
	s_or_b32 exec_lo, exec_lo, s0
	s_wait_dscnt 0x0
	s_barrier_signal -1
	s_barrier_wait -1
	s_load_b64 s[0:1], s[16:17], 0x0
	s_wait_xcnt 0x0
	s_bfe_u32 s16, ttmp6, 0x4000c
	s_and_b32 s17, ttmp6, 15
	s_add_co_i32 s16, s16, 1
	s_getreg_b32 s20, hwreg(HW_REG_IB_STS2, 6, 4)
	s_mul_i32 s16, ttmp9, s16
	s_delay_alu instid0(SALU_CYCLE_1)
	s_add_co_i32 s17, s17, s16
	s_wait_kmcnt 0x0
	s_lshl_b64 s[0:1], s[0:1], 3
	s_cmp_eq_u32 s20, 0
	s_add_nc_u64 s[0:1], s[18:19], s[0:1]
	s_cselect_b32 s16, ttmp9, s17
	s_and_b32 vcc_lo, exec_lo, s25
	s_load_b64 s[50:51], s[0:1], s16 offset:0x0 scale_offset
	s_wait_xcnt 0x0
	s_mov_b32 s1, 0
	s_cbranch_vccz .LBB130_33
; %bb.14:
	s_wait_kmcnt 0x0
	s_lshl_b64 s[16:17], s[50:51], 3
	v_dual_mov_b32 v5, 0 :: v_dual_lshrrev_b32 v4, 6, v0
	s_add_nc_u64 s[4:5], s[4:5], s[16:17]
	s_mov_b32 s0, s44
	s_load_b128 s[16:19], s[4:5], 0x0
	s_delay_alu instid0(VALU_DEP_1) | instskip(SKIP_1) | instid1(VALU_DEP_1)
	v_sub_nc_u64_e64 v[2:3], v[4:5], s[0:1]
	s_wait_kmcnt 0x0
	v_add_nc_u64_e32 v[2:3], s[16:17], v[2:3]
	s_sub_nc_u64 s[4:5], s[18:19], s[0:1]
	s_mov_b32 s18, exec_lo
	s_delay_alu instid0(VALU_DEP_1)
	v_cmpx_gt_i64_e64 s[4:5], v[2:3]
	s_cbranch_execz .LBB130_32
; %bb.15:
	v_and_b32_e32 v4, 63, v0
	s_mov_b32 s17, 0
	s_mov_b32 s16, s45
	;; [unrolled: 1-line block ×3, first 2 shown]
	s_delay_alu instid0(VALU_DEP_1)
	v_sub_nc_u64_e64 v[4:5], v[4:5], s[16:17]
	s_branch .LBB130_17
.LBB130_16:                             ;   in Loop: Header=BB130_17 Depth=1
	s_or_b32 exec_lo, exec_lo, s20
	v_add_nc_u64_e32 v[2:3], 16, v[2:3]
	s_delay_alu instid0(VALU_DEP_1) | instskip(SKIP_1) | instid1(SALU_CYCLE_1)
	v_cmp_le_i64_e32 vcc_lo, s[4:5], v[2:3]
	s_or_b32 s19, vcc_lo, s19
	s_and_not1_b32 exec_lo, exec_lo, s19
	s_cbranch_execz .LBB130_32
.LBB130_17:                             ; =>This Loop Header: Depth=1
                                        ;     Child Loop BB130_21 Depth 2
                                        ;       Child Loop BB130_24 Depth 3
	v_lshl_add_u64 v[6:7], v[2:3], 3, s[6:7]
	s_mov_b32 s20, exec_lo
	global_load_b64 v[6:7], v[6:7], off
	s_wait_loadcnt 0x0
	s_wait_xcnt 0x0
	v_sub_nc_u64_e64 v[6:7], v[6:7], s[0:1]
	s_delay_alu instid0(VALU_DEP_1)
	v_lshl_add_u64 v[6:7], v[6:7], 3, s[10:11]
	global_load_b128 v[8:11], v[6:7], off
	s_wait_loadcnt 0x0
	s_wait_xcnt 0x0
	v_sub_nc_u64_e64 v[6:7], v[10:11], s[16:17]
	v_add_nc_u64_e32 v[8:9], v[8:9], v[4:5]
	s_delay_alu instid0(VALU_DEP_1)
	v_cmpx_lt_i64_e64 v[8:9], v[6:7]
	s_cbranch_execz .LBB130_16
; %bb.18:                               ;   in Loop: Header=BB130_17 Depth=1
	v_lshl_add_u64 v[10:11], v[2:3], 3, s[8:9]
	s_mov_b32 s21, 0
	global_load_b64 v[10:11], v[10:11], off
	s_wait_loadcnt 0x0
	v_mul_f32_e64 v1, v11, -s3
	s_delay_alu instid0(VALU_DEP_1) | instskip(NEXT) | instid1(VALU_DEP_1)
	v_dual_mul_f32 v22, s24, v11 :: v_dual_fmac_f32 v1, s24, v10
	v_fmac_f32_e32 v22, s3, v10
	s_branch .LBB130_21
.LBB130_19:                             ;   in Loop: Header=BB130_21 Depth=2
	s_or_b32 exec_lo, exec_lo, s26
.LBB130_20:                             ;   in Loop: Header=BB130_21 Depth=2
	s_delay_alu instid0(SALU_CYCLE_1) | instskip(SKIP_4) | instid1(VALU_DEP_3)
	s_or_b32 exec_lo, exec_lo, s25
	s_wait_loadcnt 0x0
	v_dual_mul_f32 v13, v11, -v22 :: v_dual_mul_f32 v11, v1, v11
	v_lshl_add_u32 v12, v12, 3, 0
	v_add_nc_u64_e32 v[8:9], 64, v[8:9]
	v_dual_fmac_f32 v13, v1, v10 :: v_dual_fmac_f32 v11, v22, v10
	ds_add_f32 v12, v13 offset:32768
	ds_add_f32 v12, v11 offset:32772
	v_cmp_ge_i64_e32 vcc_lo, v[8:9], v[6:7]
	s_or_b32 s21, vcc_lo, s21
	s_delay_alu instid0(SALU_CYCLE_1)
	s_and_not1_b32 exec_lo, exec_lo, s21
	s_cbranch_execz .LBB130_16
.LBB130_21:                             ;   Parent Loop BB130_17 Depth=1
                                        ; =>  This Loop Header: Depth=2
                                        ;       Child Loop BB130_24 Depth 3
	s_wait_xcnt 0x0
	v_lshlrev_b64_e32 v[10:11], 3, v[8:9]
	s_mov_b32 s25, exec_lo
	s_delay_alu instid0(VALU_DEP_1)
	v_add_nc_u64_e32 v[12:13], s[12:13], v[10:11]
	v_add_nc_u64_e32 v[10:11], s[14:15], v[10:11]
	global_load_b64 v[12:13], v[12:13], off
	global_load_b64 v[10:11], v[10:11], off
	s_wait_loadcnt 0x1
	v_sub_nc_u64_e64 v[14:15], v[12:13], s[16:17]
	s_wait_xcnt 0x1
	s_delay_alu instid0(VALU_DEP_1) | instskip(NEXT) | instid1(VALU_DEP_1)
	v_mul_lo_u32 v12, 0x89, v14
	v_and_b32_e32 v12, 0xfff, v12
	s_delay_alu instid0(VALU_DEP_1)
	v_lshl_add_u32 v23, v12, 3, 0
	ds_load_b64 v[18:19], v23
	s_wait_dscnt 0x0
	s_wait_xcnt 0x0
	v_cmpx_ne_u64_e64 v[18:19], v[14:15]
	s_cbranch_execz .LBB130_20
; %bb.22:                               ;   in Loop: Header=BB130_21 Depth=2
	s_mov_b32 s26, 0
                                        ; implicit-def: $sgpr27
                                        ; implicit-def: $sgpr28
	s_branch .LBB130_24
.LBB130_23:                             ;   in Loop: Header=BB130_24 Depth=3
	s_or_b32 exec_lo, exec_lo, s31
	s_delay_alu instid0(SALU_CYCLE_1) | instskip(NEXT) | instid1(SALU_CYCLE_1)
	s_and_b32 s29, exec_lo, s30
	s_or_b32 s26, s29, s26
	s_and_not1_b32 s27, s27, exec_lo
	s_and_b32 s29, s28, exec_lo
	s_delay_alu instid0(SALU_CYCLE_1)
	s_or_b32 s27, s27, s29
	s_and_not1_b32 exec_lo, exec_lo, s26
	s_cbranch_execz .LBB130_30
.LBB130_24:                             ;   Parent Loop BB130_17 Depth=1
                                        ;     Parent Loop BB130_21 Depth=2
                                        ; =>    This Inner Loop Header: Depth=3
	v_mov_b64_e32 v[16:17], v[12:13]
	s_mov_b32 s29, 0
	s_mov_b32 s30, exec_lo
                                        ; implicit-def: $vgpr12_vgpr13
	v_cmpx_ne_u64_e64 s[48:49], v[18:19]
	s_xor_b32 s30, exec_lo, s30
; %bb.25:                               ;   in Loop: Header=BB130_24 Depth=3
	s_delay_alu instid0(VALU_DEP_2) | instskip(SKIP_1) | instid1(VALU_DEP_1)
	v_add_nc_u32_e32 v12, 1, v16
	s_mov_b32 s29, exec_lo
                                        ; implicit-def: $vgpr23
	v_and_b32_e32 v12, 0xfff, v12
; %bb.26:                               ;   in Loop: Header=BB130_24 Depth=3
	s_and_not1_saveexec_b32 s30, s30
	s_cbranch_execz .LBB130_28
; %bb.27:                               ;   in Loop: Header=BB130_24 Depth=3
	v_mov_b64_e32 v[12:13], s[48:49]
	s_and_not1_b32 s29, s29, exec_lo
	ds_cmpstore_rtn_b64 v[12:13], v23, v[14:15], v[12:13]
	s_wait_dscnt 0x0
	v_cmp_ne_u64_e32 vcc_lo, s[48:49], v[12:13]
	v_mov_b64_e32 v[12:13], v[16:17]
	s_and_b32 s31, vcc_lo, exec_lo
	s_delay_alu instid0(SALU_CYCLE_1)
	s_or_b32 s29, s29, s31
.LBB130_28:                             ;   in Loop: Header=BB130_24 Depth=3
	s_or_b32 exec_lo, exec_lo, s30
	s_mov_b32 s30, -1
	s_or_b32 s28, s28, exec_lo
                                        ; implicit-def: $vgpr23
                                        ; implicit-def: $vgpr18_vgpr19
	s_and_saveexec_b32 s31, s29
	s_cbranch_execz .LBB130_23
; %bb.29:                               ;   in Loop: Header=BB130_24 Depth=3
	v_lshl_add_u32 v23, v12, 3, 0
	s_and_not1_b32 s28, s28, exec_lo
	ds_load_b64 v[18:19], v23
	s_wait_dscnt 0x0
	v_cmp_eq_u64_e32 vcc_lo, v[18:19], v[14:15]
	s_or_not1_b32 s30, vcc_lo, exec_lo
	s_branch .LBB130_23
.LBB130_30:                             ;   in Loop: Header=BB130_21 Depth=2
	s_or_b32 exec_lo, exec_lo, s26
	s_and_saveexec_b32 s26, s27
	s_delay_alu instid0(SALU_CYCLE_1)
	s_xor_b32 s26, exec_lo, s26
	s_cbranch_execz .LBB130_19
; %bb.31:                               ;   in Loop: Header=BB130_21 Depth=2
	v_mov_b32_e32 v12, v16
	s_branch .LBB130_19
.LBB130_32:
	s_or_b32 exec_lo, exec_lo, s18
.LBB130_33:
	s_delay_alu instid0(SALU_CYCLE_1)
	s_and_not1_b32 vcc_lo, exec_lo, s2
	s_cbranch_vccnz .LBB130_50
; %bb.34:
	s_wait_kmcnt 0x0
	s_lshl_b64 s[0:1], s[50:51], 3
	v_mov_b32_e32 v1, 0
	s_add_nc_u64 s[0:1], s[36:37], s[0:1]
	s_load_b128 s[4:7], s[0:1], 0x0
	s_wait_xcnt 0x0
	s_mov_b32 s1, 0
	s_mov_b32 s0, s47
	s_delay_alu instid0(SALU_CYCLE_1) | instskip(SKIP_1) | instid1(VALU_DEP_1)
	v_sub_nc_u64_e64 v[2:3], v[0:1], s[0:1]
	s_wait_kmcnt 0x0
	v_add_nc_u64_e32 v[2:3], s[4:5], v[2:3]
	s_sub_nc_u64 s[2:3], s[6:7], s[0:1]
	s_mov_b32 s4, exec_lo
	s_delay_alu instid0(VALU_DEP_1)
	v_cmpx_gt_i64_e64 s[2:3], v[2:3]
	s_cbranch_execz .LBB130_49
; %bb.35:
	s_mov_b32 s5, s1
	s_branch .LBB130_38
.LBB130_36:                             ;   in Loop: Header=BB130_38 Depth=1
	s_or_b32 exec_lo, exec_lo, s7
.LBB130_37:                             ;   in Loop: Header=BB130_38 Depth=1
	s_delay_alu instid0(SALU_CYCLE_1)
	s_or_b32 exec_lo, exec_lo, s6
	s_wait_loadcnt 0x0
	v_mul_f32_e64 v1, v5, -s23
	v_mul_f32_e32 v5, s22, v5
	v_lshl_add_u32 v6, v6, 3, 0
	v_add_nc_u64_e32 v[2:3], 0x400, v[2:3]
	s_delay_alu instid0(VALU_DEP_4) | instskip(NEXT) | instid1(VALU_DEP_4)
	v_fmac_f32_e32 v1, s22, v4
	v_fmac_f32_e32 v5, s23, v4
	ds_add_f32 v6, v1 offset:32768
	ds_add_f32 v6, v5 offset:32772
	v_cmp_le_i64_e32 vcc_lo, s[2:3], v[2:3]
	s_or_b32 s5, vcc_lo, s5
	s_delay_alu instid0(SALU_CYCLE_1)
	s_and_not1_b32 exec_lo, exec_lo, s5
	s_cbranch_execz .LBB130_49
.LBB130_38:                             ; =>This Loop Header: Depth=1
                                        ;     Child Loop BB130_41 Depth 2
	v_lshlrev_b64_e32 v[4:5], 3, v[2:3]
	s_mov_b32 s6, exec_lo
	s_delay_alu instid0(VALU_DEP_1)
	v_add_nc_u64_e32 v[6:7], s[38:39], v[4:5]
	v_add_nc_u64_e32 v[4:5], s[40:41], v[4:5]
	global_load_b64 v[6:7], v[6:7], off
	global_load_b64 v[4:5], v[4:5], off
	s_wait_loadcnt 0x1
	v_sub_nc_u64_e64 v[8:9], v[6:7], s[0:1]
	s_delay_alu instid0(VALU_DEP_1) | instskip(NEXT) | instid1(VALU_DEP_1)
	v_mul_lo_u32 v1, 0x89, v8
	v_and_b32_e32 v6, 0xfff, v1
	s_delay_alu instid0(VALU_DEP_1)
	v_lshl_add_u32 v1, v6, 3, 0
	ds_load_b64 v[12:13], v1
	s_wait_dscnt 0x0
	s_wait_xcnt 0x0
	v_cmpx_ne_u64_e64 v[12:13], v[8:9]
	s_cbranch_execz .LBB130_37
; %bb.39:                               ;   in Loop: Header=BB130_38 Depth=1
	s_mov_b32 s7, 0
                                        ; implicit-def: $sgpr8
                                        ; implicit-def: $sgpr9
	s_branch .LBB130_41
.LBB130_40:                             ;   in Loop: Header=BB130_41 Depth=2
	s_or_b32 exec_lo, exec_lo, s12
	s_delay_alu instid0(SALU_CYCLE_1) | instskip(NEXT) | instid1(SALU_CYCLE_1)
	s_and_b32 s10, exec_lo, s11
	s_or_b32 s7, s10, s7
	s_and_not1_b32 s8, s8, exec_lo
	s_and_b32 s10, s9, exec_lo
	s_delay_alu instid0(SALU_CYCLE_1)
	s_or_b32 s8, s8, s10
	s_and_not1_b32 exec_lo, exec_lo, s7
	s_cbranch_execz .LBB130_47
.LBB130_41:                             ;   Parent Loop BB130_38 Depth=1
                                        ; =>  This Inner Loop Header: Depth=2
	v_mov_b64_e32 v[10:11], v[6:7]
	s_mov_b32 s10, 0
	s_mov_b32 s11, exec_lo
                                        ; implicit-def: $vgpr6_vgpr7
	v_cmpx_ne_u64_e64 s[48:49], v[12:13]
	s_xor_b32 s11, exec_lo, s11
; %bb.42:                               ;   in Loop: Header=BB130_41 Depth=2
	s_delay_alu instid0(VALU_DEP_2) | instskip(SKIP_1) | instid1(VALU_DEP_1)
	v_add_nc_u32_e32 v1, 1, v10
	s_mov_b32 s10, exec_lo
	v_and_b32_e32 v6, 0xfff, v1
                                        ; implicit-def: $vgpr1
; %bb.43:                               ;   in Loop: Header=BB130_41 Depth=2
	s_and_not1_saveexec_b32 s11, s11
	s_cbranch_execz .LBB130_45
; %bb.44:                               ;   in Loop: Header=BB130_41 Depth=2
	v_mov_b64_e32 v[6:7], s[48:49]
	s_and_not1_b32 s10, s10, exec_lo
	ds_cmpstore_rtn_b64 v[6:7], v1, v[8:9], v[6:7]
	s_wait_dscnt 0x0
	v_cmp_ne_u64_e32 vcc_lo, s[48:49], v[6:7]
	v_mov_b64_e32 v[6:7], v[10:11]
	s_and_b32 s12, vcc_lo, exec_lo
	s_delay_alu instid0(SALU_CYCLE_1)
	s_or_b32 s10, s10, s12
.LBB130_45:                             ;   in Loop: Header=BB130_41 Depth=2
	s_or_b32 exec_lo, exec_lo, s11
	s_mov_b32 s11, -1
	s_or_b32 s9, s9, exec_lo
                                        ; implicit-def: $vgpr1
                                        ; implicit-def: $vgpr12_vgpr13
	s_and_saveexec_b32 s12, s10
	s_cbranch_execz .LBB130_40
; %bb.46:                               ;   in Loop: Header=BB130_41 Depth=2
	v_lshl_add_u32 v1, v6, 3, 0
	s_and_not1_b32 s9, s9, exec_lo
	ds_load_b64 v[12:13], v1
	s_wait_dscnt 0x0
	v_cmp_eq_u64_e32 vcc_lo, v[12:13], v[8:9]
	s_or_not1_b32 s11, vcc_lo, exec_lo
	s_branch .LBB130_40
.LBB130_47:                             ;   in Loop: Header=BB130_38 Depth=1
	s_or_b32 exec_lo, exec_lo, s7
	s_and_saveexec_b32 s7, s8
	s_delay_alu instid0(SALU_CYCLE_1)
	s_xor_b32 s7, exec_lo, s7
	s_cbranch_execz .LBB130_36
; %bb.48:                               ;   in Loop: Header=BB130_38 Depth=1
	v_mov_b32_e32 v6, v10
	s_branch .LBB130_36
.LBB130_49:
	s_or_b32 exec_lo, exec_lo, s4
.LBB130_50:
	v_mbcnt_lo_u32_b32 v1, -1, 0
	v_lshrrev_b32_e32 v2, 2, v0
	v_mov_b64_e32 v[6:7], 0
	v_mov_b32_e32 v3, 0
	v_cmp_lt_u32_e64 s0, 31, v0
	v_xor_b32_e32 v1, 31, v1
	v_and_b32_e32 v2, 0xf8, v2
	v_cmp_lt_u32_e64 s1, 63, v0
	v_cmp_lt_u32_e64 s2, 0x5f, v0
	;; [unrolled: 1-line block ×3, first 2 shown]
	v_lshrrev_b32_e64 v4, v1, -1
	v_add3_u32 v1, 0x10000, 0, v2
	v_cmp_lt_u32_e64 s4, 0x9f, v0
	v_cmp_lt_u32_e64 s5, 0xbf, v0
	;; [unrolled: 1-line block ×27, first 2 shown]
	s_mov_b32 s33, 0
	s_add_co_i32 s36, 0, 0x10000
	s_add_co_i32 s37, 0, 0x10008
	;; [unrolled: 1-line block ×32, first 2 shown]
	s_wait_dscnt 0x0
	s_barrier_signal -1
	s_barrier_wait -1
	v_cmp_eq_u32_e32 vcc_lo, 0x3ff, v0
	s_branch .LBB130_52
.LBB130_51:                             ;   in Loop: Header=BB130_52 Depth=1
	s_or_b32 exec_lo, exec_lo, s31
	v_dual_mov_b32 v2, s74 :: v_dual_add_nc_u32 v21, 0x400, v21
	s_wait_dscnt 0x0
	s_barrier_signal -1
	s_barrier_wait -1
	ds_load_b64 v[8:9], v2
	v_cmp_lt_u32_e64 s31, 0xbff, v21
	v_add_nc_u32_e32 v20, 0x2000, v20
	s_or_b32 s33, s31, s33
	s_wait_dscnt 0x0
	v_add_nc_u64_e32 v[6:7], v[8:9], v[6:7]
	s_and_not1_b32 exec_lo, exec_lo, s33
	s_cbranch_execz .LBB130_118
.LBB130_52:                             ; =>This Inner Loop Header: Depth=1
	ds_load_b64 v[8:9], v20
	v_add_nc_u32_e32 v2, 0x8000, v20
	ds_load_2addr_b32 v[10:11], v2 offset1:1
	s_wait_dscnt 0x0
	s_barrier_signal -1
	s_barrier_wait -1
	v_cmp_gt_i64_e64 s31, s[48:49], v[8:9]
	s_bcnt1_i32_b32 s75, s31
	s_delay_alu instid0(SALU_CYCLE_1) | instskip(NEXT) | instid1(VALU_DEP_1)
	v_dual_mov_b32 v2, s75 :: v_dual_bitop2_b32 v5, s31, v4 bitop3:0x40
	v_bcnt_u32_b32 v12, v5, 0
	ds_store_b64 v1, v[2:3]
	s_wait_dscnt 0x0
	s_barrier_signal -1
	s_barrier_wait -1
	s_and_saveexec_b32 s75, s0
	s_cbranch_execnz .LBB130_85
; %bb.53:                               ;   in Loop: Header=BB130_52 Depth=1
	s_or_b32 exec_lo, exec_lo, s75
	s_and_saveexec_b32 s75, s1
	s_cbranch_execnz .LBB130_86
.LBB130_54:                             ;   in Loop: Header=BB130_52 Depth=1
	s_or_b32 exec_lo, exec_lo, s75
	s_and_saveexec_b32 s75, s2
	s_cbranch_execnz .LBB130_87
.LBB130_55:                             ;   in Loop: Header=BB130_52 Depth=1
	s_or_b32 exec_lo, exec_lo, s75
	s_and_saveexec_b32 s75, s3
	s_cbranch_execnz .LBB130_88
.LBB130_56:                             ;   in Loop: Header=BB130_52 Depth=1
	s_or_b32 exec_lo, exec_lo, s75
	s_and_saveexec_b32 s75, s4
	s_cbranch_execnz .LBB130_89
.LBB130_57:                             ;   in Loop: Header=BB130_52 Depth=1
	s_or_b32 exec_lo, exec_lo, s75
	s_and_saveexec_b32 s75, s5
	s_cbranch_execnz .LBB130_90
.LBB130_58:                             ;   in Loop: Header=BB130_52 Depth=1
	s_or_b32 exec_lo, exec_lo, s75
	s_and_saveexec_b32 s75, s6
	s_cbranch_execnz .LBB130_91
.LBB130_59:                             ;   in Loop: Header=BB130_52 Depth=1
	s_or_b32 exec_lo, exec_lo, s75
	s_and_saveexec_b32 s75, s7
	s_cbranch_execnz .LBB130_92
.LBB130_60:                             ;   in Loop: Header=BB130_52 Depth=1
	s_or_b32 exec_lo, exec_lo, s75
	s_and_saveexec_b32 s75, s8
	s_cbranch_execnz .LBB130_93
.LBB130_61:                             ;   in Loop: Header=BB130_52 Depth=1
	s_or_b32 exec_lo, exec_lo, s75
	s_and_saveexec_b32 s75, s9
	s_cbranch_execnz .LBB130_94
.LBB130_62:                             ;   in Loop: Header=BB130_52 Depth=1
	s_or_b32 exec_lo, exec_lo, s75
	s_and_saveexec_b32 s75, s10
	s_cbranch_execnz .LBB130_95
.LBB130_63:                             ;   in Loop: Header=BB130_52 Depth=1
	s_or_b32 exec_lo, exec_lo, s75
	s_and_saveexec_b32 s75, s11
	s_cbranch_execnz .LBB130_96
.LBB130_64:                             ;   in Loop: Header=BB130_52 Depth=1
	s_or_b32 exec_lo, exec_lo, s75
	s_and_saveexec_b32 s75, s12
	s_cbranch_execnz .LBB130_97
.LBB130_65:                             ;   in Loop: Header=BB130_52 Depth=1
	s_or_b32 exec_lo, exec_lo, s75
	s_and_saveexec_b32 s75, s13
	s_cbranch_execnz .LBB130_98
.LBB130_66:                             ;   in Loop: Header=BB130_52 Depth=1
	s_or_b32 exec_lo, exec_lo, s75
	s_and_saveexec_b32 s75, s14
	s_cbranch_execnz .LBB130_99
.LBB130_67:                             ;   in Loop: Header=BB130_52 Depth=1
	s_or_b32 exec_lo, exec_lo, s75
	s_and_saveexec_b32 s75, s15
	s_cbranch_execnz .LBB130_100
.LBB130_68:                             ;   in Loop: Header=BB130_52 Depth=1
	s_or_b32 exec_lo, exec_lo, s75
	s_and_saveexec_b32 s75, s16
	s_cbranch_execnz .LBB130_101
.LBB130_69:                             ;   in Loop: Header=BB130_52 Depth=1
	s_or_b32 exec_lo, exec_lo, s75
	s_and_saveexec_b32 s75, s17
	s_cbranch_execnz .LBB130_102
.LBB130_70:                             ;   in Loop: Header=BB130_52 Depth=1
	s_or_b32 exec_lo, exec_lo, s75
	s_and_saveexec_b32 s75, s18
	s_cbranch_execnz .LBB130_103
.LBB130_71:                             ;   in Loop: Header=BB130_52 Depth=1
	s_or_b32 exec_lo, exec_lo, s75
	s_and_saveexec_b32 s75, s19
	s_cbranch_execnz .LBB130_104
.LBB130_72:                             ;   in Loop: Header=BB130_52 Depth=1
	s_or_b32 exec_lo, exec_lo, s75
	s_and_saveexec_b32 s75, s20
	s_cbranch_execnz .LBB130_105
.LBB130_73:                             ;   in Loop: Header=BB130_52 Depth=1
	s_or_b32 exec_lo, exec_lo, s75
	s_and_saveexec_b32 s75, s21
	s_cbranch_execnz .LBB130_106
.LBB130_74:                             ;   in Loop: Header=BB130_52 Depth=1
	s_or_b32 exec_lo, exec_lo, s75
	s_and_saveexec_b32 s75, s22
	s_cbranch_execnz .LBB130_107
.LBB130_75:                             ;   in Loop: Header=BB130_52 Depth=1
	s_or_b32 exec_lo, exec_lo, s75
	s_and_saveexec_b32 s75, s23
	s_cbranch_execnz .LBB130_108
.LBB130_76:                             ;   in Loop: Header=BB130_52 Depth=1
	s_or_b32 exec_lo, exec_lo, s75
	s_and_saveexec_b32 s75, s24
	s_cbranch_execnz .LBB130_109
.LBB130_77:                             ;   in Loop: Header=BB130_52 Depth=1
	s_or_b32 exec_lo, exec_lo, s75
	s_and_saveexec_b32 s75, s25
	s_cbranch_execnz .LBB130_110
.LBB130_78:                             ;   in Loop: Header=BB130_52 Depth=1
	s_or_b32 exec_lo, exec_lo, s75
	s_and_saveexec_b32 s75, s26
	s_cbranch_execnz .LBB130_111
.LBB130_79:                             ;   in Loop: Header=BB130_52 Depth=1
	s_or_b32 exec_lo, exec_lo, s75
	s_and_saveexec_b32 s75, s27
	s_cbranch_execnz .LBB130_112
.LBB130_80:                             ;   in Loop: Header=BB130_52 Depth=1
	s_or_b32 exec_lo, exec_lo, s75
	s_and_saveexec_b32 s75, s28
	s_cbranch_execnz .LBB130_113
.LBB130_81:                             ;   in Loop: Header=BB130_52 Depth=1
	s_or_b32 exec_lo, exec_lo, s75
	s_and_saveexec_b32 s75, s29
	s_cbranch_execnz .LBB130_114
.LBB130_82:                             ;   in Loop: Header=BB130_52 Depth=1
	s_or_b32 exec_lo, exec_lo, s75
	s_and_saveexec_b32 s75, s30
	s_cbranch_execnz .LBB130_115
.LBB130_83:                             ;   in Loop: Header=BB130_52 Depth=1
	s_or_b32 exec_lo, exec_lo, s75
	v_ashrrev_i32_e32 v13, 31, v12
	s_and_saveexec_b32 s75, s31
	s_cbranch_execnz .LBB130_116
.LBB130_84:                             ;   in Loop: Header=BB130_52 Depth=1
	s_or_b32 exec_lo, exec_lo, s75
	s_and_saveexec_b32 s31, vcc_lo
	s_cbranch_execz .LBB130_51
	s_branch .LBB130_117
.LBB130_85:                             ;   in Loop: Header=BB130_52 Depth=1
	v_mov_b32_e32 v2, s36
	ds_load_b32 v2, v2
	s_wait_dscnt 0x0
	v_add_nc_u32_e32 v12, v2, v12
	s_or_b32 exec_lo, exec_lo, s75
	s_and_saveexec_b32 s75, s1
	s_cbranch_execz .LBB130_54
.LBB130_86:                             ;   in Loop: Header=BB130_52 Depth=1
	v_mov_b32_e32 v2, s37
	ds_load_b32 v2, v2
	s_wait_dscnt 0x0
	v_add_nc_u32_e32 v12, v12, v2
	s_or_b32 exec_lo, exec_lo, s75
	s_and_saveexec_b32 s75, s2
	s_cbranch_execz .LBB130_55
.LBB130_87:                             ;   in Loop: Header=BB130_52 Depth=1
	v_mov_b32_e32 v2, s38
	ds_load_b32 v2, v2
	s_wait_dscnt 0x0
	v_add_nc_u32_e32 v12, v12, v2
	s_or_b32 exec_lo, exec_lo, s75
	s_and_saveexec_b32 s75, s3
	s_cbranch_execz .LBB130_56
.LBB130_88:                             ;   in Loop: Header=BB130_52 Depth=1
	v_mov_b32_e32 v2, s39
	ds_load_b32 v2, v2
	s_wait_dscnt 0x0
	v_add_nc_u32_e32 v12, v12, v2
	s_or_b32 exec_lo, exec_lo, s75
	s_and_saveexec_b32 s75, s4
	s_cbranch_execz .LBB130_57
.LBB130_89:                             ;   in Loop: Header=BB130_52 Depth=1
	v_mov_b32_e32 v2, s40
	ds_load_b32 v2, v2
	s_wait_dscnt 0x0
	v_add_nc_u32_e32 v12, v12, v2
	s_or_b32 exec_lo, exec_lo, s75
	s_and_saveexec_b32 s75, s5
	s_cbranch_execz .LBB130_58
.LBB130_90:                             ;   in Loop: Header=BB130_52 Depth=1
	v_mov_b32_e32 v2, s41
	ds_load_b32 v2, v2
	s_wait_dscnt 0x0
	v_add_nc_u32_e32 v12, v12, v2
	s_or_b32 exec_lo, exec_lo, s75
	s_and_saveexec_b32 s75, s6
	s_cbranch_execz .LBB130_59
.LBB130_91:                             ;   in Loop: Header=BB130_52 Depth=1
	v_mov_b32_e32 v2, s44
	ds_load_b32 v2, v2
	s_wait_dscnt 0x0
	v_add_nc_u32_e32 v12, v12, v2
	s_or_b32 exec_lo, exec_lo, s75
	s_and_saveexec_b32 s75, s7
	s_cbranch_execz .LBB130_60
.LBB130_92:                             ;   in Loop: Header=BB130_52 Depth=1
	v_mov_b32_e32 v2, s45
	ds_load_b32 v2, v2
	s_wait_dscnt 0x0
	v_add_nc_u32_e32 v12, v12, v2
	s_or_b32 exec_lo, exec_lo, s75
	s_and_saveexec_b32 s75, s8
	s_cbranch_execz .LBB130_61
.LBB130_93:                             ;   in Loop: Header=BB130_52 Depth=1
	v_mov_b32_e32 v2, s47
	ds_load_b32 v2, v2
	s_wait_dscnt 0x0
	v_add_nc_u32_e32 v12, v12, v2
	s_or_b32 exec_lo, exec_lo, s75
	s_and_saveexec_b32 s75, s9
	s_cbranch_execz .LBB130_62
.LBB130_94:                             ;   in Loop: Header=BB130_52 Depth=1
	v_mov_b32_e32 v2, s52
	ds_load_b32 v2, v2
	s_wait_dscnt 0x0
	v_add_nc_u32_e32 v12, v12, v2
	s_or_b32 exec_lo, exec_lo, s75
	s_and_saveexec_b32 s75, s10
	s_cbranch_execz .LBB130_63
.LBB130_95:                             ;   in Loop: Header=BB130_52 Depth=1
	v_mov_b32_e32 v2, s53
	ds_load_b32 v2, v2
	s_wait_dscnt 0x0
	v_add_nc_u32_e32 v12, v12, v2
	s_or_b32 exec_lo, exec_lo, s75
	s_and_saveexec_b32 s75, s11
	s_cbranch_execz .LBB130_64
.LBB130_96:                             ;   in Loop: Header=BB130_52 Depth=1
	v_mov_b32_e32 v2, s54
	ds_load_b32 v2, v2
	s_wait_dscnt 0x0
	v_add_nc_u32_e32 v12, v12, v2
	s_or_b32 exec_lo, exec_lo, s75
	s_and_saveexec_b32 s75, s12
	s_cbranch_execz .LBB130_65
.LBB130_97:                             ;   in Loop: Header=BB130_52 Depth=1
	v_mov_b32_e32 v2, s55
	ds_load_b32 v2, v2
	s_wait_dscnt 0x0
	v_add_nc_u32_e32 v12, v12, v2
	s_or_b32 exec_lo, exec_lo, s75
	s_and_saveexec_b32 s75, s13
	s_cbranch_execz .LBB130_66
.LBB130_98:                             ;   in Loop: Header=BB130_52 Depth=1
	v_mov_b32_e32 v2, s56
	ds_load_b32 v2, v2
	s_wait_dscnt 0x0
	v_add_nc_u32_e32 v12, v12, v2
	s_or_b32 exec_lo, exec_lo, s75
	s_and_saveexec_b32 s75, s14
	s_cbranch_execz .LBB130_67
.LBB130_99:                             ;   in Loop: Header=BB130_52 Depth=1
	v_mov_b32_e32 v2, s57
	ds_load_b32 v2, v2
	s_wait_dscnt 0x0
	v_add_nc_u32_e32 v12, v12, v2
	s_or_b32 exec_lo, exec_lo, s75
	s_and_saveexec_b32 s75, s15
	s_cbranch_execz .LBB130_68
.LBB130_100:                            ;   in Loop: Header=BB130_52 Depth=1
	v_mov_b32_e32 v2, s58
	ds_load_b32 v2, v2
	s_wait_dscnt 0x0
	v_add_nc_u32_e32 v12, v12, v2
	s_or_b32 exec_lo, exec_lo, s75
	s_and_saveexec_b32 s75, s16
	s_cbranch_execz .LBB130_69
.LBB130_101:                            ;   in Loop: Header=BB130_52 Depth=1
	v_mov_b32_e32 v2, s59
	ds_load_b32 v2, v2
	s_wait_dscnt 0x0
	v_add_nc_u32_e32 v12, v12, v2
	s_or_b32 exec_lo, exec_lo, s75
	s_and_saveexec_b32 s75, s17
	s_cbranch_execz .LBB130_70
.LBB130_102:                            ;   in Loop: Header=BB130_52 Depth=1
	v_mov_b32_e32 v2, s60
	ds_load_b32 v2, v2
	s_wait_dscnt 0x0
	v_add_nc_u32_e32 v12, v12, v2
	s_or_b32 exec_lo, exec_lo, s75
	s_and_saveexec_b32 s75, s18
	s_cbranch_execz .LBB130_71
.LBB130_103:                            ;   in Loop: Header=BB130_52 Depth=1
	v_mov_b32_e32 v2, s61
	ds_load_b32 v2, v2
	s_wait_dscnt 0x0
	v_add_nc_u32_e32 v12, v12, v2
	s_or_b32 exec_lo, exec_lo, s75
	s_and_saveexec_b32 s75, s19
	s_cbranch_execz .LBB130_72
.LBB130_104:                            ;   in Loop: Header=BB130_52 Depth=1
	v_mov_b32_e32 v2, s62
	ds_load_b32 v2, v2
	s_wait_dscnt 0x0
	v_add_nc_u32_e32 v12, v12, v2
	s_or_b32 exec_lo, exec_lo, s75
	s_and_saveexec_b32 s75, s20
	s_cbranch_execz .LBB130_73
.LBB130_105:                            ;   in Loop: Header=BB130_52 Depth=1
	v_mov_b32_e32 v2, s63
	ds_load_b32 v2, v2
	s_wait_dscnt 0x0
	v_add_nc_u32_e32 v12, v12, v2
	s_or_b32 exec_lo, exec_lo, s75
	s_and_saveexec_b32 s75, s21
	s_cbranch_execz .LBB130_74
.LBB130_106:                            ;   in Loop: Header=BB130_52 Depth=1
	v_mov_b32_e32 v2, s64
	ds_load_b32 v2, v2
	s_wait_dscnt 0x0
	v_add_nc_u32_e32 v12, v12, v2
	s_or_b32 exec_lo, exec_lo, s75
	s_and_saveexec_b32 s75, s22
	s_cbranch_execz .LBB130_75
.LBB130_107:                            ;   in Loop: Header=BB130_52 Depth=1
	v_mov_b32_e32 v2, s65
	ds_load_b32 v2, v2
	s_wait_dscnt 0x0
	v_add_nc_u32_e32 v12, v12, v2
	s_or_b32 exec_lo, exec_lo, s75
	s_and_saveexec_b32 s75, s23
	s_cbranch_execz .LBB130_76
.LBB130_108:                            ;   in Loop: Header=BB130_52 Depth=1
	v_mov_b32_e32 v2, s66
	ds_load_b32 v2, v2
	s_wait_dscnt 0x0
	v_add_nc_u32_e32 v12, v12, v2
	s_or_b32 exec_lo, exec_lo, s75
	s_and_saveexec_b32 s75, s24
	s_cbranch_execz .LBB130_77
.LBB130_109:                            ;   in Loop: Header=BB130_52 Depth=1
	v_mov_b32_e32 v2, s67
	ds_load_b32 v2, v2
	s_wait_dscnt 0x0
	v_add_nc_u32_e32 v12, v12, v2
	s_or_b32 exec_lo, exec_lo, s75
	s_and_saveexec_b32 s75, s25
	s_cbranch_execz .LBB130_78
.LBB130_110:                            ;   in Loop: Header=BB130_52 Depth=1
	v_mov_b32_e32 v2, s68
	ds_load_b32 v2, v2
	s_wait_dscnt 0x0
	v_add_nc_u32_e32 v12, v12, v2
	s_or_b32 exec_lo, exec_lo, s75
	s_and_saveexec_b32 s75, s26
	s_cbranch_execz .LBB130_79
.LBB130_111:                            ;   in Loop: Header=BB130_52 Depth=1
	v_mov_b32_e32 v2, s69
	ds_load_b32 v2, v2
	s_wait_dscnt 0x0
	v_add_nc_u32_e32 v12, v12, v2
	s_or_b32 exec_lo, exec_lo, s75
	s_and_saveexec_b32 s75, s27
	s_cbranch_execz .LBB130_80
.LBB130_112:                            ;   in Loop: Header=BB130_52 Depth=1
	v_mov_b32_e32 v2, s70
	ds_load_b32 v2, v2
	s_wait_dscnt 0x0
	v_add_nc_u32_e32 v12, v12, v2
	s_or_b32 exec_lo, exec_lo, s75
	s_and_saveexec_b32 s75, s28
	s_cbranch_execz .LBB130_81
.LBB130_113:                            ;   in Loop: Header=BB130_52 Depth=1
	v_mov_b32_e32 v2, s71
	ds_load_b32 v2, v2
	s_wait_dscnt 0x0
	v_add_nc_u32_e32 v12, v12, v2
	s_or_b32 exec_lo, exec_lo, s75
	s_and_saveexec_b32 s75, s29
	s_cbranch_execz .LBB130_82
.LBB130_114:                            ;   in Loop: Header=BB130_52 Depth=1
	v_mov_b32_e32 v2, s72
	ds_load_b32 v2, v2
	s_wait_dscnt 0x0
	v_add_nc_u32_e32 v12, v12, v2
	s_or_b32 exec_lo, exec_lo, s75
	s_and_saveexec_b32 s75, s30
	s_cbranch_execz .LBB130_83
.LBB130_115:                            ;   in Loop: Header=BB130_52 Depth=1
	v_mov_b32_e32 v2, s73
	ds_load_b32 v2, v2
	s_wait_dscnt 0x0
	v_add_nc_u32_e32 v12, v12, v2
	s_or_b32 exec_lo, exec_lo, s75
	s_delay_alu instid0(VALU_DEP_1)
	v_ashrrev_i32_e32 v13, 31, v12
	s_and_saveexec_b32 s75, s31
	s_cbranch_execz .LBB130_84
.LBB130_116:                            ;   in Loop: Header=BB130_52 Depth=1
	v_add3_u32 v2, v6, -1, v12
	v_add_lshl_u32 v5, v6, v12, 3
	s_delay_alu instid0(VALU_DEP_2) | instskip(NEXT) | instid1(VALU_DEP_2)
	v_lshl_add_u32 v2, v2, 3, 0
	v_add3_u32 v5, 0, v5, 0x7ff8
	ds_store_b64 v2, v[8:9]
	ds_store_2addr_b32 v5, v10, v11 offset1:1
	s_or_b32 exec_lo, exec_lo, s75
	s_and_saveexec_b32 s31, vcc_lo
	s_cbranch_execz .LBB130_51
.LBB130_117:                            ;   in Loop: Header=BB130_52 Depth=1
	v_mov_b32_e32 v2, s74
	ds_store_b64 v2, v[12:13]
	s_branch .LBB130_51
.LBB130_118:
	s_or_b32 exec_lo, exec_lo, s33
	s_wait_kmcnt 0x0
	s_lshl_b64 s[0:1], s[50:51], 3
	v_mov_b32_e32 v1, 0
	s_add_nc_u64 s[4:5], s[42:43], s[0:1]
	s_mov_b32 s6, exec_lo
	s_load_b128 s[0:3], s[4:5], 0x0
	s_wait_kmcnt 0x0
	s_sub_nc_u64 s[4:5], s[2:3], s[0:1]
	s_delay_alu instid0(SALU_CYCLE_1)
	v_cmpx_gt_i64_e64 s[4:5], v[0:1]
	s_cbranch_execz .LBB130_128
; %bb.119:
	s_sub_nc_u64 s[8:9], s[0:1], s[2:3]
	s_and_b64 s[6:7], s[4:5], 7
	v_cmp_lt_u64_e64 s10, s[8:9], -7
	s_and_b64 s[2:3], s[4:5], -8
	s_mov_b32 s47, 0
	s_cmp_lg_u64 s[6:7], 0
	s_sub_nc_u64 s[0:1], s[0:1], s[46:47]
	s_cselect_b32 s11, -1, 0
	s_mov_b32 s12, 0
	s_branch .LBB130_121
.LBB130_120:                            ;   in Loop: Header=BB130_121 Depth=1
	v_add_nc_u64_e32 v[0:1], 0x400, v[0:1]
	s_wait_dscnt 0x1
	s_delay_alu instid0(VALU_DEP_2)
	v_lshl_add_u64 v[4:5], v[6:7], 3, s[34:35]
	s_wait_dscnt 0x0
	global_store_b64 v[4:5], v[2:3], off
	v_cmp_le_i64_e32 vcc_lo, s[4:5], v[0:1]
	s_or_b32 s12, vcc_lo, s12
	s_wait_xcnt 0x0
	s_and_not1_b32 exec_lo, exec_lo, s12
	s_cbranch_execz .LBB130_128
.LBB130_121:                            ; =>This Loop Header: Depth=1
                                        ;     Child Loop BB130_123 Depth 2
                                        ;     Child Loop BB130_127 Depth 2
	v_lshl_add_u32 v2, v0, 3, 0
	v_mov_b64_e32 v[6:7], s[0:1]
	s_and_not1_b32 vcc_lo, exec_lo, s10
	s_mov_b64 s[8:9], 0
	s_delay_alu instid0(VALU_DEP_2)
	v_add_nc_u32_e32 v3, 0x8000, v2
	ds_load_b64 v[4:5], v2
	ds_load_2addr_b32 v[2:3], v3 offset1:1
	s_cbranch_vccnz .LBB130_125
; %bb.122:                              ;   in Loop: Header=BB130_121 Depth=1
	v_mov_b64_e32 v[6:7], s[0:1]
	s_mov_b32 s13, 0
.LBB130_123:                            ;   Parent Loop BB130_121 Depth=1
                                        ; =>  This Inner Loop Header: Depth=2
	s_delay_alu instid0(SALU_CYCLE_1)
	v_dual_mov_b32 v20, s13 :: v_dual_mov_b32 v17, s47
	v_mov_b32_e32 v19, s47
	s_add_nc_u64 s[8:9], s[8:9], 8
	s_add_co_i32 s13, s13, 64
	ds_load_2addr_b64 v[8:11], v20 offset1:1
	ds_load_2addr_b64 v[12:15], v20 offset0:2 offset1:3
	s_cmp_eq_u64 s[2:3], s[8:9]
	s_wait_dscnt 0x1
	v_cmp_gt_i64_e32 vcc_lo, v[4:5], v[8:9]
	v_cndmask_b32_e64 v16, 0, 1, vcc_lo
	v_cmp_gt_i64_e32 vcc_lo, v[4:5], v[10:11]
	s_delay_alu instid0(VALU_DEP_2) | instskip(SKIP_4) | instid1(VALU_DEP_2)
	v_add_nc_u64_e32 v[10:11], v[6:7], v[16:17]
	ds_load_2addr_b64 v[6:9], v20 offset0:4 offset1:5
	v_cndmask_b32_e64 v18, 0, 1, vcc_lo
	s_wait_dscnt 0x1
	v_cmp_gt_i64_e32 vcc_lo, v[4:5], v[12:13]
	v_add_nc_u64_e32 v[10:11], v[10:11], v[18:19]
	v_cndmask_b32_e64 v16, 0, 1, vcc_lo
	v_cmp_gt_i64_e32 vcc_lo, v[4:5], v[14:15]
	s_delay_alu instid0(VALU_DEP_2)
	v_add_nc_u64_e32 v[14:15], v[10:11], v[16:17]
	ds_load_2addr_b64 v[10:13], v20 offset0:6 offset1:7
	v_cndmask_b32_e64 v18, 0, 1, vcc_lo
	s_wait_dscnt 0x1
	v_cmp_gt_i64_e32 vcc_lo, v[4:5], v[6:7]
	v_mov_b32_e32 v7, s47
	s_delay_alu instid0(VALU_DEP_3) | instskip(SKIP_3) | instid1(VALU_DEP_3)
	v_add_nc_u64_e32 v[14:15], v[14:15], v[18:19]
	v_cndmask_b32_e64 v16, 0, 1, vcc_lo
	v_cmp_gt_i64_e32 vcc_lo, v[4:5], v[8:9]
	v_mov_b32_e32 v9, s47
	v_add_nc_u64_e32 v[14:15], v[14:15], v[16:17]
	v_cndmask_b32_e64 v6, 0, 1, vcc_lo
	s_wait_dscnt 0x0
	v_cmp_gt_i64_e32 vcc_lo, v[4:5], v[10:11]
	v_mov_b32_e32 v11, s47
	s_delay_alu instid0(VALU_DEP_3) | instskip(SKIP_2) | instid1(VALU_DEP_2)
	v_add_nc_u64_e32 v[6:7], v[14:15], v[6:7]
	v_cndmask_b32_e64 v8, 0, 1, vcc_lo
	v_cmp_gt_i64_e32 vcc_lo, v[4:5], v[12:13]
	v_add_nc_u64_e32 v[6:7], v[6:7], v[8:9]
	v_cndmask_b32_e64 v10, 0, 1, vcc_lo
	s_delay_alu instid0(VALU_DEP_1)
	v_add_nc_u64_e32 v[6:7], v[6:7], v[10:11]
	s_cbranch_scc0 .LBB130_123
; %bb.124:                              ;   in Loop: Header=BB130_121 Depth=1
	s_mov_b64 s[8:9], s[2:3]
.LBB130_125:                            ;   in Loop: Header=BB130_121 Depth=1
	s_and_not1_b32 vcc_lo, exec_lo, s11
	s_cbranch_vccnz .LBB130_120
; %bb.126:                              ;   in Loop: Header=BB130_121 Depth=1
	s_lshl_b32 s8, s8, 3
	s_delay_alu instid0(SALU_CYCLE_1)
	s_add_co_i32 s13, s8, 0
	s_mov_b64 s[8:9], s[6:7]
.LBB130_127:                            ;   Parent Loop BB130_121 Depth=1
                                        ; =>  This Inner Loop Header: Depth=2
	v_dual_mov_b32 v8, s13 :: v_dual_mov_b32 v11, s47
	s_add_nc_u64 s[8:9], s[8:9], -1
	s_add_co_i32 s13, s13, 8
	s_cmp_lg_u64 s[8:9], 0
	ds_load_b64 v[8:9], v8
	s_wait_dscnt 0x0
	v_cmp_gt_i64_e32 vcc_lo, v[4:5], v[8:9]
	v_cndmask_b32_e64 v10, 0, 1, vcc_lo
	s_delay_alu instid0(VALU_DEP_1)
	v_add_nc_u64_e32 v[6:7], v[6:7], v[10:11]
	s_cbranch_scc1 .LBB130_127
	s_branch .LBB130_120
.LBB130_128:
	s_endpgm
	.section	.rodata,"a",@progbits
	.p2align	6, 0x0
	.amdhsa_kernel _ZN9rocsparseL41csrgemm_numeric_fill_block_per_row_kernelILj1024ELj64ELj4096ELj137ELj32Ell21rocsparse_complex_numIfEEEvT5_PKS3_S5_NS_24const_host_device_scalarIT6_EEPKT4_S5_PKS7_SB_S5_SD_S8_SB_S5_SD_SB_S5_PS7_21rocsparse_index_base_SF_SF_SF_bbb
		.amdhsa_group_segment_fixed_size 0
		.amdhsa_private_segment_fixed_size 0
		.amdhsa_kernarg_size 156
		.amdhsa_user_sgpr_count 2
		.amdhsa_user_sgpr_dispatch_ptr 0
		.amdhsa_user_sgpr_queue_ptr 0
		.amdhsa_user_sgpr_kernarg_segment_ptr 1
		.amdhsa_user_sgpr_dispatch_id 0
		.amdhsa_user_sgpr_kernarg_preload_length 0
		.amdhsa_user_sgpr_kernarg_preload_offset 0
		.amdhsa_user_sgpr_private_segment_size 0
		.amdhsa_wavefront_size32 1
		.amdhsa_uses_dynamic_stack 0
		.amdhsa_enable_private_segment 0
		.amdhsa_system_sgpr_workgroup_id_x 1
		.amdhsa_system_sgpr_workgroup_id_y 0
		.amdhsa_system_sgpr_workgroup_id_z 0
		.amdhsa_system_sgpr_workgroup_info 0
		.amdhsa_system_vgpr_workitem_id 0
		.amdhsa_next_free_vgpr 24
		.amdhsa_next_free_sgpr 76
		.amdhsa_named_barrier_count 0
		.amdhsa_reserve_vcc 1
		.amdhsa_float_round_mode_32 0
		.amdhsa_float_round_mode_16_64 0
		.amdhsa_float_denorm_mode_32 3
		.amdhsa_float_denorm_mode_16_64 3
		.amdhsa_fp16_overflow 0
		.amdhsa_memory_ordered 1
		.amdhsa_forward_progress 1
		.amdhsa_inst_pref_size 37
		.amdhsa_round_robin_scheduling 0
		.amdhsa_exception_fp_ieee_invalid_op 0
		.amdhsa_exception_fp_denorm_src 0
		.amdhsa_exception_fp_ieee_div_zero 0
		.amdhsa_exception_fp_ieee_overflow 0
		.amdhsa_exception_fp_ieee_underflow 0
		.amdhsa_exception_fp_ieee_inexact 0
		.amdhsa_exception_int_div_zero 0
	.end_amdhsa_kernel
	.section	.text._ZN9rocsparseL41csrgemm_numeric_fill_block_per_row_kernelILj1024ELj64ELj4096ELj137ELj32Ell21rocsparse_complex_numIfEEEvT5_PKS3_S5_NS_24const_host_device_scalarIT6_EEPKT4_S5_PKS7_SB_S5_SD_S8_SB_S5_SD_SB_S5_PS7_21rocsparse_index_base_SF_SF_SF_bbb,"axG",@progbits,_ZN9rocsparseL41csrgemm_numeric_fill_block_per_row_kernelILj1024ELj64ELj4096ELj137ELj32Ell21rocsparse_complex_numIfEEEvT5_PKS3_S5_NS_24const_host_device_scalarIT6_EEPKT4_S5_PKS7_SB_S5_SD_S8_SB_S5_SD_SB_S5_PS7_21rocsparse_index_base_SF_SF_SF_bbb,comdat
.Lfunc_end130:
	.size	_ZN9rocsparseL41csrgemm_numeric_fill_block_per_row_kernelILj1024ELj64ELj4096ELj137ELj32Ell21rocsparse_complex_numIfEEEvT5_PKS3_S5_NS_24const_host_device_scalarIT6_EEPKT4_S5_PKS7_SB_S5_SD_S8_SB_S5_SD_SB_S5_PS7_21rocsparse_index_base_SF_SF_SF_bbb, .Lfunc_end130-_ZN9rocsparseL41csrgemm_numeric_fill_block_per_row_kernelILj1024ELj64ELj4096ELj137ELj32Ell21rocsparse_complex_numIfEEEvT5_PKS3_S5_NS_24const_host_device_scalarIT6_EEPKT4_S5_PKS7_SB_S5_SD_S8_SB_S5_SD_SB_S5_PS7_21rocsparse_index_base_SF_SF_SF_bbb
                                        ; -- End function
	.set _ZN9rocsparseL41csrgemm_numeric_fill_block_per_row_kernelILj1024ELj64ELj4096ELj137ELj32Ell21rocsparse_complex_numIfEEEvT5_PKS3_S5_NS_24const_host_device_scalarIT6_EEPKT4_S5_PKS7_SB_S5_SD_S8_SB_S5_SD_SB_S5_PS7_21rocsparse_index_base_SF_SF_SF_bbb.num_vgpr, 24
	.set _ZN9rocsparseL41csrgemm_numeric_fill_block_per_row_kernelILj1024ELj64ELj4096ELj137ELj32Ell21rocsparse_complex_numIfEEEvT5_PKS3_S5_NS_24const_host_device_scalarIT6_EEPKT4_S5_PKS7_SB_S5_SD_S8_SB_S5_SD_SB_S5_PS7_21rocsparse_index_base_SF_SF_SF_bbb.num_agpr, 0
	.set _ZN9rocsparseL41csrgemm_numeric_fill_block_per_row_kernelILj1024ELj64ELj4096ELj137ELj32Ell21rocsparse_complex_numIfEEEvT5_PKS3_S5_NS_24const_host_device_scalarIT6_EEPKT4_S5_PKS7_SB_S5_SD_S8_SB_S5_SD_SB_S5_PS7_21rocsparse_index_base_SF_SF_SF_bbb.numbered_sgpr, 76
	.set _ZN9rocsparseL41csrgemm_numeric_fill_block_per_row_kernelILj1024ELj64ELj4096ELj137ELj32Ell21rocsparse_complex_numIfEEEvT5_PKS3_S5_NS_24const_host_device_scalarIT6_EEPKT4_S5_PKS7_SB_S5_SD_S8_SB_S5_SD_SB_S5_PS7_21rocsparse_index_base_SF_SF_SF_bbb.num_named_barrier, 0
	.set _ZN9rocsparseL41csrgemm_numeric_fill_block_per_row_kernelILj1024ELj64ELj4096ELj137ELj32Ell21rocsparse_complex_numIfEEEvT5_PKS3_S5_NS_24const_host_device_scalarIT6_EEPKT4_S5_PKS7_SB_S5_SD_S8_SB_S5_SD_SB_S5_PS7_21rocsparse_index_base_SF_SF_SF_bbb.private_seg_size, 0
	.set _ZN9rocsparseL41csrgemm_numeric_fill_block_per_row_kernelILj1024ELj64ELj4096ELj137ELj32Ell21rocsparse_complex_numIfEEEvT5_PKS3_S5_NS_24const_host_device_scalarIT6_EEPKT4_S5_PKS7_SB_S5_SD_S8_SB_S5_SD_SB_S5_PS7_21rocsparse_index_base_SF_SF_SF_bbb.uses_vcc, 1
	.set _ZN9rocsparseL41csrgemm_numeric_fill_block_per_row_kernelILj1024ELj64ELj4096ELj137ELj32Ell21rocsparse_complex_numIfEEEvT5_PKS3_S5_NS_24const_host_device_scalarIT6_EEPKT4_S5_PKS7_SB_S5_SD_S8_SB_S5_SD_SB_S5_PS7_21rocsparse_index_base_SF_SF_SF_bbb.uses_flat_scratch, 0
	.set _ZN9rocsparseL41csrgemm_numeric_fill_block_per_row_kernelILj1024ELj64ELj4096ELj137ELj32Ell21rocsparse_complex_numIfEEEvT5_PKS3_S5_NS_24const_host_device_scalarIT6_EEPKT4_S5_PKS7_SB_S5_SD_S8_SB_S5_SD_SB_S5_PS7_21rocsparse_index_base_SF_SF_SF_bbb.has_dyn_sized_stack, 0
	.set _ZN9rocsparseL41csrgemm_numeric_fill_block_per_row_kernelILj1024ELj64ELj4096ELj137ELj32Ell21rocsparse_complex_numIfEEEvT5_PKS3_S5_NS_24const_host_device_scalarIT6_EEPKT4_S5_PKS7_SB_S5_SD_S8_SB_S5_SD_SB_S5_PS7_21rocsparse_index_base_SF_SF_SF_bbb.has_recursion, 0
	.set _ZN9rocsparseL41csrgemm_numeric_fill_block_per_row_kernelILj1024ELj64ELj4096ELj137ELj32Ell21rocsparse_complex_numIfEEEvT5_PKS3_S5_NS_24const_host_device_scalarIT6_EEPKT4_S5_PKS7_SB_S5_SD_S8_SB_S5_SD_SB_S5_PS7_21rocsparse_index_base_SF_SF_SF_bbb.has_indirect_call, 0
	.section	.AMDGPU.csdata,"",@progbits
; Kernel info:
; codeLenInByte = 4680
; TotalNumSgprs: 78
; NumVgprs: 24
; ScratchSize: 0
; MemoryBound: 0
; FloatMode: 240
; IeeeMode: 1
; LDSByteSize: 0 bytes/workgroup (compile time only)
; SGPRBlocks: 0
; VGPRBlocks: 1
; NumSGPRsForWavesPerEU: 78
; NumVGPRsForWavesPerEU: 24
; NamedBarCnt: 0
; Occupancy: 16
; WaveLimiterHint : 1
; COMPUTE_PGM_RSRC2:SCRATCH_EN: 0
; COMPUTE_PGM_RSRC2:USER_SGPR: 2
; COMPUTE_PGM_RSRC2:TRAP_HANDLER: 0
; COMPUTE_PGM_RSRC2:TGID_X_EN: 1
; COMPUTE_PGM_RSRC2:TGID_Y_EN: 0
; COMPUTE_PGM_RSRC2:TGID_Z_EN: 0
; COMPUTE_PGM_RSRC2:TIDIG_COMP_CNT: 0
	.section	.text._ZN9rocsparseL41csrgemm_numeric_fill_block_per_row_kernelILj1024ELj64ELj4096ELj137ELj64Ell21rocsparse_complex_numIfEEEvT5_PKS3_S5_NS_24const_host_device_scalarIT6_EEPKT4_S5_PKS7_SB_S5_SD_S8_SB_S5_SD_SB_S5_PS7_21rocsparse_index_base_SF_SF_SF_bbb,"axG",@progbits,_ZN9rocsparseL41csrgemm_numeric_fill_block_per_row_kernelILj1024ELj64ELj4096ELj137ELj64Ell21rocsparse_complex_numIfEEEvT5_PKS3_S5_NS_24const_host_device_scalarIT6_EEPKT4_S5_PKS7_SB_S5_SD_S8_SB_S5_SD_SB_S5_PS7_21rocsparse_index_base_SF_SF_SF_bbb,comdat
	.globl	_ZN9rocsparseL41csrgemm_numeric_fill_block_per_row_kernelILj1024ELj64ELj4096ELj137ELj64Ell21rocsparse_complex_numIfEEEvT5_PKS3_S5_NS_24const_host_device_scalarIT6_EEPKT4_S5_PKS7_SB_S5_SD_S8_SB_S5_SD_SB_S5_PS7_21rocsparse_index_base_SF_SF_SF_bbb ; -- Begin function _ZN9rocsparseL41csrgemm_numeric_fill_block_per_row_kernelILj1024ELj64ELj4096ELj137ELj64Ell21rocsparse_complex_numIfEEEvT5_PKS3_S5_NS_24const_host_device_scalarIT6_EEPKT4_S5_PKS7_SB_S5_SD_S8_SB_S5_SD_SB_S5_PS7_21rocsparse_index_base_SF_SF_SF_bbb
	.p2align	8
	.type	_ZN9rocsparseL41csrgemm_numeric_fill_block_per_row_kernelILj1024ELj64ELj4096ELj137ELj64Ell21rocsparse_complex_numIfEEEvT5_PKS3_S5_NS_24const_host_device_scalarIT6_EEPKT4_S5_PKS7_SB_S5_SD_S8_SB_S5_SD_SB_S5_PS7_21rocsparse_index_base_SF_SF_SF_bbb,@function
_ZN9rocsparseL41csrgemm_numeric_fill_block_per_row_kernelILj1024ELj64ELj4096ELj137ELj64Ell21rocsparse_complex_numIfEEEvT5_PKS3_S5_NS_24const_host_device_scalarIT6_EEPKT4_S5_PKS7_SB_S5_SD_S8_SB_S5_SD_SB_S5_PS7_21rocsparse_index_base_SF_SF_SF_bbb: ; @_ZN9rocsparseL41csrgemm_numeric_fill_block_per_row_kernelILj1024ELj64ELj4096ELj137ELj64Ell21rocsparse_complex_numIfEEEvT5_PKS3_S5_NS_24const_host_device_scalarIT6_EEPKT4_S5_PKS7_SB_S5_SD_S8_SB_S5_SD_SB_S5_PS7_21rocsparse_index_base_SF_SF_SF_bbb
; %bb.0:
	s_clause 0x3
	s_load_b32 s33, s[0:1], 0x98
	s_load_b128 s[20:23], s[0:1], 0x88
	s_load_b64 s[34:35], s[0:1], 0x8
	s_load_b64 s[30:31], s[0:1], 0x50
	s_mov_b32 s3, 0
	s_mov_b32 s39, 0
	s_wait_kmcnt 0x0
	s_bitcmp1_b32 s33, 0
	s_cselect_b32 s40, -1, 0
	s_bitcmp1_b32 s33, 16
	s_cselect_b32 s2, -1, 0
	s_delay_alu instid0(SALU_CYCLE_1) | instskip(SKIP_2) | instid1(VALU_DEP_1)
	s_xor_b32 s4, s2, -1
	s_bitcmp0_b32 s33, 0
	v_cndmask_b32_e64 v1, 0, 1, s4
	v_cmp_ne_u32_e32 vcc_lo, 1, v1
	s_cbranch_scc1 .LBB131_5
; %bb.1:
	s_load_b64 s[2:3], s[0:1], 0x18
	s_and_b32 vcc_lo, exec_lo, vcc_lo
	s_wait_kmcnt 0x0
	s_mov_b32 s39, s2
	s_cbranch_vccnz .LBB131_3
; %bb.2:
	s_load_b32 s39, s[2:3], 0x0
.LBB131_3:
	s_and_not1_b32 vcc_lo, exec_lo, s4
	s_cbranch_vccnz .LBB131_5
; %bb.4:
	s_wait_xcnt 0x0
	s_load_b32 s3, s[2:3], 0x4
.LBB131_5:
	s_clause 0x4
	s_load_b64 s[28:29], s[0:1], 0x80
	s_load_b256 s[12:19], s[0:1], 0x58
	s_load_b128 s[24:27], s[0:1], 0x40
	s_load_b64 s[36:37], s[0:1], 0x10
	s_load_b256 s[4:11], s[0:1], 0x20
	s_bitcmp1_b32 s33, 8
	s_wait_xcnt 0x0
	s_cselect_b32 s2, -1, 0
	s_bfe_u32 s38, s33, 0x10008
	s_mov_b32 s33, 0
	s_cmp_eq_u32 s38, 0
	s_mov_b32 s38, 0
	s_cbranch_scc1 .LBB131_11
; %bb.6:
	v_cmp_ne_u32_e32 vcc_lo, 1, v1
	s_mov_b32 s33, s30
	s_cbranch_vccnz .LBB131_8
; %bb.7:
	s_load_b32 s33, s[30:31], 0x0
.LBB131_8:
	v_cmp_ne_u32_e32 vcc_lo, 1, v1
	s_cbranch_vccnz .LBB131_10
; %bb.9:
	s_wait_xcnt 0x0
	s_load_b32 s31, s[30:31], 0x4
.LBB131_10:
	s_wait_kmcnt 0x0
	s_mov_b32 s38, s31
.LBB131_11:
	s_load_b64 s[30:31], s[0:1], 0x0
	v_lshl_add_u32 v22, v0, 3, 0
	v_or_b32_e32 v23, 0xfffffc00, v0
	v_mov_b32_e32 v1, 0
	s_wait_xcnt 0x0
	s_mov_b32 s0, 0
	s_delay_alu instid0(VALU_DEP_2)
	v_dual_mov_b32 v4, v22 :: v_dual_mov_b32 v5, v23
	s_wait_kmcnt 0x0
	v_mov_b64_e32 v[2:3], s[30:31]
.LBB131_12:                             ; =>This Inner Loop Header: Depth=1
	s_delay_alu instid0(VALU_DEP_2) | instskip(NEXT) | instid1(VALU_DEP_3)
	v_add_nc_u32_e32 v5, 0x400, v5
	v_add_nc_u32_e32 v6, 0x8000, v4
	ds_store_b64 v4, v[2:3]
	v_add_nc_u32_e32 v4, 0x2000, v4
	v_cmp_lt_u32_e32 vcc_lo, 0xbff, v5
	ds_store_2addr_b32 v6, v1, v1 offset1:1
	s_or_b32 s0, vcc_lo, s0
	s_delay_alu instid0(SALU_CYCLE_1)
	s_and_not1_b32 exec_lo, exec_lo, s0
	s_cbranch_execnz .LBB131_12
; %bb.13:
	s_or_b32 exec_lo, exec_lo, s0
	s_wait_dscnt 0x0
	s_barrier_signal -1
	s_barrier_wait -1
	s_load_b64 s[0:1], s[34:35], 0x0
	s_wait_xcnt 0x0
	s_bfe_u32 s34, ttmp6, 0x4000c
	s_and_b32 s35, ttmp6, 15
	s_add_co_i32 s34, s34, 1
	s_getreg_b32 s41, hwreg(HW_REG_IB_STS2, 6, 4)
	s_mul_i32 s34, ttmp9, s34
	v_lshrrev_b32_e32 v2, 6, v0
	s_add_co_i32 s35, s35, s34
	s_wait_kmcnt 0x0
	s_lshl_b64 s[0:1], s[0:1], 3
	s_cmp_eq_u32 s41, 0
	s_add_nc_u64 s[0:1], s[36:37], s[0:1]
	s_cselect_b32 s34, ttmp9, s35
	s_and_b32 vcc_lo, exec_lo, s40
	s_load_b64 s[34:35], s[0:1], s34 offset:0x0 scale_offset
	s_wait_xcnt 0x0
	s_mov_b32 s1, 0
	s_cbranch_vccz .LBB131_33
; %bb.14:
	s_wait_kmcnt 0x0
	s_lshl_b64 s[36:37], s[34:35], 3
	v_mov_b32_e32 v3, 0
	s_add_nc_u64 s[4:5], s[4:5], s[36:37]
	s_mov_b32 s0, s20
	s_load_b128 s[40:43], s[4:5], 0x0
	s_mov_b32 s20, exec_lo
	v_sub_nc_u64_e64 v[4:5], v[2:3], s[0:1]
	s_wait_kmcnt 0x0
	s_delay_alu instid0(VALU_DEP_1)
	v_add_nc_u64_e32 v[4:5], s[40:41], v[4:5]
	s_sub_nc_u64 s[4:5], s[42:43], s[0:1]
	s_delay_alu instid0(VALU_DEP_1) | instid1(SALU_CYCLE_1)
	v_cmpx_gt_i64_e64 s[4:5], v[4:5]
	s_cbranch_execz .LBB131_32
; %bb.15:
	v_dual_mov_b32 v7, v3 :: v_dual_bitop2_b32 v6, 63, v0 bitop3:0x40
	s_mov_b32 s37, 0
	s_mov_b32 s36, s21
	;; [unrolled: 1-line block ×3, first 2 shown]
	s_delay_alu instid0(VALU_DEP_1)
	v_sub_nc_u64_e64 v[6:7], v[6:7], s[36:37]
	s_branch .LBB131_17
.LBB131_16:                             ;   in Loop: Header=BB131_17 Depth=1
	s_or_b32 exec_lo, exec_lo, s40
	v_add_nc_u64_e32 v[4:5], 16, v[4:5]
	s_delay_alu instid0(VALU_DEP_1) | instskip(SKIP_1) | instid1(SALU_CYCLE_1)
	v_cmp_le_i64_e32 vcc_lo, s[4:5], v[4:5]
	s_or_b32 s21, vcc_lo, s21
	s_and_not1_b32 exec_lo, exec_lo, s21
	s_cbranch_execz .LBB131_32
.LBB131_17:                             ; =>This Loop Header: Depth=1
                                        ;     Child Loop BB131_21 Depth 2
                                        ;       Child Loop BB131_24 Depth 3
	v_lshl_add_u64 v[8:9], v[4:5], 3, s[6:7]
	s_mov_b32 s40, exec_lo
	global_load_b64 v[8:9], v[8:9], off
	s_wait_loadcnt 0x0
	s_wait_xcnt 0x0
	v_sub_nc_u64_e64 v[8:9], v[8:9], s[0:1]
	s_delay_alu instid0(VALU_DEP_1)
	v_lshl_add_u64 v[8:9], v[8:9], 3, s[10:11]
	global_load_b128 v[10:13], v[8:9], off
	s_wait_loadcnt 0x0
	s_wait_xcnt 0x0
	v_sub_nc_u64_e64 v[8:9], v[12:13], s[36:37]
	v_add_nc_u64_e32 v[10:11], v[10:11], v[6:7]
	s_delay_alu instid0(VALU_DEP_1)
	v_cmpx_lt_i64_e64 v[10:11], v[8:9]
	s_cbranch_execz .LBB131_16
; %bb.18:                               ;   in Loop: Header=BB131_17 Depth=1
	v_lshl_add_u64 v[12:13], v[4:5], 3, s[8:9]
	s_mov_b32 s41, 0
	global_load_b64 v[12:13], v[12:13], off
	s_wait_loadcnt 0x0
	v_mul_f32_e64 v1, v13, -s3
	s_delay_alu instid0(VALU_DEP_1) | instskip(NEXT) | instid1(VALU_DEP_1)
	v_dual_mul_f32 v3, s39, v13 :: v_dual_fmac_f32 v1, s39, v12
	v_fmac_f32_e32 v3, s3, v12
	s_branch .LBB131_21
.LBB131_19:                             ;   in Loop: Header=BB131_21 Depth=2
	s_or_b32 exec_lo, exec_lo, s43
.LBB131_20:                             ;   in Loop: Header=BB131_21 Depth=2
	s_delay_alu instid0(SALU_CYCLE_1)
	s_or_b32 exec_lo, exec_lo, s42
	s_wait_loadcnt 0x0
	v_mul_f32_e64 v15, v13, -v3
	v_mul_f32_e32 v13, v1, v13
	v_lshl_add_u32 v14, v14, 3, 0
	v_add_nc_u64_e32 v[10:11], 64, v[10:11]
	s_delay_alu instid0(VALU_DEP_3) | instskip(SKIP_4) | instid1(SALU_CYCLE_1)
	v_dual_fmac_f32 v13, v3, v12 :: v_dual_fmac_f32 v15, v1, v12
	ds_add_f32 v14, v15 offset:32768
	ds_add_f32 v14, v13 offset:32772
	v_cmp_ge_i64_e32 vcc_lo, v[10:11], v[8:9]
	s_or_b32 s41, vcc_lo, s41
	s_and_not1_b32 exec_lo, exec_lo, s41
	s_cbranch_execz .LBB131_16
.LBB131_21:                             ;   Parent Loop BB131_17 Depth=1
                                        ; =>  This Loop Header: Depth=2
                                        ;       Child Loop BB131_24 Depth 3
	s_wait_xcnt 0x0
	v_lshlrev_b64_e32 v[12:13], 3, v[10:11]
	s_mov_b32 s42, exec_lo
	s_delay_alu instid0(VALU_DEP_1)
	v_add_nc_u64_e32 v[14:15], s[24:25], v[12:13]
	v_add_nc_u64_e32 v[12:13], s[26:27], v[12:13]
	global_load_b64 v[14:15], v[14:15], off
	global_load_b64 v[12:13], v[12:13], off
	s_wait_loadcnt 0x1
	v_sub_nc_u64_e64 v[16:17], v[14:15], s[36:37]
	s_wait_xcnt 0x1
	s_delay_alu instid0(VALU_DEP_1) | instskip(NEXT) | instid1(VALU_DEP_1)
	v_mul_lo_u32 v14, 0x89, v16
	v_and_b32_e32 v14, 0xfff, v14
	s_delay_alu instid0(VALU_DEP_1)
	v_lshl_add_u32 v24, v14, 3, 0
	ds_load_b64 v[20:21], v24
	s_wait_dscnt 0x0
	s_wait_xcnt 0x0
	v_cmpx_ne_u64_e64 v[20:21], v[16:17]
	s_cbranch_execz .LBB131_20
; %bb.22:                               ;   in Loop: Header=BB131_21 Depth=2
	s_mov_b32 s43, 0
                                        ; implicit-def: $sgpr44
                                        ; implicit-def: $sgpr45
	s_branch .LBB131_24
.LBB131_23:                             ;   in Loop: Header=BB131_24 Depth=3
	s_or_b32 exec_lo, exec_lo, s48
	s_delay_alu instid0(SALU_CYCLE_1) | instskip(NEXT) | instid1(SALU_CYCLE_1)
	s_and_b32 s46, exec_lo, s47
	s_or_b32 s43, s46, s43
	s_and_not1_b32 s44, s44, exec_lo
	s_and_b32 s46, s45, exec_lo
	s_delay_alu instid0(SALU_CYCLE_1)
	s_or_b32 s44, s44, s46
	s_and_not1_b32 exec_lo, exec_lo, s43
	s_cbranch_execz .LBB131_30
.LBB131_24:                             ;   Parent Loop BB131_17 Depth=1
                                        ;     Parent Loop BB131_21 Depth=2
                                        ; =>    This Inner Loop Header: Depth=3
	v_mov_b64_e32 v[18:19], v[14:15]
	s_mov_b32 s46, 0
	s_mov_b32 s47, exec_lo
                                        ; implicit-def: $vgpr14_vgpr15
	v_cmpx_ne_u64_e64 s[30:31], v[20:21]
	s_xor_b32 s47, exec_lo, s47
; %bb.25:                               ;   in Loop: Header=BB131_24 Depth=3
	s_delay_alu instid0(VALU_DEP_2) | instskip(SKIP_1) | instid1(VALU_DEP_1)
	v_add_nc_u32_e32 v14, 1, v18
	s_mov_b32 s46, exec_lo
                                        ; implicit-def: $vgpr24
	v_and_b32_e32 v14, 0xfff, v14
; %bb.26:                               ;   in Loop: Header=BB131_24 Depth=3
	s_and_not1_saveexec_b32 s47, s47
	s_cbranch_execz .LBB131_28
; %bb.27:                               ;   in Loop: Header=BB131_24 Depth=3
	v_mov_b64_e32 v[14:15], s[30:31]
	s_and_not1_b32 s46, s46, exec_lo
	ds_cmpstore_rtn_b64 v[14:15], v24, v[16:17], v[14:15]
	s_wait_dscnt 0x0
	v_cmp_ne_u64_e32 vcc_lo, s[30:31], v[14:15]
	v_mov_b64_e32 v[14:15], v[18:19]
	s_and_b32 s48, vcc_lo, exec_lo
	s_delay_alu instid0(SALU_CYCLE_1)
	s_or_b32 s46, s46, s48
.LBB131_28:                             ;   in Loop: Header=BB131_24 Depth=3
	s_or_b32 exec_lo, exec_lo, s47
	s_mov_b32 s47, -1
	s_or_b32 s45, s45, exec_lo
                                        ; implicit-def: $vgpr24
                                        ; implicit-def: $vgpr20_vgpr21
	s_and_saveexec_b32 s48, s46
	s_cbranch_execz .LBB131_23
; %bb.29:                               ;   in Loop: Header=BB131_24 Depth=3
	v_lshl_add_u32 v24, v14, 3, 0
	s_and_not1_b32 s45, s45, exec_lo
	ds_load_b64 v[20:21], v24
	s_wait_dscnt 0x0
	v_cmp_eq_u64_e32 vcc_lo, v[20:21], v[16:17]
	s_or_not1_b32 s47, vcc_lo, exec_lo
	s_branch .LBB131_23
.LBB131_30:                             ;   in Loop: Header=BB131_21 Depth=2
	s_or_b32 exec_lo, exec_lo, s43
	s_and_saveexec_b32 s43, s44
	s_delay_alu instid0(SALU_CYCLE_1)
	s_xor_b32 s43, exec_lo, s43
	s_cbranch_execz .LBB131_19
; %bb.31:                               ;   in Loop: Header=BB131_21 Depth=2
	v_mov_b32_e32 v14, v18
	s_branch .LBB131_19
.LBB131_32:
	s_or_b32 exec_lo, exec_lo, s20
.LBB131_33:
	s_delay_alu instid0(SALU_CYCLE_1)
	s_and_not1_b32 vcc_lo, exec_lo, s2
	s_cbranch_vccnz .LBB131_50
; %bb.34:
	s_wait_kmcnt 0x0
	s_lshl_b64 s[0:1], s[34:35], 3
	v_mov_b32_e32 v1, 0
	s_add_nc_u64 s[0:1], s[12:13], s[0:1]
	s_load_b128 s[4:7], s[0:1], 0x0
	s_wait_xcnt 0x0
	s_mov_b32 s1, 0
	s_mov_b32 s0, s23
	s_delay_alu instid0(SALU_CYCLE_1) | instskip(SKIP_1) | instid1(VALU_DEP_1)
	v_sub_nc_u64_e64 v[4:5], v[0:1], s[0:1]
	s_wait_kmcnt 0x0
	v_add_nc_u64_e32 v[4:5], s[4:5], v[4:5]
	s_sub_nc_u64 s[2:3], s[6:7], s[0:1]
	s_mov_b32 s4, exec_lo
	s_delay_alu instid0(VALU_DEP_1)
	v_cmpx_gt_i64_e64 s[2:3], v[4:5]
	s_cbranch_execz .LBB131_49
; %bb.35:
	s_mov_b32 s5, s1
	s_branch .LBB131_38
.LBB131_36:                             ;   in Loop: Header=BB131_38 Depth=1
	s_or_b32 exec_lo, exec_lo, s7
.LBB131_37:                             ;   in Loop: Header=BB131_38 Depth=1
	s_delay_alu instid0(SALU_CYCLE_1)
	s_or_b32 exec_lo, exec_lo, s6
	s_wait_loadcnt 0x0
	v_mul_f32_e64 v1, v7, -s38
	v_mul_f32_e32 v3, s33, v7
	v_lshl_add_u32 v7, v8, 3, 0
	v_add_nc_u64_e32 v[4:5], 0x400, v[4:5]
	s_delay_alu instid0(VALU_DEP_3) | instskip(SKIP_4) | instid1(SALU_CYCLE_1)
	v_dual_fmac_f32 v1, s33, v6 :: v_dual_fmac_f32 v3, s38, v6
	ds_add_f32 v7, v1 offset:32768
	ds_add_f32 v7, v3 offset:32772
	v_cmp_le_i64_e32 vcc_lo, s[2:3], v[4:5]
	s_or_b32 s5, vcc_lo, s5
	s_and_not1_b32 exec_lo, exec_lo, s5
	s_cbranch_execz .LBB131_49
.LBB131_38:                             ; =>This Loop Header: Depth=1
                                        ;     Child Loop BB131_41 Depth 2
	v_lshlrev_b64_e32 v[6:7], 3, v[4:5]
	s_mov_b32 s6, exec_lo
	s_delay_alu instid0(VALU_DEP_1)
	v_add_nc_u64_e32 v[8:9], s[14:15], v[6:7]
	v_add_nc_u64_e32 v[6:7], s[16:17], v[6:7]
	global_load_b64 v[8:9], v[8:9], off
	global_load_b64 v[6:7], v[6:7], off
	s_wait_loadcnt 0x1
	v_sub_nc_u64_e64 v[10:11], v[8:9], s[0:1]
	s_delay_alu instid0(VALU_DEP_1) | instskip(NEXT) | instid1(VALU_DEP_1)
	v_mul_lo_u32 v1, 0x89, v10
	v_and_b32_e32 v8, 0xfff, v1
	s_delay_alu instid0(VALU_DEP_1)
	v_lshl_add_u32 v1, v8, 3, 0
	ds_load_b64 v[14:15], v1
	s_wait_dscnt 0x0
	s_wait_xcnt 0x0
	v_cmpx_ne_u64_e64 v[14:15], v[10:11]
	s_cbranch_execz .LBB131_37
; %bb.39:                               ;   in Loop: Header=BB131_38 Depth=1
	s_mov_b32 s7, 0
                                        ; implicit-def: $sgpr8
                                        ; implicit-def: $sgpr9
	s_branch .LBB131_41
.LBB131_40:                             ;   in Loop: Header=BB131_41 Depth=2
	s_or_b32 exec_lo, exec_lo, s12
	s_delay_alu instid0(SALU_CYCLE_1) | instskip(NEXT) | instid1(SALU_CYCLE_1)
	s_and_b32 s10, exec_lo, s11
	s_or_b32 s7, s10, s7
	s_and_not1_b32 s8, s8, exec_lo
	s_and_b32 s10, s9, exec_lo
	s_delay_alu instid0(SALU_CYCLE_1)
	s_or_b32 s8, s8, s10
	s_and_not1_b32 exec_lo, exec_lo, s7
	s_cbranch_execz .LBB131_47
.LBB131_41:                             ;   Parent Loop BB131_38 Depth=1
                                        ; =>  This Inner Loop Header: Depth=2
	v_mov_b64_e32 v[12:13], v[8:9]
	s_mov_b32 s10, 0
	s_mov_b32 s11, exec_lo
                                        ; implicit-def: $vgpr8_vgpr9
	v_cmpx_ne_u64_e64 s[30:31], v[14:15]
	s_xor_b32 s11, exec_lo, s11
; %bb.42:                               ;   in Loop: Header=BB131_41 Depth=2
	s_delay_alu instid0(VALU_DEP_2) | instskip(SKIP_1) | instid1(VALU_DEP_1)
	v_add_nc_u32_e32 v1, 1, v12
	s_mov_b32 s10, exec_lo
	v_and_b32_e32 v8, 0xfff, v1
                                        ; implicit-def: $vgpr1
; %bb.43:                               ;   in Loop: Header=BB131_41 Depth=2
	s_and_not1_saveexec_b32 s11, s11
	s_cbranch_execz .LBB131_45
; %bb.44:                               ;   in Loop: Header=BB131_41 Depth=2
	v_mov_b64_e32 v[8:9], s[30:31]
	s_and_not1_b32 s10, s10, exec_lo
	ds_cmpstore_rtn_b64 v[8:9], v1, v[10:11], v[8:9]
	s_wait_dscnt 0x0
	v_cmp_ne_u64_e32 vcc_lo, s[30:31], v[8:9]
	v_mov_b64_e32 v[8:9], v[12:13]
	s_and_b32 s12, vcc_lo, exec_lo
	s_delay_alu instid0(SALU_CYCLE_1)
	s_or_b32 s10, s10, s12
.LBB131_45:                             ;   in Loop: Header=BB131_41 Depth=2
	s_or_b32 exec_lo, exec_lo, s11
	s_mov_b32 s11, -1
	s_or_b32 s9, s9, exec_lo
                                        ; implicit-def: $vgpr1
                                        ; implicit-def: $vgpr14_vgpr15
	s_and_saveexec_b32 s12, s10
	s_cbranch_execz .LBB131_40
; %bb.46:                               ;   in Loop: Header=BB131_41 Depth=2
	v_lshl_add_u32 v1, v8, 3, 0
	s_and_not1_b32 s9, s9, exec_lo
	ds_load_b64 v[14:15], v1
	s_wait_dscnt 0x0
	v_cmp_eq_u64_e32 vcc_lo, v[14:15], v[10:11]
	s_or_not1_b32 s11, vcc_lo, exec_lo
	s_branch .LBB131_40
.LBB131_47:                             ;   in Loop: Header=BB131_38 Depth=1
	s_or_b32 exec_lo, exec_lo, s7
	s_and_saveexec_b32 s7, s8
	s_delay_alu instid0(SALU_CYCLE_1)
	s_xor_b32 s7, exec_lo, s7
	s_cbranch_execz .LBB131_36
; %bb.48:                               ;   in Loop: Header=BB131_38 Depth=1
	v_mov_b32_e32 v8, v12
	s_branch .LBB131_36
.LBB131_49:
	s_or_b32 exec_lo, exec_lo, s4
.LBB131_50:
	v_mbcnt_lo_u32_b32 v1, -1, 0
	v_lshlrev_b32_e32 v2, 3, v2
	v_mov_b64_e32 v[6:7], 0
	s_add_co_i32 s38, 0, 0x10078
	s_delay_alu instid0(SALU_CYCLE_1)
	v_dual_mov_b32 v3, 0 :: v_dual_mov_b32 v5, s38
	v_xor_b32_e32 v4, 31, v1
	v_add3_u32 v1, 0x10000, 0, v2
	v_cmp_lt_u32_e64 s0, 63, v0
	v_cmp_lt_u32_e64 s1, 0x7f, v0
	;; [unrolled: 1-line block ×3, first 2 shown]
	v_lshrrev_b32_e64 v4, v4, -1
	v_cmp_lt_u32_e64 s3, 0xff, v0
	v_cmp_lt_u32_e64 s4, 0x13f, v0
	;; [unrolled: 1-line block ×12, first 2 shown]
	s_mov_b32 s16, 0
	s_add_co_i32 s17, 0, 0x10000
	s_add_co_i32 s20, 0, 0x10008
	;; [unrolled: 1-line block ×15, first 2 shown]
	s_wait_dscnt 0x0
	s_barrier_signal -1
	s_barrier_wait -1
	v_cmp_eq_u32_e32 vcc_lo, 0x3ff, v0
	s_branch .LBB131_52
.LBB131_51:                             ;   in Loop: Header=BB131_52 Depth=1
	s_or_b32 exec_lo, exec_lo, s15
	s_wait_dscnt 0x0
	s_barrier_signal -1
	s_barrier_wait -1
	ds_load_b64 v[8:9], v5
	v_add_nc_u32_e32 v23, 0x400, v23
	v_add_nc_u32_e32 v22, 0x2000, v22
	s_delay_alu instid0(VALU_DEP_2)
	v_cmp_lt_u32_e64 s15, 0xbff, v23
	s_or_b32 s16, s15, s16
	s_wait_dscnt 0x0
	v_add_nc_u64_e32 v[6:7], v[8:9], v[6:7]
	s_and_not1_b32 exec_lo, exec_lo, s16
	s_cbranch_execz .LBB131_86
.LBB131_52:                             ; =>This Inner Loop Header: Depth=1
	ds_load_b64 v[8:9], v22
	v_add_nc_u32_e32 v2, 0x8000, v22
	ds_load_2addr_b32 v[10:11], v2 offset1:1
	s_wait_dscnt 0x0
	s_barrier_signal -1
	s_barrier_wait -1
	v_cmp_gt_i64_e64 s15, s[30:31], v[8:9]
	s_bcnt1_i32_b32 s43, s15
	s_delay_alu instid0(SALU_CYCLE_1) | instskip(NEXT) | instid1(VALU_DEP_1)
	v_dual_mov_b32 v2, s43 :: v_dual_bitop2_b32 v12, s15, v4 bitop3:0x40
	v_bcnt_u32_b32 v12, v12, 0
	ds_store_b64 v1, v[2:3]
	s_wait_dscnt 0x0
	s_barrier_signal -1
	s_barrier_wait -1
	s_and_saveexec_b32 s43, s0
	s_cbranch_execnz .LBB131_69
; %bb.53:                               ;   in Loop: Header=BB131_52 Depth=1
	s_or_b32 exec_lo, exec_lo, s43
	s_and_saveexec_b32 s43, s1
	s_cbranch_execnz .LBB131_70
.LBB131_54:                             ;   in Loop: Header=BB131_52 Depth=1
	s_or_b32 exec_lo, exec_lo, s43
	s_and_saveexec_b32 s43, s2
	s_cbranch_execnz .LBB131_71
.LBB131_55:                             ;   in Loop: Header=BB131_52 Depth=1
	s_or_b32 exec_lo, exec_lo, s43
	s_and_saveexec_b32 s43, s3
	s_cbranch_execnz .LBB131_72
.LBB131_56:                             ;   in Loop: Header=BB131_52 Depth=1
	s_or_b32 exec_lo, exec_lo, s43
	s_and_saveexec_b32 s43, s4
	s_cbranch_execnz .LBB131_73
.LBB131_57:                             ;   in Loop: Header=BB131_52 Depth=1
	s_or_b32 exec_lo, exec_lo, s43
	s_and_saveexec_b32 s43, s5
	s_cbranch_execnz .LBB131_74
.LBB131_58:                             ;   in Loop: Header=BB131_52 Depth=1
	s_or_b32 exec_lo, exec_lo, s43
	s_and_saveexec_b32 s43, s6
	s_cbranch_execnz .LBB131_75
.LBB131_59:                             ;   in Loop: Header=BB131_52 Depth=1
	s_or_b32 exec_lo, exec_lo, s43
	s_and_saveexec_b32 s43, s7
	s_cbranch_execnz .LBB131_76
.LBB131_60:                             ;   in Loop: Header=BB131_52 Depth=1
	s_or_b32 exec_lo, exec_lo, s43
	s_and_saveexec_b32 s43, s8
	s_cbranch_execnz .LBB131_77
.LBB131_61:                             ;   in Loop: Header=BB131_52 Depth=1
	s_or_b32 exec_lo, exec_lo, s43
	s_and_saveexec_b32 s43, s9
	s_cbranch_execnz .LBB131_78
.LBB131_62:                             ;   in Loop: Header=BB131_52 Depth=1
	s_or_b32 exec_lo, exec_lo, s43
	s_and_saveexec_b32 s43, s10
	s_cbranch_execnz .LBB131_79
.LBB131_63:                             ;   in Loop: Header=BB131_52 Depth=1
	s_or_b32 exec_lo, exec_lo, s43
	s_and_saveexec_b32 s43, s11
	s_cbranch_execnz .LBB131_80
.LBB131_64:                             ;   in Loop: Header=BB131_52 Depth=1
	s_or_b32 exec_lo, exec_lo, s43
	s_and_saveexec_b32 s43, s12
	s_cbranch_execnz .LBB131_81
.LBB131_65:                             ;   in Loop: Header=BB131_52 Depth=1
	s_or_b32 exec_lo, exec_lo, s43
	s_and_saveexec_b32 s43, s13
	s_cbranch_execnz .LBB131_82
.LBB131_66:                             ;   in Loop: Header=BB131_52 Depth=1
	s_or_b32 exec_lo, exec_lo, s43
	s_and_saveexec_b32 s43, s14
	s_cbranch_execnz .LBB131_83
.LBB131_67:                             ;   in Loop: Header=BB131_52 Depth=1
	s_or_b32 exec_lo, exec_lo, s43
	v_ashrrev_i32_e32 v13, 31, v12
	s_and_saveexec_b32 s43, s15
	s_cbranch_execnz .LBB131_84
.LBB131_68:                             ;   in Loop: Header=BB131_52 Depth=1
	s_or_b32 exec_lo, exec_lo, s43
	s_and_saveexec_b32 s15, vcc_lo
	s_cbranch_execz .LBB131_51
	s_branch .LBB131_85
.LBB131_69:                             ;   in Loop: Header=BB131_52 Depth=1
	v_mov_b32_e32 v2, s17
	ds_load_b32 v2, v2
	s_wait_dscnt 0x0
	v_add_nc_u32_e32 v12, v2, v12
	s_or_b32 exec_lo, exec_lo, s43
	s_and_saveexec_b32 s43, s1
	s_cbranch_execz .LBB131_54
.LBB131_70:                             ;   in Loop: Header=BB131_52 Depth=1
	v_mov_b32_e32 v2, s20
	ds_load_b32 v2, v2
	s_wait_dscnt 0x0
	v_add_nc_u32_e32 v12, v12, v2
	s_or_b32 exec_lo, exec_lo, s43
	s_and_saveexec_b32 s43, s2
	s_cbranch_execz .LBB131_55
.LBB131_71:                             ;   in Loop: Header=BB131_52 Depth=1
	v_mov_b32_e32 v2, s21
	ds_load_b32 v2, v2
	s_wait_dscnt 0x0
	v_add_nc_u32_e32 v12, v12, v2
	s_or_b32 exec_lo, exec_lo, s43
	s_and_saveexec_b32 s43, s3
	s_cbranch_execz .LBB131_56
.LBB131_72:                             ;   in Loop: Header=BB131_52 Depth=1
	v_mov_b32_e32 v2, s23
	ds_load_b32 v2, v2
	s_wait_dscnt 0x0
	v_add_nc_u32_e32 v12, v12, v2
	s_or_b32 exec_lo, exec_lo, s43
	s_and_saveexec_b32 s43, s4
	s_cbranch_execz .LBB131_57
.LBB131_73:                             ;   in Loop: Header=BB131_52 Depth=1
	v_mov_b32_e32 v2, s24
	ds_load_b32 v2, v2
	s_wait_dscnt 0x0
	v_add_nc_u32_e32 v12, v12, v2
	s_or_b32 exec_lo, exec_lo, s43
	s_and_saveexec_b32 s43, s5
	s_cbranch_execz .LBB131_58
.LBB131_74:                             ;   in Loop: Header=BB131_52 Depth=1
	v_mov_b32_e32 v2, s25
	ds_load_b32 v2, v2
	s_wait_dscnt 0x0
	v_add_nc_u32_e32 v12, v12, v2
	s_or_b32 exec_lo, exec_lo, s43
	s_and_saveexec_b32 s43, s6
	s_cbranch_execz .LBB131_59
.LBB131_75:                             ;   in Loop: Header=BB131_52 Depth=1
	v_mov_b32_e32 v2, s26
	ds_load_b32 v2, v2
	s_wait_dscnt 0x0
	v_add_nc_u32_e32 v12, v12, v2
	s_or_b32 exec_lo, exec_lo, s43
	s_and_saveexec_b32 s43, s7
	s_cbranch_execz .LBB131_60
.LBB131_76:                             ;   in Loop: Header=BB131_52 Depth=1
	v_mov_b32_e32 v2, s27
	ds_load_b32 v2, v2
	s_wait_dscnt 0x0
	v_add_nc_u32_e32 v12, v12, v2
	s_or_b32 exec_lo, exec_lo, s43
	s_and_saveexec_b32 s43, s8
	s_cbranch_execz .LBB131_61
.LBB131_77:                             ;   in Loop: Header=BB131_52 Depth=1
	v_mov_b32_e32 v2, s33
	ds_load_b32 v2, v2
	s_wait_dscnt 0x0
	v_add_nc_u32_e32 v12, v12, v2
	s_or_b32 exec_lo, exec_lo, s43
	s_and_saveexec_b32 s43, s9
	s_cbranch_execz .LBB131_62
.LBB131_78:                             ;   in Loop: Header=BB131_52 Depth=1
	v_mov_b32_e32 v2, s36
	ds_load_b32 v2, v2
	s_wait_dscnt 0x0
	v_add_nc_u32_e32 v12, v12, v2
	s_or_b32 exec_lo, exec_lo, s43
	s_and_saveexec_b32 s43, s10
	s_cbranch_execz .LBB131_63
.LBB131_79:                             ;   in Loop: Header=BB131_52 Depth=1
	v_mov_b32_e32 v2, s37
	ds_load_b32 v2, v2
	s_wait_dscnt 0x0
	v_add_nc_u32_e32 v12, v12, v2
	s_or_b32 exec_lo, exec_lo, s43
	s_and_saveexec_b32 s43, s11
	s_cbranch_execz .LBB131_64
.LBB131_80:                             ;   in Loop: Header=BB131_52 Depth=1
	v_mov_b32_e32 v2, s39
	ds_load_b32 v2, v2
	s_wait_dscnt 0x0
	v_add_nc_u32_e32 v12, v12, v2
	s_or_b32 exec_lo, exec_lo, s43
	s_and_saveexec_b32 s43, s12
	s_cbranch_execz .LBB131_65
.LBB131_81:                             ;   in Loop: Header=BB131_52 Depth=1
	v_mov_b32_e32 v2, s40
	ds_load_b32 v2, v2
	s_wait_dscnt 0x0
	v_add_nc_u32_e32 v12, v12, v2
	s_or_b32 exec_lo, exec_lo, s43
	s_and_saveexec_b32 s43, s13
	s_cbranch_execz .LBB131_66
.LBB131_82:                             ;   in Loop: Header=BB131_52 Depth=1
	v_mov_b32_e32 v2, s41
	ds_load_b32 v2, v2
	s_wait_dscnt 0x0
	v_add_nc_u32_e32 v12, v12, v2
	s_or_b32 exec_lo, exec_lo, s43
	s_and_saveexec_b32 s43, s14
	s_cbranch_execz .LBB131_67
.LBB131_83:                             ;   in Loop: Header=BB131_52 Depth=1
	v_mov_b32_e32 v2, s42
	ds_load_b32 v2, v2
	s_wait_dscnt 0x0
	v_add_nc_u32_e32 v12, v12, v2
	s_or_b32 exec_lo, exec_lo, s43
	s_delay_alu instid0(VALU_DEP_1)
	v_ashrrev_i32_e32 v13, 31, v12
	s_and_saveexec_b32 s43, s15
	s_cbranch_execz .LBB131_68
.LBB131_84:                             ;   in Loop: Header=BB131_52 Depth=1
	v_add3_u32 v2, v6, -1, v12
	v_add_lshl_u32 v14, v6, v12, 3
	s_delay_alu instid0(VALU_DEP_2) | instskip(NEXT) | instid1(VALU_DEP_2)
	v_lshl_add_u32 v2, v2, 3, 0
	v_add3_u32 v14, 0, v14, 0x7ff8
	ds_store_b64 v2, v[8:9]
	ds_store_2addr_b32 v14, v10, v11 offset1:1
	s_or_b32 exec_lo, exec_lo, s43
	s_and_saveexec_b32 s15, vcc_lo
	s_cbranch_execz .LBB131_51
.LBB131_85:                             ;   in Loop: Header=BB131_52 Depth=1
	v_mov_b32_e32 v2, s38
	ds_store_b64 v2, v[12:13]
	s_branch .LBB131_51
.LBB131_86:
	s_or_b32 exec_lo, exec_lo, s16
	s_wait_kmcnt 0x0
	s_lshl_b64 s[0:1], s[34:35], 3
	v_mov_b32_e32 v1, 0
	s_add_nc_u64 s[4:5], s[18:19], s[0:1]
	s_mov_b32 s6, exec_lo
	s_load_b128 s[0:3], s[4:5], 0x0
	s_wait_kmcnt 0x0
	s_sub_nc_u64 s[4:5], s[2:3], s[0:1]
	s_delay_alu instid0(SALU_CYCLE_1)
	v_cmpx_gt_i64_e64 s[4:5], v[0:1]
	s_cbranch_execz .LBB131_96
; %bb.87:
	s_sub_nc_u64 s[8:9], s[0:1], s[2:3]
	s_and_b64 s[6:7], s[4:5], 7
	v_cmp_lt_u64_e64 s10, s[8:9], -7
	s_and_b64 s[2:3], s[4:5], -8
	s_mov_b32 s23, 0
	s_cmp_lg_u64 s[6:7], 0
	s_sub_nc_u64 s[0:1], s[0:1], s[22:23]
	s_cselect_b32 s11, -1, 0
	s_mov_b32 s12, 0
	s_branch .LBB131_89
.LBB131_88:                             ;   in Loop: Header=BB131_89 Depth=1
	v_add_nc_u64_e32 v[0:1], 0x400, v[0:1]
	s_wait_dscnt 0x1
	s_delay_alu instid0(VALU_DEP_2)
	v_lshl_add_u64 v[4:5], v[6:7], 3, s[28:29]
	s_wait_dscnt 0x0
	global_store_b64 v[4:5], v[2:3], off
	v_cmp_le_i64_e32 vcc_lo, s[4:5], v[0:1]
	s_or_b32 s12, vcc_lo, s12
	s_wait_xcnt 0x0
	s_and_not1_b32 exec_lo, exec_lo, s12
	s_cbranch_execz .LBB131_96
.LBB131_89:                             ; =>This Loop Header: Depth=1
                                        ;     Child Loop BB131_91 Depth 2
                                        ;     Child Loop BB131_95 Depth 2
	v_lshl_add_u32 v2, v0, 3, 0
	v_mov_b64_e32 v[6:7], s[0:1]
	s_and_not1_b32 vcc_lo, exec_lo, s10
	s_mov_b64 s[8:9], 0
	s_delay_alu instid0(VALU_DEP_2)
	v_add_nc_u32_e32 v3, 0x8000, v2
	ds_load_b64 v[4:5], v2
	ds_load_2addr_b32 v[2:3], v3 offset1:1
	s_cbranch_vccnz .LBB131_93
; %bb.90:                               ;   in Loop: Header=BB131_89 Depth=1
	v_mov_b64_e32 v[6:7], s[0:1]
	s_mov_b32 s13, 0
.LBB131_91:                             ;   Parent Loop BB131_89 Depth=1
                                        ; =>  This Inner Loop Header: Depth=2
	s_delay_alu instid0(SALU_CYCLE_1)
	v_dual_mov_b32 v20, s13 :: v_dual_mov_b32 v17, s23
	v_mov_b32_e32 v19, s23
	s_add_nc_u64 s[8:9], s[8:9], 8
	s_add_co_i32 s13, s13, 64
	ds_load_2addr_b64 v[8:11], v20 offset1:1
	ds_load_2addr_b64 v[12:15], v20 offset0:2 offset1:3
	s_cmp_eq_u64 s[2:3], s[8:9]
	s_wait_dscnt 0x1
	v_cmp_gt_i64_e32 vcc_lo, v[4:5], v[8:9]
	v_cndmask_b32_e64 v16, 0, 1, vcc_lo
	v_cmp_gt_i64_e32 vcc_lo, v[4:5], v[10:11]
	s_delay_alu instid0(VALU_DEP_2) | instskip(SKIP_4) | instid1(VALU_DEP_2)
	v_add_nc_u64_e32 v[10:11], v[6:7], v[16:17]
	ds_load_2addr_b64 v[6:9], v20 offset0:4 offset1:5
	v_cndmask_b32_e64 v18, 0, 1, vcc_lo
	s_wait_dscnt 0x1
	v_cmp_gt_i64_e32 vcc_lo, v[4:5], v[12:13]
	v_add_nc_u64_e32 v[10:11], v[10:11], v[18:19]
	v_cndmask_b32_e64 v16, 0, 1, vcc_lo
	v_cmp_gt_i64_e32 vcc_lo, v[4:5], v[14:15]
	s_delay_alu instid0(VALU_DEP_2)
	v_add_nc_u64_e32 v[14:15], v[10:11], v[16:17]
	ds_load_2addr_b64 v[10:13], v20 offset0:6 offset1:7
	v_cndmask_b32_e64 v18, 0, 1, vcc_lo
	s_wait_dscnt 0x1
	v_cmp_gt_i64_e32 vcc_lo, v[4:5], v[6:7]
	v_mov_b32_e32 v7, s23
	s_delay_alu instid0(VALU_DEP_3) | instskip(SKIP_3) | instid1(VALU_DEP_3)
	v_add_nc_u64_e32 v[14:15], v[14:15], v[18:19]
	v_cndmask_b32_e64 v16, 0, 1, vcc_lo
	v_cmp_gt_i64_e32 vcc_lo, v[4:5], v[8:9]
	v_mov_b32_e32 v9, s23
	v_add_nc_u64_e32 v[14:15], v[14:15], v[16:17]
	v_cndmask_b32_e64 v6, 0, 1, vcc_lo
	s_wait_dscnt 0x0
	v_cmp_gt_i64_e32 vcc_lo, v[4:5], v[10:11]
	v_mov_b32_e32 v11, s23
	s_delay_alu instid0(VALU_DEP_3) | instskip(SKIP_2) | instid1(VALU_DEP_2)
	v_add_nc_u64_e32 v[6:7], v[14:15], v[6:7]
	v_cndmask_b32_e64 v8, 0, 1, vcc_lo
	v_cmp_gt_i64_e32 vcc_lo, v[4:5], v[12:13]
	v_add_nc_u64_e32 v[6:7], v[6:7], v[8:9]
	v_cndmask_b32_e64 v10, 0, 1, vcc_lo
	s_delay_alu instid0(VALU_DEP_1)
	v_add_nc_u64_e32 v[6:7], v[6:7], v[10:11]
	s_cbranch_scc0 .LBB131_91
; %bb.92:                               ;   in Loop: Header=BB131_89 Depth=1
	s_mov_b64 s[8:9], s[2:3]
.LBB131_93:                             ;   in Loop: Header=BB131_89 Depth=1
	s_and_not1_b32 vcc_lo, exec_lo, s11
	s_cbranch_vccnz .LBB131_88
; %bb.94:                               ;   in Loop: Header=BB131_89 Depth=1
	s_lshl_b32 s8, s8, 3
	s_delay_alu instid0(SALU_CYCLE_1)
	s_add_co_i32 s13, s8, 0
	s_mov_b64 s[8:9], s[6:7]
.LBB131_95:                             ;   Parent Loop BB131_89 Depth=1
                                        ; =>  This Inner Loop Header: Depth=2
	v_dual_mov_b32 v8, s13 :: v_dual_mov_b32 v11, s23
	s_add_nc_u64 s[8:9], s[8:9], -1
	s_add_co_i32 s13, s13, 8
	s_cmp_lg_u64 s[8:9], 0
	ds_load_b64 v[8:9], v8
	s_wait_dscnt 0x0
	v_cmp_gt_i64_e32 vcc_lo, v[4:5], v[8:9]
	v_cndmask_b32_e64 v10, 0, 1, vcc_lo
	s_delay_alu instid0(VALU_DEP_1)
	v_add_nc_u64_e32 v[6:7], v[6:7], v[10:11]
	s_cbranch_scc1 .LBB131_95
	s_branch .LBB131_88
.LBB131_96:
	s_endpgm
	.section	.rodata,"a",@progbits
	.p2align	6, 0x0
	.amdhsa_kernel _ZN9rocsparseL41csrgemm_numeric_fill_block_per_row_kernelILj1024ELj64ELj4096ELj137ELj64Ell21rocsparse_complex_numIfEEEvT5_PKS3_S5_NS_24const_host_device_scalarIT6_EEPKT4_S5_PKS7_SB_S5_SD_S8_SB_S5_SD_SB_S5_PS7_21rocsparse_index_base_SF_SF_SF_bbb
		.amdhsa_group_segment_fixed_size 0
		.amdhsa_private_segment_fixed_size 0
		.amdhsa_kernarg_size 156
		.amdhsa_user_sgpr_count 2
		.amdhsa_user_sgpr_dispatch_ptr 0
		.amdhsa_user_sgpr_queue_ptr 0
		.amdhsa_user_sgpr_kernarg_segment_ptr 1
		.amdhsa_user_sgpr_dispatch_id 0
		.amdhsa_user_sgpr_kernarg_preload_length 0
		.amdhsa_user_sgpr_kernarg_preload_offset 0
		.amdhsa_user_sgpr_private_segment_size 0
		.amdhsa_wavefront_size32 1
		.amdhsa_uses_dynamic_stack 0
		.amdhsa_enable_private_segment 0
		.amdhsa_system_sgpr_workgroup_id_x 1
		.amdhsa_system_sgpr_workgroup_id_y 0
		.amdhsa_system_sgpr_workgroup_id_z 0
		.amdhsa_system_sgpr_workgroup_info 0
		.amdhsa_system_vgpr_workitem_id 0
		.amdhsa_next_free_vgpr 25
		.amdhsa_next_free_sgpr 49
		.amdhsa_named_barrier_count 0
		.amdhsa_reserve_vcc 1
		.amdhsa_float_round_mode_32 0
		.amdhsa_float_round_mode_16_64 0
		.amdhsa_float_denorm_mode_32 3
		.amdhsa_float_denorm_mode_16_64 3
		.amdhsa_fp16_overflow 0
		.amdhsa_memory_ordered 1
		.amdhsa_forward_progress 1
		.amdhsa_inst_pref_size 29
		.amdhsa_round_robin_scheduling 0
		.amdhsa_exception_fp_ieee_invalid_op 0
		.amdhsa_exception_fp_denorm_src 0
		.amdhsa_exception_fp_ieee_div_zero 0
		.amdhsa_exception_fp_ieee_overflow 0
		.amdhsa_exception_fp_ieee_underflow 0
		.amdhsa_exception_fp_ieee_inexact 0
		.amdhsa_exception_int_div_zero 0
	.end_amdhsa_kernel
	.section	.text._ZN9rocsparseL41csrgemm_numeric_fill_block_per_row_kernelILj1024ELj64ELj4096ELj137ELj64Ell21rocsparse_complex_numIfEEEvT5_PKS3_S5_NS_24const_host_device_scalarIT6_EEPKT4_S5_PKS7_SB_S5_SD_S8_SB_S5_SD_SB_S5_PS7_21rocsparse_index_base_SF_SF_SF_bbb,"axG",@progbits,_ZN9rocsparseL41csrgemm_numeric_fill_block_per_row_kernelILj1024ELj64ELj4096ELj137ELj64Ell21rocsparse_complex_numIfEEEvT5_PKS3_S5_NS_24const_host_device_scalarIT6_EEPKT4_S5_PKS7_SB_S5_SD_S8_SB_S5_SD_SB_S5_PS7_21rocsparse_index_base_SF_SF_SF_bbb,comdat
.Lfunc_end131:
	.size	_ZN9rocsparseL41csrgemm_numeric_fill_block_per_row_kernelILj1024ELj64ELj4096ELj137ELj64Ell21rocsparse_complex_numIfEEEvT5_PKS3_S5_NS_24const_host_device_scalarIT6_EEPKT4_S5_PKS7_SB_S5_SD_S8_SB_S5_SD_SB_S5_PS7_21rocsparse_index_base_SF_SF_SF_bbb, .Lfunc_end131-_ZN9rocsparseL41csrgemm_numeric_fill_block_per_row_kernelILj1024ELj64ELj4096ELj137ELj64Ell21rocsparse_complex_numIfEEEvT5_PKS3_S5_NS_24const_host_device_scalarIT6_EEPKT4_S5_PKS7_SB_S5_SD_S8_SB_S5_SD_SB_S5_PS7_21rocsparse_index_base_SF_SF_SF_bbb
                                        ; -- End function
	.set _ZN9rocsparseL41csrgemm_numeric_fill_block_per_row_kernelILj1024ELj64ELj4096ELj137ELj64Ell21rocsparse_complex_numIfEEEvT5_PKS3_S5_NS_24const_host_device_scalarIT6_EEPKT4_S5_PKS7_SB_S5_SD_S8_SB_S5_SD_SB_S5_PS7_21rocsparse_index_base_SF_SF_SF_bbb.num_vgpr, 25
	.set _ZN9rocsparseL41csrgemm_numeric_fill_block_per_row_kernelILj1024ELj64ELj4096ELj137ELj64Ell21rocsparse_complex_numIfEEEvT5_PKS3_S5_NS_24const_host_device_scalarIT6_EEPKT4_S5_PKS7_SB_S5_SD_S8_SB_S5_SD_SB_S5_PS7_21rocsparse_index_base_SF_SF_SF_bbb.num_agpr, 0
	.set _ZN9rocsparseL41csrgemm_numeric_fill_block_per_row_kernelILj1024ELj64ELj4096ELj137ELj64Ell21rocsparse_complex_numIfEEEvT5_PKS3_S5_NS_24const_host_device_scalarIT6_EEPKT4_S5_PKS7_SB_S5_SD_S8_SB_S5_SD_SB_S5_PS7_21rocsparse_index_base_SF_SF_SF_bbb.numbered_sgpr, 49
	.set _ZN9rocsparseL41csrgemm_numeric_fill_block_per_row_kernelILj1024ELj64ELj4096ELj137ELj64Ell21rocsparse_complex_numIfEEEvT5_PKS3_S5_NS_24const_host_device_scalarIT6_EEPKT4_S5_PKS7_SB_S5_SD_S8_SB_S5_SD_SB_S5_PS7_21rocsparse_index_base_SF_SF_SF_bbb.num_named_barrier, 0
	.set _ZN9rocsparseL41csrgemm_numeric_fill_block_per_row_kernelILj1024ELj64ELj4096ELj137ELj64Ell21rocsparse_complex_numIfEEEvT5_PKS3_S5_NS_24const_host_device_scalarIT6_EEPKT4_S5_PKS7_SB_S5_SD_S8_SB_S5_SD_SB_S5_PS7_21rocsparse_index_base_SF_SF_SF_bbb.private_seg_size, 0
	.set _ZN9rocsparseL41csrgemm_numeric_fill_block_per_row_kernelILj1024ELj64ELj4096ELj137ELj64Ell21rocsparse_complex_numIfEEEvT5_PKS3_S5_NS_24const_host_device_scalarIT6_EEPKT4_S5_PKS7_SB_S5_SD_S8_SB_S5_SD_SB_S5_PS7_21rocsparse_index_base_SF_SF_SF_bbb.uses_vcc, 1
	.set _ZN9rocsparseL41csrgemm_numeric_fill_block_per_row_kernelILj1024ELj64ELj4096ELj137ELj64Ell21rocsparse_complex_numIfEEEvT5_PKS3_S5_NS_24const_host_device_scalarIT6_EEPKT4_S5_PKS7_SB_S5_SD_S8_SB_S5_SD_SB_S5_PS7_21rocsparse_index_base_SF_SF_SF_bbb.uses_flat_scratch, 0
	.set _ZN9rocsparseL41csrgemm_numeric_fill_block_per_row_kernelILj1024ELj64ELj4096ELj137ELj64Ell21rocsparse_complex_numIfEEEvT5_PKS3_S5_NS_24const_host_device_scalarIT6_EEPKT4_S5_PKS7_SB_S5_SD_S8_SB_S5_SD_SB_S5_PS7_21rocsparse_index_base_SF_SF_SF_bbb.has_dyn_sized_stack, 0
	.set _ZN9rocsparseL41csrgemm_numeric_fill_block_per_row_kernelILj1024ELj64ELj4096ELj137ELj64Ell21rocsparse_complex_numIfEEEvT5_PKS3_S5_NS_24const_host_device_scalarIT6_EEPKT4_S5_PKS7_SB_S5_SD_S8_SB_S5_SD_SB_S5_PS7_21rocsparse_index_base_SF_SF_SF_bbb.has_recursion, 0
	.set _ZN9rocsparseL41csrgemm_numeric_fill_block_per_row_kernelILj1024ELj64ELj4096ELj137ELj64Ell21rocsparse_complex_numIfEEEvT5_PKS3_S5_NS_24const_host_device_scalarIT6_EEPKT4_S5_PKS7_SB_S5_SD_S8_SB_S5_SD_SB_S5_PS7_21rocsparse_index_base_SF_SF_SF_bbb.has_indirect_call, 0
	.section	.AMDGPU.csdata,"",@progbits
; Kernel info:
; codeLenInByte = 3672
; TotalNumSgprs: 51
; NumVgprs: 25
; ScratchSize: 0
; MemoryBound: 0
; FloatMode: 240
; IeeeMode: 1
; LDSByteSize: 0 bytes/workgroup (compile time only)
; SGPRBlocks: 0
; VGPRBlocks: 1
; NumSGPRsForWavesPerEU: 51
; NumVGPRsForWavesPerEU: 25
; NamedBarCnt: 0
; Occupancy: 16
; WaveLimiterHint : 1
; COMPUTE_PGM_RSRC2:SCRATCH_EN: 0
; COMPUTE_PGM_RSRC2:USER_SGPR: 2
; COMPUTE_PGM_RSRC2:TRAP_HANDLER: 0
; COMPUTE_PGM_RSRC2:TGID_X_EN: 1
; COMPUTE_PGM_RSRC2:TGID_Y_EN: 0
; COMPUTE_PGM_RSRC2:TGID_Z_EN: 0
; COMPUTE_PGM_RSRC2:TIDIG_COMP_CNT: 0
	.section	.text._ZN9rocsparseL41csrgemm_numeric_fill_block_per_row_kernelILj1024ELj64ELj8192ELj137ELj32Ell21rocsparse_complex_numIfEEEvT5_PKS3_S5_NS_24const_host_device_scalarIT6_EEPKT4_S5_PKS7_SB_S5_SD_S8_SB_S5_SD_SB_S5_PS7_21rocsparse_index_base_SF_SF_SF_bbb,"axG",@progbits,_ZN9rocsparseL41csrgemm_numeric_fill_block_per_row_kernelILj1024ELj64ELj8192ELj137ELj32Ell21rocsparse_complex_numIfEEEvT5_PKS3_S5_NS_24const_host_device_scalarIT6_EEPKT4_S5_PKS7_SB_S5_SD_S8_SB_S5_SD_SB_S5_PS7_21rocsparse_index_base_SF_SF_SF_bbb,comdat
	.globl	_ZN9rocsparseL41csrgemm_numeric_fill_block_per_row_kernelILj1024ELj64ELj8192ELj137ELj32Ell21rocsparse_complex_numIfEEEvT5_PKS3_S5_NS_24const_host_device_scalarIT6_EEPKT4_S5_PKS7_SB_S5_SD_S8_SB_S5_SD_SB_S5_PS7_21rocsparse_index_base_SF_SF_SF_bbb ; -- Begin function _ZN9rocsparseL41csrgemm_numeric_fill_block_per_row_kernelILj1024ELj64ELj8192ELj137ELj32Ell21rocsparse_complex_numIfEEEvT5_PKS3_S5_NS_24const_host_device_scalarIT6_EEPKT4_S5_PKS7_SB_S5_SD_S8_SB_S5_SD_SB_S5_PS7_21rocsparse_index_base_SF_SF_SF_bbb
	.p2align	8
	.type	_ZN9rocsparseL41csrgemm_numeric_fill_block_per_row_kernelILj1024ELj64ELj8192ELj137ELj32Ell21rocsparse_complex_numIfEEEvT5_PKS3_S5_NS_24const_host_device_scalarIT6_EEPKT4_S5_PKS7_SB_S5_SD_S8_SB_S5_SD_SB_S5_PS7_21rocsparse_index_base_SF_SF_SF_bbb,@function
_ZN9rocsparseL41csrgemm_numeric_fill_block_per_row_kernelILj1024ELj64ELj8192ELj137ELj32Ell21rocsparse_complex_numIfEEEvT5_PKS3_S5_NS_24const_host_device_scalarIT6_EEPKT4_S5_PKS7_SB_S5_SD_S8_SB_S5_SD_SB_S5_PS7_21rocsparse_index_base_SF_SF_SF_bbb: ; @_ZN9rocsparseL41csrgemm_numeric_fill_block_per_row_kernelILj1024ELj64ELj8192ELj137ELj32Ell21rocsparse_complex_numIfEEEvT5_PKS3_S5_NS_24const_host_device_scalarIT6_EEPKT4_S5_PKS7_SB_S5_SD_S8_SB_S5_SD_SB_S5_PS7_21rocsparse_index_base_SF_SF_SF_bbb
; %bb.0:
	s_clause 0x3
	s_load_b32 s22, s[0:1], 0x98
	s_load_b128 s[44:47], s[0:1], 0x88
	s_load_b64 s[16:17], s[0:1], 0x8
	s_load_b64 s[20:21], s[0:1], 0x50
	s_mov_b32 s3, 0
	s_mov_b32 s24, 0
	s_wait_kmcnt 0x0
	s_bitcmp1_b32 s22, 0
	s_cselect_b32 s25, -1, 0
	s_bitcmp1_b32 s22, 16
	s_cselect_b32 s2, -1, 0
	s_delay_alu instid0(SALU_CYCLE_1) | instskip(SKIP_2) | instid1(VALU_DEP_1)
	s_xor_b32 s4, s2, -1
	s_bitcmp0_b32 s22, 0
	v_cndmask_b32_e64 v1, 0, 1, s4
	v_cmp_ne_u32_e32 vcc_lo, 1, v1
	s_cbranch_scc1 .LBB132_5
; %bb.1:
	s_load_b64 s[2:3], s[0:1], 0x18
	s_and_b32 vcc_lo, exec_lo, vcc_lo
	s_wait_kmcnt 0x0
	s_mov_b32 s24, s2
	s_cbranch_vccnz .LBB132_3
; %bb.2:
	s_load_b32 s24, s[2:3], 0x0
.LBB132_3:
	s_and_not1_b32 vcc_lo, exec_lo, s4
	s_cbranch_vccnz .LBB132_5
; %bb.4:
	s_wait_xcnt 0x0
	s_load_b32 s3, s[2:3], 0x4
.LBB132_5:
	s_clause 0x4
	s_load_b64 s[34:35], s[0:1], 0x80
	s_load_b256 s[36:43], s[0:1], 0x58
	s_load_b128 s[12:15], s[0:1], 0x40
	s_load_b64 s[18:19], s[0:1], 0x10
	s_load_b256 s[4:11], s[0:1], 0x20
	s_bitcmp1_b32 s22, 8
	s_wait_xcnt 0x0
	s_cselect_b32 s2, -1, 0
	s_bfe_u32 s23, s22, 0x10008
	s_mov_b32 s22, 0
	s_cmp_eq_u32 s23, 0
	s_mov_b32 s23, 0
	s_cbranch_scc1 .LBB132_11
; %bb.6:
	v_cmp_ne_u32_e32 vcc_lo, 1, v1
	s_mov_b32 s22, s20
	s_cbranch_vccnz .LBB132_8
; %bb.7:
	s_load_b32 s22, s[20:21], 0x0
.LBB132_8:
	v_cmp_ne_u32_e32 vcc_lo, 1, v1
	s_cbranch_vccnz .LBB132_10
; %bb.9:
	s_wait_xcnt 0x0
	s_load_b32 s21, s[20:21], 0x4
.LBB132_10:
	s_wait_kmcnt 0x0
	s_mov_b32 s23, s21
.LBB132_11:
	s_load_b64 s[48:49], s[0:1], 0x0
	v_lshl_add_u32 v20, v0, 3, 0
	s_getreg_b32 s20, hwreg(HW_REG_IB_STS2, 6, 4)
	s_delay_alu instid0(VALU_DEP_1) | instskip(NEXT) | instid1(VALU_DEP_1)
	v_add_nc_u32_e32 v1, 0x10000, v20
	v_dual_mov_b32 v5, 0 :: v_dual_add_nc_u32 v4, 0x2000, v1
	v_add_nc_u32_e32 v21, 0x4000, v1
	v_add_nc_u32_e32 v22, 0x6000, v1
	v_add_nc_u32_e32 v23, 0x8000, v1
	v_add_nc_u32_e32 v24, 0xa000, v1
	v_add_nc_u32_e32 v25, 0xc000, v1
	v_add_nc_u32_e32 v26, 0xe000, v1
	s_wait_kmcnt 0x0
	v_mov_b64_e32 v[2:3], s[48:49]
	v_mov_b64_e32 v[6:7], s[48:49]
	;; [unrolled: 1-line block ×8, first 2 shown]
	ds_store_2addr_b32 v1, v5, v5 offset1:1
	ds_store_2addr_b32 v4, v5, v5 offset1:1
	;; [unrolled: 1-line block ×4, first 2 shown]
	ds_store_2addr_stride64_b64 v20, v[2:3], v[6:7] offset1:16
	ds_store_2addr_stride64_b64 v20, v[8:9], v[10:11] offset0:32 offset1:48
	ds_store_2addr_stride64_b64 v20, v[12:13], v[14:15] offset0:64 offset1:80
	;; [unrolled: 1-line block ×3, first 2 shown]
	ds_store_2addr_b32 v23, v5, v5 offset1:1
	ds_store_2addr_b32 v24, v5, v5 offset1:1
	;; [unrolled: 1-line block ×4, first 2 shown]
	s_wait_dscnt 0x0
	s_barrier_signal -1
	s_barrier_wait -1
	s_load_b64 s[0:1], s[16:17], 0x0
	s_wait_xcnt 0x0
	s_bfe_u32 s16, ttmp6, 0x4000c
	s_and_b32 s17, ttmp6, 15
	s_add_co_i32 s16, s16, 1
	s_delay_alu instid0(SALU_CYCLE_1) | instskip(NEXT) | instid1(SALU_CYCLE_1)
	s_mul_i32 s16, ttmp9, s16
	s_add_co_i32 s17, s17, s16
	s_wait_kmcnt 0x0
	s_lshl_b64 s[0:1], s[0:1], 3
	s_cmp_eq_u32 s20, 0
	s_add_nc_u64 s[0:1], s[18:19], s[0:1]
	s_cselect_b32 s16, ttmp9, s17
	s_and_not1_b32 vcc_lo, exec_lo, s25
	s_load_b64 s[50:51], s[0:1], s16 offset:0x0 scale_offset
	s_wait_xcnt 0x0
	s_mov_b32 s1, 0
	s_cbranch_vccnz .LBB132_31
; %bb.12:
	s_wait_kmcnt 0x0
	s_lshl_b64 s[16:17], s[50:51], 3
	v_lshrrev_b32_e32 v4, 6, v0
	s_add_nc_u64 s[4:5], s[4:5], s[16:17]
	s_mov_b32 s0, s44
	s_load_b128 s[16:19], s[4:5], 0x0
	s_delay_alu instid0(VALU_DEP_1) | instskip(SKIP_1) | instid1(VALU_DEP_1)
	v_sub_nc_u64_e64 v[2:3], v[4:5], s[0:1]
	s_wait_kmcnt 0x0
	v_add_nc_u64_e32 v[2:3], s[16:17], v[2:3]
	s_sub_nc_u64 s[4:5], s[18:19], s[0:1]
	s_mov_b32 s18, exec_lo
	s_delay_alu instid0(VALU_DEP_1)
	v_cmpx_gt_i64_e64 s[4:5], v[2:3]
	s_cbranch_execz .LBB132_30
; %bb.13:
	v_and_b32_e32 v4, 63, v0
	s_mov_b32 s17, 0
	s_mov_b32 s16, s45
	;; [unrolled: 1-line block ×3, first 2 shown]
	s_delay_alu instid0(VALU_DEP_1)
	v_sub_nc_u64_e64 v[4:5], v[4:5], s[16:17]
	s_branch .LBB132_15
.LBB132_14:                             ;   in Loop: Header=BB132_15 Depth=1
	s_or_b32 exec_lo, exec_lo, s20
	v_add_nc_u64_e32 v[2:3], 16, v[2:3]
	s_delay_alu instid0(VALU_DEP_1) | instskip(SKIP_1) | instid1(SALU_CYCLE_1)
	v_cmp_le_i64_e32 vcc_lo, s[4:5], v[2:3]
	s_or_b32 s19, vcc_lo, s19
	s_and_not1_b32 exec_lo, exec_lo, s19
	s_cbranch_execz .LBB132_30
.LBB132_15:                             ; =>This Loop Header: Depth=1
                                        ;     Child Loop BB132_19 Depth 2
                                        ;       Child Loop BB132_22 Depth 3
	v_lshl_add_u64 v[6:7], v[2:3], 3, s[6:7]
	s_mov_b32 s20, exec_lo
	global_load_b64 v[6:7], v[6:7], off
	s_wait_loadcnt 0x0
	s_wait_xcnt 0x0
	v_sub_nc_u64_e64 v[6:7], v[6:7], s[0:1]
	s_delay_alu instid0(VALU_DEP_1)
	v_lshl_add_u64 v[6:7], v[6:7], 3, s[10:11]
	global_load_b128 v[8:11], v[6:7], off
	s_wait_loadcnt 0x0
	s_wait_xcnt 0x0
	v_sub_nc_u64_e64 v[6:7], v[10:11], s[16:17]
	v_add_nc_u64_e32 v[8:9], v[8:9], v[4:5]
	s_delay_alu instid0(VALU_DEP_1)
	v_cmpx_lt_i64_e64 v[8:9], v[6:7]
	s_cbranch_execz .LBB132_14
; %bb.16:                               ;   in Loop: Header=BB132_15 Depth=1
	v_lshl_add_u64 v[10:11], v[2:3], 3, s[8:9]
	s_mov_b32 s21, 0
	global_load_b64 v[10:11], v[10:11], off
	s_wait_loadcnt 0x0
	v_mul_f32_e64 v1, v11, -s3
	s_delay_alu instid0(VALU_DEP_1) | instskip(NEXT) | instid1(VALU_DEP_1)
	v_dual_mul_f32 v21, s24, v11 :: v_dual_fmac_f32 v1, s24, v10
	v_fmac_f32_e32 v21, s3, v10
	s_branch .LBB132_19
.LBB132_17:                             ;   in Loop: Header=BB132_19 Depth=2
	s_or_b32 exec_lo, exec_lo, s26
.LBB132_18:                             ;   in Loop: Header=BB132_19 Depth=2
	s_delay_alu instid0(SALU_CYCLE_1) | instskip(SKIP_4) | instid1(VALU_DEP_3)
	s_or_b32 exec_lo, exec_lo, s25
	s_wait_loadcnt 0x0
	v_dual_mul_f32 v13, v11, -v21 :: v_dual_lshlrev_b32 v12, 3, v12
	v_mul_f32_e32 v11, v1, v11
	v_add_nc_u64_e32 v[8:9], 64, v[8:9]
	v_fmac_f32_e32 v13, v1, v10
	s_delay_alu instid0(VALU_DEP_4) | instskip(NEXT) | instid1(VALU_DEP_4)
	v_add3_u32 v12, 0, v12, 0x10000
	v_fmac_f32_e32 v11, v21, v10
	ds_add_f32 v12, v13
	ds_add_f32 v12, v11 offset:4
	v_cmp_ge_i64_e32 vcc_lo, v[8:9], v[6:7]
	s_or_b32 s21, vcc_lo, s21
	s_delay_alu instid0(SALU_CYCLE_1)
	s_and_not1_b32 exec_lo, exec_lo, s21
	s_cbranch_execz .LBB132_14
.LBB132_19:                             ;   Parent Loop BB132_15 Depth=1
                                        ; =>  This Loop Header: Depth=2
                                        ;       Child Loop BB132_22 Depth 3
	s_wait_xcnt 0x0
	v_lshlrev_b64_e32 v[10:11], 3, v[8:9]
	s_mov_b32 s25, exec_lo
	s_delay_alu instid0(VALU_DEP_1)
	v_add_nc_u64_e32 v[12:13], s[12:13], v[10:11]
	v_add_nc_u64_e32 v[10:11], s[14:15], v[10:11]
	global_load_b64 v[12:13], v[12:13], off
	global_load_b64 v[10:11], v[10:11], off
	s_wait_loadcnt 0x1
	v_sub_nc_u64_e64 v[14:15], v[12:13], s[16:17]
	s_wait_xcnt 0x1
	s_delay_alu instid0(VALU_DEP_1) | instskip(NEXT) | instid1(VALU_DEP_1)
	v_mul_lo_u32 v12, 0x89, v14
	v_and_b32_e32 v12, 0x1fff, v12
	s_delay_alu instid0(VALU_DEP_1)
	v_lshl_add_u32 v22, v12, 3, 0
	ds_load_b64 v[18:19], v22
	s_wait_dscnt 0x0
	s_wait_xcnt 0x0
	v_cmpx_ne_u64_e64 v[18:19], v[14:15]
	s_cbranch_execz .LBB132_18
; %bb.20:                               ;   in Loop: Header=BB132_19 Depth=2
	s_mov_b32 s26, 0
                                        ; implicit-def: $sgpr27
                                        ; implicit-def: $sgpr28
	s_branch .LBB132_22
.LBB132_21:                             ;   in Loop: Header=BB132_22 Depth=3
	s_or_b32 exec_lo, exec_lo, s31
	s_delay_alu instid0(SALU_CYCLE_1) | instskip(NEXT) | instid1(SALU_CYCLE_1)
	s_and_b32 s29, exec_lo, s30
	s_or_b32 s26, s29, s26
	s_and_not1_b32 s27, s27, exec_lo
	s_and_b32 s29, s28, exec_lo
	s_delay_alu instid0(SALU_CYCLE_1)
	s_or_b32 s27, s27, s29
	s_and_not1_b32 exec_lo, exec_lo, s26
	s_cbranch_execz .LBB132_28
.LBB132_22:                             ;   Parent Loop BB132_15 Depth=1
                                        ;     Parent Loop BB132_19 Depth=2
                                        ; =>    This Inner Loop Header: Depth=3
	v_mov_b64_e32 v[16:17], v[12:13]
	s_mov_b32 s29, 0
	s_mov_b32 s30, exec_lo
                                        ; implicit-def: $vgpr12_vgpr13
	v_cmpx_ne_u64_e64 s[48:49], v[18:19]
	s_xor_b32 s30, exec_lo, s30
; %bb.23:                               ;   in Loop: Header=BB132_22 Depth=3
	s_delay_alu instid0(VALU_DEP_2) | instskip(SKIP_1) | instid1(VALU_DEP_1)
	v_add_nc_u32_e32 v12, 1, v16
	s_mov_b32 s29, exec_lo
                                        ; implicit-def: $vgpr22
	v_and_b32_e32 v12, 0x1fff, v12
; %bb.24:                               ;   in Loop: Header=BB132_22 Depth=3
	s_and_not1_saveexec_b32 s30, s30
	s_cbranch_execz .LBB132_26
; %bb.25:                               ;   in Loop: Header=BB132_22 Depth=3
	v_mov_b64_e32 v[12:13], s[48:49]
	s_and_not1_b32 s29, s29, exec_lo
	ds_cmpstore_rtn_b64 v[12:13], v22, v[14:15], v[12:13]
	s_wait_dscnt 0x0
	v_cmp_ne_u64_e32 vcc_lo, s[48:49], v[12:13]
	v_mov_b64_e32 v[12:13], v[16:17]
	s_and_b32 s31, vcc_lo, exec_lo
	s_delay_alu instid0(SALU_CYCLE_1)
	s_or_b32 s29, s29, s31
.LBB132_26:                             ;   in Loop: Header=BB132_22 Depth=3
	s_or_b32 exec_lo, exec_lo, s30
	s_mov_b32 s30, -1
	s_or_b32 s28, s28, exec_lo
                                        ; implicit-def: $vgpr22
                                        ; implicit-def: $vgpr18_vgpr19
	s_and_saveexec_b32 s31, s29
	s_cbranch_execz .LBB132_21
; %bb.27:                               ;   in Loop: Header=BB132_22 Depth=3
	v_lshl_add_u32 v22, v12, 3, 0
	s_and_not1_b32 s28, s28, exec_lo
	ds_load_b64 v[18:19], v22
	s_wait_dscnt 0x0
	v_cmp_eq_u64_e32 vcc_lo, v[18:19], v[14:15]
	s_or_not1_b32 s30, vcc_lo, exec_lo
	s_branch .LBB132_21
.LBB132_28:                             ;   in Loop: Header=BB132_19 Depth=2
	s_or_b32 exec_lo, exec_lo, s26
	s_and_saveexec_b32 s26, s27
	s_delay_alu instid0(SALU_CYCLE_1)
	s_xor_b32 s26, exec_lo, s26
	s_cbranch_execz .LBB132_17
; %bb.29:                               ;   in Loop: Header=BB132_19 Depth=2
	v_mov_b32_e32 v12, v16
	s_branch .LBB132_17
.LBB132_30:
	s_or_b32 exec_lo, exec_lo, s18
.LBB132_31:
	s_delay_alu instid0(SALU_CYCLE_1)
	s_and_not1_b32 vcc_lo, exec_lo, s2
	s_cbranch_vccnz .LBB132_48
; %bb.32:
	s_wait_kmcnt 0x0
	s_lshl_b64 s[0:1], s[50:51], 3
	v_mov_b32_e32 v1, 0
	s_add_nc_u64 s[0:1], s[36:37], s[0:1]
	s_load_b128 s[4:7], s[0:1], 0x0
	s_wait_xcnt 0x0
	s_mov_b32 s1, 0
	s_mov_b32 s0, s47
	s_delay_alu instid0(SALU_CYCLE_1) | instskip(SKIP_1) | instid1(VALU_DEP_1)
	v_sub_nc_u64_e64 v[2:3], v[0:1], s[0:1]
	s_wait_kmcnt 0x0
	v_add_nc_u64_e32 v[2:3], s[4:5], v[2:3]
	s_sub_nc_u64 s[2:3], s[6:7], s[0:1]
	s_mov_b32 s4, exec_lo
	s_delay_alu instid0(VALU_DEP_1)
	v_cmpx_gt_i64_e64 s[2:3], v[2:3]
	s_cbranch_execz .LBB132_47
; %bb.33:
	s_mov_b32 s5, s1
	s_branch .LBB132_36
.LBB132_34:                             ;   in Loop: Header=BB132_36 Depth=1
	s_or_b32 exec_lo, exec_lo, s7
.LBB132_35:                             ;   in Loop: Header=BB132_36 Depth=1
	s_delay_alu instid0(SALU_CYCLE_1) | instskip(SKIP_4) | instid1(VALU_DEP_3)
	s_or_b32 exec_lo, exec_lo, s6
	s_wait_loadcnt 0x0
	v_mul_f32_e64 v1, v5, -s23
	v_dual_mul_f32 v5, s22, v5 :: v_dual_lshlrev_b32 v6, 3, v6
	v_add_nc_u64_e32 v[2:3], 0x400, v[2:3]
	v_fmac_f32_e32 v1, s22, v4
	s_delay_alu instid0(VALU_DEP_3) | instskip(NEXT) | instid1(VALU_DEP_4)
	v_add3_u32 v6, 0, v6, 0x10000
	v_fmac_f32_e32 v5, s23, v4
	ds_add_f32 v6, v1
	ds_add_f32 v6, v5 offset:4
	v_cmp_le_i64_e32 vcc_lo, s[2:3], v[2:3]
	s_or_b32 s5, vcc_lo, s5
	s_delay_alu instid0(SALU_CYCLE_1)
	s_and_not1_b32 exec_lo, exec_lo, s5
	s_cbranch_execz .LBB132_47
.LBB132_36:                             ; =>This Loop Header: Depth=1
                                        ;     Child Loop BB132_39 Depth 2
	v_lshlrev_b64_e32 v[4:5], 3, v[2:3]
	s_mov_b32 s6, exec_lo
	s_delay_alu instid0(VALU_DEP_1)
	v_add_nc_u64_e32 v[6:7], s[38:39], v[4:5]
	v_add_nc_u64_e32 v[4:5], s[40:41], v[4:5]
	global_load_b64 v[6:7], v[6:7], off
	global_load_b64 v[4:5], v[4:5], off
	s_wait_loadcnt 0x1
	v_sub_nc_u64_e64 v[8:9], v[6:7], s[0:1]
	s_delay_alu instid0(VALU_DEP_1) | instskip(NEXT) | instid1(VALU_DEP_1)
	v_mul_lo_u32 v1, 0x89, v8
	v_and_b32_e32 v6, 0x1fff, v1
	s_delay_alu instid0(VALU_DEP_1)
	v_lshl_add_u32 v1, v6, 3, 0
	ds_load_b64 v[12:13], v1
	s_wait_dscnt 0x0
	s_wait_xcnt 0x0
	v_cmpx_ne_u64_e64 v[12:13], v[8:9]
	s_cbranch_execz .LBB132_35
; %bb.37:                               ;   in Loop: Header=BB132_36 Depth=1
	s_mov_b32 s7, 0
                                        ; implicit-def: $sgpr8
                                        ; implicit-def: $sgpr9
	s_branch .LBB132_39
.LBB132_38:                             ;   in Loop: Header=BB132_39 Depth=2
	s_or_b32 exec_lo, exec_lo, s12
	s_delay_alu instid0(SALU_CYCLE_1) | instskip(NEXT) | instid1(SALU_CYCLE_1)
	s_and_b32 s10, exec_lo, s11
	s_or_b32 s7, s10, s7
	s_and_not1_b32 s8, s8, exec_lo
	s_and_b32 s10, s9, exec_lo
	s_delay_alu instid0(SALU_CYCLE_1)
	s_or_b32 s8, s8, s10
	s_and_not1_b32 exec_lo, exec_lo, s7
	s_cbranch_execz .LBB132_45
.LBB132_39:                             ;   Parent Loop BB132_36 Depth=1
                                        ; =>  This Inner Loop Header: Depth=2
	v_mov_b64_e32 v[10:11], v[6:7]
	s_mov_b32 s10, 0
	s_mov_b32 s11, exec_lo
                                        ; implicit-def: $vgpr6_vgpr7
	v_cmpx_ne_u64_e64 s[48:49], v[12:13]
	s_xor_b32 s11, exec_lo, s11
; %bb.40:                               ;   in Loop: Header=BB132_39 Depth=2
	s_delay_alu instid0(VALU_DEP_2) | instskip(SKIP_1) | instid1(VALU_DEP_1)
	v_add_nc_u32_e32 v1, 1, v10
	s_mov_b32 s10, exec_lo
	v_and_b32_e32 v6, 0x1fff, v1
                                        ; implicit-def: $vgpr1
; %bb.41:                               ;   in Loop: Header=BB132_39 Depth=2
	s_and_not1_saveexec_b32 s11, s11
	s_cbranch_execz .LBB132_43
; %bb.42:                               ;   in Loop: Header=BB132_39 Depth=2
	v_mov_b64_e32 v[6:7], s[48:49]
	s_and_not1_b32 s10, s10, exec_lo
	ds_cmpstore_rtn_b64 v[6:7], v1, v[8:9], v[6:7]
	s_wait_dscnt 0x0
	v_cmp_ne_u64_e32 vcc_lo, s[48:49], v[6:7]
	v_mov_b64_e32 v[6:7], v[10:11]
	s_and_b32 s12, vcc_lo, exec_lo
	s_delay_alu instid0(SALU_CYCLE_1)
	s_or_b32 s10, s10, s12
.LBB132_43:                             ;   in Loop: Header=BB132_39 Depth=2
	s_or_b32 exec_lo, exec_lo, s11
	s_mov_b32 s11, -1
	s_or_b32 s9, s9, exec_lo
                                        ; implicit-def: $vgpr1
                                        ; implicit-def: $vgpr12_vgpr13
	s_and_saveexec_b32 s12, s10
	s_cbranch_execz .LBB132_38
; %bb.44:                               ;   in Loop: Header=BB132_39 Depth=2
	v_lshl_add_u32 v1, v6, 3, 0
	s_and_not1_b32 s9, s9, exec_lo
	ds_load_b64 v[12:13], v1
	s_wait_dscnt 0x0
	v_cmp_eq_u64_e32 vcc_lo, v[12:13], v[8:9]
	s_or_not1_b32 s11, vcc_lo, exec_lo
	s_branch .LBB132_38
.LBB132_45:                             ;   in Loop: Header=BB132_36 Depth=1
	s_or_b32 exec_lo, exec_lo, s7
	s_and_saveexec_b32 s7, s8
	s_delay_alu instid0(SALU_CYCLE_1)
	s_xor_b32 s7, exec_lo, s7
	s_cbranch_execz .LBB132_34
; %bb.46:                               ;   in Loop: Header=BB132_36 Depth=1
	v_mov_b32_e32 v6, v10
	s_branch .LBB132_34
.LBB132_47:
	s_or_b32 exec_lo, exec_lo, s4
.LBB132_48:
	v_mbcnt_lo_u32_b32 v1, -1, 0
	v_lshrrev_b32_e32 v2, 2, v0
	v_mov_b64_e32 v[6:7], 0
	v_mov_b32_e32 v3, 0
	v_cmp_lt_u32_e64 s0, 31, v0
	v_xor_b32_e32 v1, 31, v1
	v_and_b32_e32 v2, 0xf8, v2
	v_cmp_lt_u32_e64 s1, 63, v0
	v_cmp_lt_u32_e64 s2, 0x5f, v0
	;; [unrolled: 1-line block ×3, first 2 shown]
	v_lshrrev_b32_e64 v4, v1, -1
	v_add3_u32 v1, 0x20000, 0, v2
	v_cmp_lt_u32_e64 s4, 0x9f, v0
	v_cmp_lt_u32_e64 s5, 0xbf, v0
	;; [unrolled: 1-line block ×27, first 2 shown]
	v_or_b32_e32 v5, 0xfffffc00, v0
	s_mov_b32 s33, 0
	s_add_co_i32 s36, 0, 0x20000
	s_add_co_i32 s37, 0, 0x20008
	;; [unrolled: 1-line block ×32, first 2 shown]
	s_wait_dscnt 0x0
	s_barrier_signal -1
	s_barrier_wait -1
	v_cmp_eq_u32_e32 vcc_lo, 0x3ff, v0
	s_branch .LBB132_50
.LBB132_49:                             ;   in Loop: Header=BB132_50 Depth=1
	s_or_b32 exec_lo, exec_lo, s31
	v_dual_mov_b32 v2, s74 :: v_dual_add_nc_u32 v5, 0x400, v5
	s_wait_dscnt 0x0
	s_barrier_signal -1
	s_barrier_wait -1
	ds_load_b64 v[8:9], v2
	v_cmp_lt_u32_e64 s31, 0x1bff, v5
	v_add_nc_u32_e32 v20, 0x2000, v20
	s_or_b32 s33, s31, s33
	s_wait_dscnt 0x0
	v_add_nc_u64_e32 v[6:7], v[8:9], v[6:7]
	s_and_not1_b32 exec_lo, exec_lo, s33
	s_cbranch_execz .LBB132_116
.LBB132_50:                             ; =>This Inner Loop Header: Depth=1
	ds_load_b64 v[8:9], v20
	v_add_nc_u32_e32 v2, 0x10000, v20
	ds_load_2addr_b32 v[10:11], v2 offset1:1
	s_wait_dscnt 0x0
	s_barrier_signal -1
	s_barrier_wait -1
	v_cmp_gt_i64_e64 s31, s[48:49], v[8:9]
	s_bcnt1_i32_b32 s75, s31
	s_delay_alu instid0(SALU_CYCLE_1) | instskip(NEXT) | instid1(VALU_DEP_1)
	v_dual_mov_b32 v2, s75 :: v_dual_bitop2_b32 v12, s31, v4 bitop3:0x40
	v_bcnt_u32_b32 v12, v12, 0
	ds_store_b64 v1, v[2:3]
	s_wait_dscnt 0x0
	s_barrier_signal -1
	s_barrier_wait -1
	s_and_saveexec_b32 s75, s0
	s_cbranch_execnz .LBB132_83
; %bb.51:                               ;   in Loop: Header=BB132_50 Depth=1
	s_or_b32 exec_lo, exec_lo, s75
	s_and_saveexec_b32 s75, s1
	s_cbranch_execnz .LBB132_84
.LBB132_52:                             ;   in Loop: Header=BB132_50 Depth=1
	s_or_b32 exec_lo, exec_lo, s75
	s_and_saveexec_b32 s75, s2
	s_cbranch_execnz .LBB132_85
.LBB132_53:                             ;   in Loop: Header=BB132_50 Depth=1
	s_or_b32 exec_lo, exec_lo, s75
	s_and_saveexec_b32 s75, s3
	s_cbranch_execnz .LBB132_86
.LBB132_54:                             ;   in Loop: Header=BB132_50 Depth=1
	s_or_b32 exec_lo, exec_lo, s75
	s_and_saveexec_b32 s75, s4
	s_cbranch_execnz .LBB132_87
.LBB132_55:                             ;   in Loop: Header=BB132_50 Depth=1
	s_or_b32 exec_lo, exec_lo, s75
	s_and_saveexec_b32 s75, s5
	s_cbranch_execnz .LBB132_88
.LBB132_56:                             ;   in Loop: Header=BB132_50 Depth=1
	s_or_b32 exec_lo, exec_lo, s75
	s_and_saveexec_b32 s75, s6
	s_cbranch_execnz .LBB132_89
.LBB132_57:                             ;   in Loop: Header=BB132_50 Depth=1
	s_or_b32 exec_lo, exec_lo, s75
	s_and_saveexec_b32 s75, s7
	s_cbranch_execnz .LBB132_90
.LBB132_58:                             ;   in Loop: Header=BB132_50 Depth=1
	s_or_b32 exec_lo, exec_lo, s75
	s_and_saveexec_b32 s75, s8
	s_cbranch_execnz .LBB132_91
.LBB132_59:                             ;   in Loop: Header=BB132_50 Depth=1
	s_or_b32 exec_lo, exec_lo, s75
	s_and_saveexec_b32 s75, s9
	s_cbranch_execnz .LBB132_92
.LBB132_60:                             ;   in Loop: Header=BB132_50 Depth=1
	s_or_b32 exec_lo, exec_lo, s75
	s_and_saveexec_b32 s75, s10
	s_cbranch_execnz .LBB132_93
.LBB132_61:                             ;   in Loop: Header=BB132_50 Depth=1
	s_or_b32 exec_lo, exec_lo, s75
	s_and_saveexec_b32 s75, s11
	s_cbranch_execnz .LBB132_94
.LBB132_62:                             ;   in Loop: Header=BB132_50 Depth=1
	s_or_b32 exec_lo, exec_lo, s75
	s_and_saveexec_b32 s75, s12
	s_cbranch_execnz .LBB132_95
.LBB132_63:                             ;   in Loop: Header=BB132_50 Depth=1
	s_or_b32 exec_lo, exec_lo, s75
	s_and_saveexec_b32 s75, s13
	s_cbranch_execnz .LBB132_96
.LBB132_64:                             ;   in Loop: Header=BB132_50 Depth=1
	s_or_b32 exec_lo, exec_lo, s75
	s_and_saveexec_b32 s75, s14
	s_cbranch_execnz .LBB132_97
.LBB132_65:                             ;   in Loop: Header=BB132_50 Depth=1
	s_or_b32 exec_lo, exec_lo, s75
	s_and_saveexec_b32 s75, s15
	s_cbranch_execnz .LBB132_98
.LBB132_66:                             ;   in Loop: Header=BB132_50 Depth=1
	s_or_b32 exec_lo, exec_lo, s75
	s_and_saveexec_b32 s75, s16
	s_cbranch_execnz .LBB132_99
.LBB132_67:                             ;   in Loop: Header=BB132_50 Depth=1
	s_or_b32 exec_lo, exec_lo, s75
	s_and_saveexec_b32 s75, s17
	s_cbranch_execnz .LBB132_100
.LBB132_68:                             ;   in Loop: Header=BB132_50 Depth=1
	s_or_b32 exec_lo, exec_lo, s75
	s_and_saveexec_b32 s75, s18
	s_cbranch_execnz .LBB132_101
.LBB132_69:                             ;   in Loop: Header=BB132_50 Depth=1
	s_or_b32 exec_lo, exec_lo, s75
	s_and_saveexec_b32 s75, s19
	s_cbranch_execnz .LBB132_102
.LBB132_70:                             ;   in Loop: Header=BB132_50 Depth=1
	s_or_b32 exec_lo, exec_lo, s75
	s_and_saveexec_b32 s75, s20
	s_cbranch_execnz .LBB132_103
.LBB132_71:                             ;   in Loop: Header=BB132_50 Depth=1
	s_or_b32 exec_lo, exec_lo, s75
	s_and_saveexec_b32 s75, s21
	s_cbranch_execnz .LBB132_104
.LBB132_72:                             ;   in Loop: Header=BB132_50 Depth=1
	s_or_b32 exec_lo, exec_lo, s75
	s_and_saveexec_b32 s75, s22
	s_cbranch_execnz .LBB132_105
.LBB132_73:                             ;   in Loop: Header=BB132_50 Depth=1
	s_or_b32 exec_lo, exec_lo, s75
	s_and_saveexec_b32 s75, s23
	s_cbranch_execnz .LBB132_106
.LBB132_74:                             ;   in Loop: Header=BB132_50 Depth=1
	s_or_b32 exec_lo, exec_lo, s75
	s_and_saveexec_b32 s75, s24
	s_cbranch_execnz .LBB132_107
.LBB132_75:                             ;   in Loop: Header=BB132_50 Depth=1
	s_or_b32 exec_lo, exec_lo, s75
	s_and_saveexec_b32 s75, s25
	s_cbranch_execnz .LBB132_108
.LBB132_76:                             ;   in Loop: Header=BB132_50 Depth=1
	s_or_b32 exec_lo, exec_lo, s75
	s_and_saveexec_b32 s75, s26
	s_cbranch_execnz .LBB132_109
.LBB132_77:                             ;   in Loop: Header=BB132_50 Depth=1
	s_or_b32 exec_lo, exec_lo, s75
	s_and_saveexec_b32 s75, s27
	s_cbranch_execnz .LBB132_110
.LBB132_78:                             ;   in Loop: Header=BB132_50 Depth=1
	s_or_b32 exec_lo, exec_lo, s75
	s_and_saveexec_b32 s75, s28
	s_cbranch_execnz .LBB132_111
.LBB132_79:                             ;   in Loop: Header=BB132_50 Depth=1
	s_or_b32 exec_lo, exec_lo, s75
	s_and_saveexec_b32 s75, s29
	s_cbranch_execnz .LBB132_112
.LBB132_80:                             ;   in Loop: Header=BB132_50 Depth=1
	s_or_b32 exec_lo, exec_lo, s75
	s_and_saveexec_b32 s75, s30
	s_cbranch_execnz .LBB132_113
.LBB132_81:                             ;   in Loop: Header=BB132_50 Depth=1
	s_or_b32 exec_lo, exec_lo, s75
	v_ashrrev_i32_e32 v13, 31, v12
	s_and_saveexec_b32 s75, s31
	s_cbranch_execnz .LBB132_114
.LBB132_82:                             ;   in Loop: Header=BB132_50 Depth=1
	s_or_b32 exec_lo, exec_lo, s75
	s_and_saveexec_b32 s31, vcc_lo
	s_cbranch_execz .LBB132_49
	s_branch .LBB132_115
.LBB132_83:                             ;   in Loop: Header=BB132_50 Depth=1
	v_mov_b32_e32 v2, s36
	ds_load_b32 v2, v2
	s_wait_dscnt 0x0
	v_add_nc_u32_e32 v12, v2, v12
	s_or_b32 exec_lo, exec_lo, s75
	s_and_saveexec_b32 s75, s1
	s_cbranch_execz .LBB132_52
.LBB132_84:                             ;   in Loop: Header=BB132_50 Depth=1
	v_mov_b32_e32 v2, s37
	ds_load_b32 v2, v2
	s_wait_dscnt 0x0
	v_add_nc_u32_e32 v12, v12, v2
	s_or_b32 exec_lo, exec_lo, s75
	s_and_saveexec_b32 s75, s2
	s_cbranch_execz .LBB132_53
.LBB132_85:                             ;   in Loop: Header=BB132_50 Depth=1
	v_mov_b32_e32 v2, s38
	ds_load_b32 v2, v2
	s_wait_dscnt 0x0
	v_add_nc_u32_e32 v12, v12, v2
	s_or_b32 exec_lo, exec_lo, s75
	s_and_saveexec_b32 s75, s3
	s_cbranch_execz .LBB132_54
.LBB132_86:                             ;   in Loop: Header=BB132_50 Depth=1
	v_mov_b32_e32 v2, s39
	ds_load_b32 v2, v2
	s_wait_dscnt 0x0
	v_add_nc_u32_e32 v12, v12, v2
	s_or_b32 exec_lo, exec_lo, s75
	s_and_saveexec_b32 s75, s4
	s_cbranch_execz .LBB132_55
.LBB132_87:                             ;   in Loop: Header=BB132_50 Depth=1
	v_mov_b32_e32 v2, s40
	ds_load_b32 v2, v2
	s_wait_dscnt 0x0
	v_add_nc_u32_e32 v12, v12, v2
	s_or_b32 exec_lo, exec_lo, s75
	s_and_saveexec_b32 s75, s5
	s_cbranch_execz .LBB132_56
.LBB132_88:                             ;   in Loop: Header=BB132_50 Depth=1
	v_mov_b32_e32 v2, s41
	ds_load_b32 v2, v2
	s_wait_dscnt 0x0
	v_add_nc_u32_e32 v12, v12, v2
	s_or_b32 exec_lo, exec_lo, s75
	s_and_saveexec_b32 s75, s6
	s_cbranch_execz .LBB132_57
.LBB132_89:                             ;   in Loop: Header=BB132_50 Depth=1
	v_mov_b32_e32 v2, s44
	ds_load_b32 v2, v2
	s_wait_dscnt 0x0
	v_add_nc_u32_e32 v12, v12, v2
	s_or_b32 exec_lo, exec_lo, s75
	s_and_saveexec_b32 s75, s7
	s_cbranch_execz .LBB132_58
.LBB132_90:                             ;   in Loop: Header=BB132_50 Depth=1
	v_mov_b32_e32 v2, s45
	ds_load_b32 v2, v2
	s_wait_dscnt 0x0
	v_add_nc_u32_e32 v12, v12, v2
	s_or_b32 exec_lo, exec_lo, s75
	s_and_saveexec_b32 s75, s8
	s_cbranch_execz .LBB132_59
.LBB132_91:                             ;   in Loop: Header=BB132_50 Depth=1
	v_mov_b32_e32 v2, s47
	ds_load_b32 v2, v2
	s_wait_dscnt 0x0
	v_add_nc_u32_e32 v12, v12, v2
	s_or_b32 exec_lo, exec_lo, s75
	s_and_saveexec_b32 s75, s9
	s_cbranch_execz .LBB132_60
.LBB132_92:                             ;   in Loop: Header=BB132_50 Depth=1
	v_mov_b32_e32 v2, s52
	ds_load_b32 v2, v2
	s_wait_dscnt 0x0
	v_add_nc_u32_e32 v12, v12, v2
	s_or_b32 exec_lo, exec_lo, s75
	s_and_saveexec_b32 s75, s10
	s_cbranch_execz .LBB132_61
.LBB132_93:                             ;   in Loop: Header=BB132_50 Depth=1
	v_mov_b32_e32 v2, s53
	ds_load_b32 v2, v2
	s_wait_dscnt 0x0
	v_add_nc_u32_e32 v12, v12, v2
	s_or_b32 exec_lo, exec_lo, s75
	s_and_saveexec_b32 s75, s11
	s_cbranch_execz .LBB132_62
.LBB132_94:                             ;   in Loop: Header=BB132_50 Depth=1
	v_mov_b32_e32 v2, s54
	ds_load_b32 v2, v2
	s_wait_dscnt 0x0
	v_add_nc_u32_e32 v12, v12, v2
	s_or_b32 exec_lo, exec_lo, s75
	s_and_saveexec_b32 s75, s12
	s_cbranch_execz .LBB132_63
.LBB132_95:                             ;   in Loop: Header=BB132_50 Depth=1
	v_mov_b32_e32 v2, s55
	ds_load_b32 v2, v2
	s_wait_dscnt 0x0
	v_add_nc_u32_e32 v12, v12, v2
	s_or_b32 exec_lo, exec_lo, s75
	s_and_saveexec_b32 s75, s13
	s_cbranch_execz .LBB132_64
.LBB132_96:                             ;   in Loop: Header=BB132_50 Depth=1
	v_mov_b32_e32 v2, s56
	ds_load_b32 v2, v2
	s_wait_dscnt 0x0
	v_add_nc_u32_e32 v12, v12, v2
	s_or_b32 exec_lo, exec_lo, s75
	s_and_saveexec_b32 s75, s14
	s_cbranch_execz .LBB132_65
.LBB132_97:                             ;   in Loop: Header=BB132_50 Depth=1
	v_mov_b32_e32 v2, s57
	ds_load_b32 v2, v2
	s_wait_dscnt 0x0
	v_add_nc_u32_e32 v12, v12, v2
	s_or_b32 exec_lo, exec_lo, s75
	s_and_saveexec_b32 s75, s15
	s_cbranch_execz .LBB132_66
.LBB132_98:                             ;   in Loop: Header=BB132_50 Depth=1
	v_mov_b32_e32 v2, s58
	ds_load_b32 v2, v2
	s_wait_dscnt 0x0
	v_add_nc_u32_e32 v12, v12, v2
	s_or_b32 exec_lo, exec_lo, s75
	s_and_saveexec_b32 s75, s16
	s_cbranch_execz .LBB132_67
.LBB132_99:                             ;   in Loop: Header=BB132_50 Depth=1
	v_mov_b32_e32 v2, s59
	ds_load_b32 v2, v2
	s_wait_dscnt 0x0
	v_add_nc_u32_e32 v12, v12, v2
	s_or_b32 exec_lo, exec_lo, s75
	s_and_saveexec_b32 s75, s17
	s_cbranch_execz .LBB132_68
.LBB132_100:                            ;   in Loop: Header=BB132_50 Depth=1
	v_mov_b32_e32 v2, s60
	ds_load_b32 v2, v2
	s_wait_dscnt 0x0
	v_add_nc_u32_e32 v12, v12, v2
	s_or_b32 exec_lo, exec_lo, s75
	s_and_saveexec_b32 s75, s18
	s_cbranch_execz .LBB132_69
.LBB132_101:                            ;   in Loop: Header=BB132_50 Depth=1
	v_mov_b32_e32 v2, s61
	ds_load_b32 v2, v2
	s_wait_dscnt 0x0
	v_add_nc_u32_e32 v12, v12, v2
	s_or_b32 exec_lo, exec_lo, s75
	s_and_saveexec_b32 s75, s19
	s_cbranch_execz .LBB132_70
.LBB132_102:                            ;   in Loop: Header=BB132_50 Depth=1
	v_mov_b32_e32 v2, s62
	ds_load_b32 v2, v2
	s_wait_dscnt 0x0
	v_add_nc_u32_e32 v12, v12, v2
	s_or_b32 exec_lo, exec_lo, s75
	s_and_saveexec_b32 s75, s20
	s_cbranch_execz .LBB132_71
.LBB132_103:                            ;   in Loop: Header=BB132_50 Depth=1
	v_mov_b32_e32 v2, s63
	ds_load_b32 v2, v2
	s_wait_dscnt 0x0
	v_add_nc_u32_e32 v12, v12, v2
	s_or_b32 exec_lo, exec_lo, s75
	s_and_saveexec_b32 s75, s21
	s_cbranch_execz .LBB132_72
.LBB132_104:                            ;   in Loop: Header=BB132_50 Depth=1
	v_mov_b32_e32 v2, s64
	ds_load_b32 v2, v2
	s_wait_dscnt 0x0
	v_add_nc_u32_e32 v12, v12, v2
	s_or_b32 exec_lo, exec_lo, s75
	s_and_saveexec_b32 s75, s22
	s_cbranch_execz .LBB132_73
.LBB132_105:                            ;   in Loop: Header=BB132_50 Depth=1
	v_mov_b32_e32 v2, s65
	ds_load_b32 v2, v2
	s_wait_dscnt 0x0
	v_add_nc_u32_e32 v12, v12, v2
	s_or_b32 exec_lo, exec_lo, s75
	s_and_saveexec_b32 s75, s23
	s_cbranch_execz .LBB132_74
.LBB132_106:                            ;   in Loop: Header=BB132_50 Depth=1
	v_mov_b32_e32 v2, s66
	ds_load_b32 v2, v2
	s_wait_dscnt 0x0
	v_add_nc_u32_e32 v12, v12, v2
	s_or_b32 exec_lo, exec_lo, s75
	s_and_saveexec_b32 s75, s24
	s_cbranch_execz .LBB132_75
.LBB132_107:                            ;   in Loop: Header=BB132_50 Depth=1
	v_mov_b32_e32 v2, s67
	ds_load_b32 v2, v2
	s_wait_dscnt 0x0
	v_add_nc_u32_e32 v12, v12, v2
	s_or_b32 exec_lo, exec_lo, s75
	s_and_saveexec_b32 s75, s25
	s_cbranch_execz .LBB132_76
.LBB132_108:                            ;   in Loop: Header=BB132_50 Depth=1
	v_mov_b32_e32 v2, s68
	ds_load_b32 v2, v2
	s_wait_dscnt 0x0
	v_add_nc_u32_e32 v12, v12, v2
	s_or_b32 exec_lo, exec_lo, s75
	s_and_saveexec_b32 s75, s26
	s_cbranch_execz .LBB132_77
.LBB132_109:                            ;   in Loop: Header=BB132_50 Depth=1
	v_mov_b32_e32 v2, s69
	ds_load_b32 v2, v2
	s_wait_dscnt 0x0
	v_add_nc_u32_e32 v12, v12, v2
	s_or_b32 exec_lo, exec_lo, s75
	s_and_saveexec_b32 s75, s27
	s_cbranch_execz .LBB132_78
.LBB132_110:                            ;   in Loop: Header=BB132_50 Depth=1
	v_mov_b32_e32 v2, s70
	ds_load_b32 v2, v2
	s_wait_dscnt 0x0
	v_add_nc_u32_e32 v12, v12, v2
	s_or_b32 exec_lo, exec_lo, s75
	s_and_saveexec_b32 s75, s28
	s_cbranch_execz .LBB132_79
.LBB132_111:                            ;   in Loop: Header=BB132_50 Depth=1
	v_mov_b32_e32 v2, s71
	ds_load_b32 v2, v2
	s_wait_dscnt 0x0
	v_add_nc_u32_e32 v12, v12, v2
	s_or_b32 exec_lo, exec_lo, s75
	s_and_saveexec_b32 s75, s29
	s_cbranch_execz .LBB132_80
.LBB132_112:                            ;   in Loop: Header=BB132_50 Depth=1
	v_mov_b32_e32 v2, s72
	ds_load_b32 v2, v2
	s_wait_dscnt 0x0
	v_add_nc_u32_e32 v12, v12, v2
	s_or_b32 exec_lo, exec_lo, s75
	s_and_saveexec_b32 s75, s30
	s_cbranch_execz .LBB132_81
.LBB132_113:                            ;   in Loop: Header=BB132_50 Depth=1
	v_mov_b32_e32 v2, s73
	ds_load_b32 v2, v2
	s_wait_dscnt 0x0
	v_add_nc_u32_e32 v12, v12, v2
	s_or_b32 exec_lo, exec_lo, s75
	s_delay_alu instid0(VALU_DEP_1)
	v_ashrrev_i32_e32 v13, 31, v12
	s_and_saveexec_b32 s75, s31
	s_cbranch_execz .LBB132_82
.LBB132_114:                            ;   in Loop: Header=BB132_50 Depth=1
	v_add3_u32 v2, v6, -1, v12
	v_add_lshl_u32 v14, v6, v12, 3
	s_delay_alu instid0(VALU_DEP_2) | instskip(NEXT) | instid1(VALU_DEP_2)
	v_lshl_add_u32 v2, v2, 3, 0
	v_add3_u32 v14, 0, v14, 0xfff8
	ds_store_b64 v2, v[8:9]
	ds_store_2addr_b32 v14, v10, v11 offset1:1
	s_or_b32 exec_lo, exec_lo, s75
	s_and_saveexec_b32 s31, vcc_lo
	s_cbranch_execz .LBB132_49
.LBB132_115:                            ;   in Loop: Header=BB132_50 Depth=1
	v_mov_b32_e32 v2, s74
	ds_store_b64 v2, v[12:13]
	s_branch .LBB132_49
.LBB132_116:
	s_or_b32 exec_lo, exec_lo, s33
	s_wait_kmcnt 0x0
	s_lshl_b64 s[0:1], s[50:51], 3
	v_mov_b32_e32 v1, 0
	s_add_nc_u64 s[4:5], s[42:43], s[0:1]
	s_mov_b32 s6, exec_lo
	s_load_b128 s[0:3], s[4:5], 0x0
	s_wait_kmcnt 0x0
	s_sub_nc_u64 s[4:5], s[2:3], s[0:1]
	s_delay_alu instid0(SALU_CYCLE_1)
	v_cmpx_gt_i64_e64 s[4:5], v[0:1]
	s_cbranch_execz .LBB132_126
; %bb.117:
	s_sub_nc_u64 s[8:9], s[0:1], s[2:3]
	s_and_b64 s[6:7], s[4:5], 7
	v_cmp_lt_u64_e64 s10, s[8:9], -7
	s_and_b64 s[2:3], s[4:5], -8
	s_mov_b32 s47, 0
	s_cmp_lg_u64 s[6:7], 0
	s_sub_nc_u64 s[0:1], s[0:1], s[46:47]
	s_cselect_b32 s11, -1, 0
	s_mov_b32 s12, 0
	s_branch .LBB132_119
.LBB132_118:                            ;   in Loop: Header=BB132_119 Depth=1
	v_add_nc_u64_e32 v[0:1], 0x400, v[0:1]
	s_wait_dscnt 0x1
	s_delay_alu instid0(VALU_DEP_2)
	v_lshl_add_u64 v[4:5], v[6:7], 3, s[34:35]
	s_wait_dscnt 0x0
	global_store_b64 v[4:5], v[2:3], off
	v_cmp_le_i64_e32 vcc_lo, s[4:5], v[0:1]
	s_or_b32 s12, vcc_lo, s12
	s_wait_xcnt 0x0
	s_and_not1_b32 exec_lo, exec_lo, s12
	s_cbranch_execz .LBB132_126
.LBB132_119:                            ; =>This Loop Header: Depth=1
                                        ;     Child Loop BB132_121 Depth 2
                                        ;     Child Loop BB132_125 Depth 2
	v_lshl_add_u32 v2, v0, 3, 0
	v_mov_b64_e32 v[6:7], s[0:1]
	s_and_not1_b32 vcc_lo, exec_lo, s10
	s_mov_b64 s[8:9], 0
	s_delay_alu instid0(VALU_DEP_2)
	v_add_nc_u32_e32 v3, 0x10000, v2
	ds_load_b64 v[4:5], v2
	ds_load_2addr_b32 v[2:3], v3 offset1:1
	s_cbranch_vccnz .LBB132_123
; %bb.120:                              ;   in Loop: Header=BB132_119 Depth=1
	v_mov_b64_e32 v[6:7], s[0:1]
	s_mov_b32 s13, 0
.LBB132_121:                            ;   Parent Loop BB132_119 Depth=1
                                        ; =>  This Inner Loop Header: Depth=2
	s_delay_alu instid0(SALU_CYCLE_1)
	v_dual_mov_b32 v20, s13 :: v_dual_mov_b32 v17, s47
	v_mov_b32_e32 v19, s47
	s_add_nc_u64 s[8:9], s[8:9], 8
	s_add_co_i32 s13, s13, 64
	ds_load_2addr_b64 v[8:11], v20 offset1:1
	ds_load_2addr_b64 v[12:15], v20 offset0:2 offset1:3
	s_cmp_eq_u64 s[2:3], s[8:9]
	s_wait_dscnt 0x1
	v_cmp_gt_i64_e32 vcc_lo, v[4:5], v[8:9]
	v_cndmask_b32_e64 v16, 0, 1, vcc_lo
	v_cmp_gt_i64_e32 vcc_lo, v[4:5], v[10:11]
	s_delay_alu instid0(VALU_DEP_2) | instskip(SKIP_4) | instid1(VALU_DEP_2)
	v_add_nc_u64_e32 v[10:11], v[6:7], v[16:17]
	ds_load_2addr_b64 v[6:9], v20 offset0:4 offset1:5
	v_cndmask_b32_e64 v18, 0, 1, vcc_lo
	s_wait_dscnt 0x1
	v_cmp_gt_i64_e32 vcc_lo, v[4:5], v[12:13]
	v_add_nc_u64_e32 v[10:11], v[10:11], v[18:19]
	v_cndmask_b32_e64 v16, 0, 1, vcc_lo
	v_cmp_gt_i64_e32 vcc_lo, v[4:5], v[14:15]
	s_delay_alu instid0(VALU_DEP_2)
	v_add_nc_u64_e32 v[14:15], v[10:11], v[16:17]
	ds_load_2addr_b64 v[10:13], v20 offset0:6 offset1:7
	v_cndmask_b32_e64 v18, 0, 1, vcc_lo
	s_wait_dscnt 0x1
	v_cmp_gt_i64_e32 vcc_lo, v[4:5], v[6:7]
	v_mov_b32_e32 v7, s47
	s_delay_alu instid0(VALU_DEP_3) | instskip(SKIP_3) | instid1(VALU_DEP_3)
	v_add_nc_u64_e32 v[14:15], v[14:15], v[18:19]
	v_cndmask_b32_e64 v16, 0, 1, vcc_lo
	v_cmp_gt_i64_e32 vcc_lo, v[4:5], v[8:9]
	v_mov_b32_e32 v9, s47
	v_add_nc_u64_e32 v[14:15], v[14:15], v[16:17]
	v_cndmask_b32_e64 v6, 0, 1, vcc_lo
	s_wait_dscnt 0x0
	v_cmp_gt_i64_e32 vcc_lo, v[4:5], v[10:11]
	v_mov_b32_e32 v11, s47
	s_delay_alu instid0(VALU_DEP_3) | instskip(SKIP_2) | instid1(VALU_DEP_2)
	v_add_nc_u64_e32 v[6:7], v[14:15], v[6:7]
	v_cndmask_b32_e64 v8, 0, 1, vcc_lo
	v_cmp_gt_i64_e32 vcc_lo, v[4:5], v[12:13]
	v_add_nc_u64_e32 v[6:7], v[6:7], v[8:9]
	v_cndmask_b32_e64 v10, 0, 1, vcc_lo
	s_delay_alu instid0(VALU_DEP_1)
	v_add_nc_u64_e32 v[6:7], v[6:7], v[10:11]
	s_cbranch_scc0 .LBB132_121
; %bb.122:                              ;   in Loop: Header=BB132_119 Depth=1
	s_mov_b64 s[8:9], s[2:3]
.LBB132_123:                            ;   in Loop: Header=BB132_119 Depth=1
	s_and_not1_b32 vcc_lo, exec_lo, s11
	s_cbranch_vccnz .LBB132_118
; %bb.124:                              ;   in Loop: Header=BB132_119 Depth=1
	s_lshl_b32 s8, s8, 3
	s_delay_alu instid0(SALU_CYCLE_1)
	s_add_co_i32 s13, s8, 0
	s_mov_b64 s[8:9], s[6:7]
.LBB132_125:                            ;   Parent Loop BB132_119 Depth=1
                                        ; =>  This Inner Loop Header: Depth=2
	v_dual_mov_b32 v8, s13 :: v_dual_mov_b32 v11, s47
	s_add_nc_u64 s[8:9], s[8:9], -1
	s_add_co_i32 s13, s13, 8
	s_cmp_lg_u64 s[8:9], 0
	ds_load_b64 v[8:9], v8
	s_wait_dscnt 0x0
	v_cmp_gt_i64_e32 vcc_lo, v[4:5], v[8:9]
	v_cndmask_b32_e64 v10, 0, 1, vcc_lo
	s_delay_alu instid0(VALU_DEP_1)
	v_add_nc_u64_e32 v[6:7], v[6:7], v[10:11]
	s_cbranch_scc1 .LBB132_125
	s_branch .LBB132_118
.LBB132_126:
	s_endpgm
	.section	.rodata,"a",@progbits
	.p2align	6, 0x0
	.amdhsa_kernel _ZN9rocsparseL41csrgemm_numeric_fill_block_per_row_kernelILj1024ELj64ELj8192ELj137ELj32Ell21rocsparse_complex_numIfEEEvT5_PKS3_S5_NS_24const_host_device_scalarIT6_EEPKT4_S5_PKS7_SB_S5_SD_S8_SB_S5_SD_SB_S5_PS7_21rocsparse_index_base_SF_SF_SF_bbb
		.amdhsa_group_segment_fixed_size 0
		.amdhsa_private_segment_fixed_size 0
		.amdhsa_kernarg_size 156
		.amdhsa_user_sgpr_count 2
		.amdhsa_user_sgpr_dispatch_ptr 0
		.amdhsa_user_sgpr_queue_ptr 0
		.amdhsa_user_sgpr_kernarg_segment_ptr 1
		.amdhsa_user_sgpr_dispatch_id 0
		.amdhsa_user_sgpr_kernarg_preload_length 0
		.amdhsa_user_sgpr_kernarg_preload_offset 0
		.amdhsa_user_sgpr_private_segment_size 0
		.amdhsa_wavefront_size32 1
		.amdhsa_uses_dynamic_stack 0
		.amdhsa_enable_private_segment 0
		.amdhsa_system_sgpr_workgroup_id_x 1
		.amdhsa_system_sgpr_workgroup_id_y 0
		.amdhsa_system_sgpr_workgroup_id_z 0
		.amdhsa_system_sgpr_workgroup_info 0
		.amdhsa_system_vgpr_workitem_id 0
		.amdhsa_next_free_vgpr 27
		.amdhsa_next_free_sgpr 76
		.amdhsa_named_barrier_count 0
		.amdhsa_reserve_vcc 1
		.amdhsa_float_round_mode_32 0
		.amdhsa_float_round_mode_16_64 0
		.amdhsa_float_denorm_mode_32 3
		.amdhsa_float_denorm_mode_16_64 3
		.amdhsa_fp16_overflow 0
		.amdhsa_memory_ordered 1
		.amdhsa_forward_progress 1
		.amdhsa_inst_pref_size 38
		.amdhsa_round_robin_scheduling 0
		.amdhsa_exception_fp_ieee_invalid_op 0
		.amdhsa_exception_fp_denorm_src 0
		.amdhsa_exception_fp_ieee_div_zero 0
		.amdhsa_exception_fp_ieee_overflow 0
		.amdhsa_exception_fp_ieee_underflow 0
		.amdhsa_exception_fp_ieee_inexact 0
		.amdhsa_exception_int_div_zero 0
	.end_amdhsa_kernel
	.section	.text._ZN9rocsparseL41csrgemm_numeric_fill_block_per_row_kernelILj1024ELj64ELj8192ELj137ELj32Ell21rocsparse_complex_numIfEEEvT5_PKS3_S5_NS_24const_host_device_scalarIT6_EEPKT4_S5_PKS7_SB_S5_SD_S8_SB_S5_SD_SB_S5_PS7_21rocsparse_index_base_SF_SF_SF_bbb,"axG",@progbits,_ZN9rocsparseL41csrgemm_numeric_fill_block_per_row_kernelILj1024ELj64ELj8192ELj137ELj32Ell21rocsparse_complex_numIfEEEvT5_PKS3_S5_NS_24const_host_device_scalarIT6_EEPKT4_S5_PKS7_SB_S5_SD_S8_SB_S5_SD_SB_S5_PS7_21rocsparse_index_base_SF_SF_SF_bbb,comdat
.Lfunc_end132:
	.size	_ZN9rocsparseL41csrgemm_numeric_fill_block_per_row_kernelILj1024ELj64ELj8192ELj137ELj32Ell21rocsparse_complex_numIfEEEvT5_PKS3_S5_NS_24const_host_device_scalarIT6_EEPKT4_S5_PKS7_SB_S5_SD_S8_SB_S5_SD_SB_S5_PS7_21rocsparse_index_base_SF_SF_SF_bbb, .Lfunc_end132-_ZN9rocsparseL41csrgemm_numeric_fill_block_per_row_kernelILj1024ELj64ELj8192ELj137ELj32Ell21rocsparse_complex_numIfEEEvT5_PKS3_S5_NS_24const_host_device_scalarIT6_EEPKT4_S5_PKS7_SB_S5_SD_S8_SB_S5_SD_SB_S5_PS7_21rocsparse_index_base_SF_SF_SF_bbb
                                        ; -- End function
	.set _ZN9rocsparseL41csrgemm_numeric_fill_block_per_row_kernelILj1024ELj64ELj8192ELj137ELj32Ell21rocsparse_complex_numIfEEEvT5_PKS3_S5_NS_24const_host_device_scalarIT6_EEPKT4_S5_PKS7_SB_S5_SD_S8_SB_S5_SD_SB_S5_PS7_21rocsparse_index_base_SF_SF_SF_bbb.num_vgpr, 27
	.set _ZN9rocsparseL41csrgemm_numeric_fill_block_per_row_kernelILj1024ELj64ELj8192ELj137ELj32Ell21rocsparse_complex_numIfEEEvT5_PKS3_S5_NS_24const_host_device_scalarIT6_EEPKT4_S5_PKS7_SB_S5_SD_S8_SB_S5_SD_SB_S5_PS7_21rocsparse_index_base_SF_SF_SF_bbb.num_agpr, 0
	.set _ZN9rocsparseL41csrgemm_numeric_fill_block_per_row_kernelILj1024ELj64ELj8192ELj137ELj32Ell21rocsparse_complex_numIfEEEvT5_PKS3_S5_NS_24const_host_device_scalarIT6_EEPKT4_S5_PKS7_SB_S5_SD_S8_SB_S5_SD_SB_S5_PS7_21rocsparse_index_base_SF_SF_SF_bbb.numbered_sgpr, 76
	.set _ZN9rocsparseL41csrgemm_numeric_fill_block_per_row_kernelILj1024ELj64ELj8192ELj137ELj32Ell21rocsparse_complex_numIfEEEvT5_PKS3_S5_NS_24const_host_device_scalarIT6_EEPKT4_S5_PKS7_SB_S5_SD_S8_SB_S5_SD_SB_S5_PS7_21rocsparse_index_base_SF_SF_SF_bbb.num_named_barrier, 0
	.set _ZN9rocsparseL41csrgemm_numeric_fill_block_per_row_kernelILj1024ELj64ELj8192ELj137ELj32Ell21rocsparse_complex_numIfEEEvT5_PKS3_S5_NS_24const_host_device_scalarIT6_EEPKT4_S5_PKS7_SB_S5_SD_S8_SB_S5_SD_SB_S5_PS7_21rocsparse_index_base_SF_SF_SF_bbb.private_seg_size, 0
	.set _ZN9rocsparseL41csrgemm_numeric_fill_block_per_row_kernelILj1024ELj64ELj8192ELj137ELj32Ell21rocsparse_complex_numIfEEEvT5_PKS3_S5_NS_24const_host_device_scalarIT6_EEPKT4_S5_PKS7_SB_S5_SD_S8_SB_S5_SD_SB_S5_PS7_21rocsparse_index_base_SF_SF_SF_bbb.uses_vcc, 1
	.set _ZN9rocsparseL41csrgemm_numeric_fill_block_per_row_kernelILj1024ELj64ELj8192ELj137ELj32Ell21rocsparse_complex_numIfEEEvT5_PKS3_S5_NS_24const_host_device_scalarIT6_EEPKT4_S5_PKS7_SB_S5_SD_S8_SB_S5_SD_SB_S5_PS7_21rocsparse_index_base_SF_SF_SF_bbb.uses_flat_scratch, 0
	.set _ZN9rocsparseL41csrgemm_numeric_fill_block_per_row_kernelILj1024ELj64ELj8192ELj137ELj32Ell21rocsparse_complex_numIfEEEvT5_PKS3_S5_NS_24const_host_device_scalarIT6_EEPKT4_S5_PKS7_SB_S5_SD_S8_SB_S5_SD_SB_S5_PS7_21rocsparse_index_base_SF_SF_SF_bbb.has_dyn_sized_stack, 0
	.set _ZN9rocsparseL41csrgemm_numeric_fill_block_per_row_kernelILj1024ELj64ELj8192ELj137ELj32Ell21rocsparse_complex_numIfEEEvT5_PKS3_S5_NS_24const_host_device_scalarIT6_EEPKT4_S5_PKS7_SB_S5_SD_S8_SB_S5_SD_SB_S5_PS7_21rocsparse_index_base_SF_SF_SF_bbb.has_recursion, 0
	.set _ZN9rocsparseL41csrgemm_numeric_fill_block_per_row_kernelILj1024ELj64ELj8192ELj137ELj32Ell21rocsparse_complex_numIfEEEvT5_PKS3_S5_NS_24const_host_device_scalarIT6_EEPKT4_S5_PKS7_SB_S5_SD_S8_SB_S5_SD_SB_S5_PS7_21rocsparse_index_base_SF_SF_SF_bbb.has_indirect_call, 0
	.section	.AMDGPU.csdata,"",@progbits
; Kernel info:
; codeLenInByte = 4796
; TotalNumSgprs: 78
; NumVgprs: 27
; ScratchSize: 0
; MemoryBound: 0
; FloatMode: 240
; IeeeMode: 1
; LDSByteSize: 0 bytes/workgroup (compile time only)
; SGPRBlocks: 0
; VGPRBlocks: 1
; NumSGPRsForWavesPerEU: 78
; NumVGPRsForWavesPerEU: 27
; NamedBarCnt: 0
; Occupancy: 16
; WaveLimiterHint : 1
; COMPUTE_PGM_RSRC2:SCRATCH_EN: 0
; COMPUTE_PGM_RSRC2:USER_SGPR: 2
; COMPUTE_PGM_RSRC2:TRAP_HANDLER: 0
; COMPUTE_PGM_RSRC2:TGID_X_EN: 1
; COMPUTE_PGM_RSRC2:TGID_Y_EN: 0
; COMPUTE_PGM_RSRC2:TGID_Z_EN: 0
; COMPUTE_PGM_RSRC2:TIDIG_COMP_CNT: 0
	.section	.text._ZN9rocsparseL41csrgemm_numeric_fill_block_per_row_kernelILj1024ELj64ELj8192ELj137ELj64Ell21rocsparse_complex_numIfEEEvT5_PKS3_S5_NS_24const_host_device_scalarIT6_EEPKT4_S5_PKS7_SB_S5_SD_S8_SB_S5_SD_SB_S5_PS7_21rocsparse_index_base_SF_SF_SF_bbb,"axG",@progbits,_ZN9rocsparseL41csrgemm_numeric_fill_block_per_row_kernelILj1024ELj64ELj8192ELj137ELj64Ell21rocsparse_complex_numIfEEEvT5_PKS3_S5_NS_24const_host_device_scalarIT6_EEPKT4_S5_PKS7_SB_S5_SD_S8_SB_S5_SD_SB_S5_PS7_21rocsparse_index_base_SF_SF_SF_bbb,comdat
	.globl	_ZN9rocsparseL41csrgemm_numeric_fill_block_per_row_kernelILj1024ELj64ELj8192ELj137ELj64Ell21rocsparse_complex_numIfEEEvT5_PKS3_S5_NS_24const_host_device_scalarIT6_EEPKT4_S5_PKS7_SB_S5_SD_S8_SB_S5_SD_SB_S5_PS7_21rocsparse_index_base_SF_SF_SF_bbb ; -- Begin function _ZN9rocsparseL41csrgemm_numeric_fill_block_per_row_kernelILj1024ELj64ELj8192ELj137ELj64Ell21rocsparse_complex_numIfEEEvT5_PKS3_S5_NS_24const_host_device_scalarIT6_EEPKT4_S5_PKS7_SB_S5_SD_S8_SB_S5_SD_SB_S5_PS7_21rocsparse_index_base_SF_SF_SF_bbb
	.p2align	8
	.type	_ZN9rocsparseL41csrgemm_numeric_fill_block_per_row_kernelILj1024ELj64ELj8192ELj137ELj64Ell21rocsparse_complex_numIfEEEvT5_PKS3_S5_NS_24const_host_device_scalarIT6_EEPKT4_S5_PKS7_SB_S5_SD_S8_SB_S5_SD_SB_S5_PS7_21rocsparse_index_base_SF_SF_SF_bbb,@function
_ZN9rocsparseL41csrgemm_numeric_fill_block_per_row_kernelILj1024ELj64ELj8192ELj137ELj64Ell21rocsparse_complex_numIfEEEvT5_PKS3_S5_NS_24const_host_device_scalarIT6_EEPKT4_S5_PKS7_SB_S5_SD_S8_SB_S5_SD_SB_S5_PS7_21rocsparse_index_base_SF_SF_SF_bbb: ; @_ZN9rocsparseL41csrgemm_numeric_fill_block_per_row_kernelILj1024ELj64ELj8192ELj137ELj64Ell21rocsparse_complex_numIfEEEvT5_PKS3_S5_NS_24const_host_device_scalarIT6_EEPKT4_S5_PKS7_SB_S5_SD_S8_SB_S5_SD_SB_S5_PS7_21rocsparse_index_base_SF_SF_SF_bbb
; %bb.0:
	s_clause 0x3
	s_load_b32 s33, s[0:1], 0x98
	s_load_b128 s[20:23], s[0:1], 0x88
	s_load_b64 s[34:35], s[0:1], 0x8
	s_load_b64 s[30:31], s[0:1], 0x50
	s_mov_b32 s3, 0
	s_mov_b32 s39, 0
	s_wait_kmcnt 0x0
	s_bitcmp1_b32 s33, 0
	s_cselect_b32 s40, -1, 0
	s_bitcmp1_b32 s33, 16
	s_cselect_b32 s2, -1, 0
	s_delay_alu instid0(SALU_CYCLE_1) | instskip(SKIP_2) | instid1(VALU_DEP_1)
	s_xor_b32 s4, s2, -1
	s_bitcmp0_b32 s33, 0
	v_cndmask_b32_e64 v1, 0, 1, s4
	v_cmp_ne_u32_e32 vcc_lo, 1, v1
	s_cbranch_scc1 .LBB133_5
; %bb.1:
	s_load_b64 s[2:3], s[0:1], 0x18
	s_and_b32 vcc_lo, exec_lo, vcc_lo
	s_wait_kmcnt 0x0
	s_mov_b32 s39, s2
	s_cbranch_vccnz .LBB133_3
; %bb.2:
	s_load_b32 s39, s[2:3], 0x0
.LBB133_3:
	s_and_not1_b32 vcc_lo, exec_lo, s4
	s_cbranch_vccnz .LBB133_5
; %bb.4:
	s_wait_xcnt 0x0
	s_load_b32 s3, s[2:3], 0x4
.LBB133_5:
	s_clause 0x4
	s_load_b64 s[28:29], s[0:1], 0x80
	s_load_b256 s[12:19], s[0:1], 0x58
	s_load_b128 s[24:27], s[0:1], 0x40
	s_load_b64 s[36:37], s[0:1], 0x10
	s_load_b256 s[4:11], s[0:1], 0x20
	s_bitcmp1_b32 s33, 8
	s_wait_xcnt 0x0
	s_cselect_b32 s2, -1, 0
	s_bfe_u32 s38, s33, 0x10008
	s_mov_b32 s33, 0
	s_cmp_eq_u32 s38, 0
	s_mov_b32 s38, 0
	s_cbranch_scc1 .LBB133_11
; %bb.6:
	v_cmp_ne_u32_e32 vcc_lo, 1, v1
	s_mov_b32 s33, s30
	s_cbranch_vccnz .LBB133_8
; %bb.7:
	s_load_b32 s33, s[30:31], 0x0
.LBB133_8:
	v_cmp_ne_u32_e32 vcc_lo, 1, v1
	s_cbranch_vccnz .LBB133_10
; %bb.9:
	s_wait_xcnt 0x0
	s_load_b32 s31, s[30:31], 0x4
.LBB133_10:
	s_wait_kmcnt 0x0
	s_mov_b32 s38, s31
.LBB133_11:
	s_load_b64 s[30:31], s[0:1], 0x0
	v_lshl_add_u32 v22, v0, 3, 0
	s_getreg_b32 s41, hwreg(HW_REG_IB_STS2, 6, 4)
	s_delay_alu instid0(VALU_DEP_1) | instskip(NEXT) | instid1(VALU_DEP_1)
	v_add_nc_u32_e32 v1, 0x10000, v22
	v_dual_mov_b32 v3, 0 :: v_dual_add_nc_u32 v2, 0x2000, v1
	v_add_nc_u32_e32 v20, 0x4000, v1
	v_add_nc_u32_e32 v21, 0x6000, v1
	;; [unrolled: 1-line block ×6, first 2 shown]
	s_wait_kmcnt 0x0
	v_mov_b64_e32 v[4:5], s[30:31]
	v_mov_b64_e32 v[6:7], s[30:31]
	;; [unrolled: 1-line block ×8, first 2 shown]
	ds_store_2addr_b32 v1, v3, v3 offset1:1
	ds_store_2addr_b32 v2, v3, v3 offset1:1
	;; [unrolled: 1-line block ×4, first 2 shown]
	ds_store_2addr_stride64_b64 v22, v[4:5], v[6:7] offset1:16
	ds_store_2addr_stride64_b64 v22, v[8:9], v[10:11] offset0:32 offset1:48
	ds_store_2addr_stride64_b64 v22, v[12:13], v[14:15] offset0:64 offset1:80
	;; [unrolled: 1-line block ×3, first 2 shown]
	ds_store_2addr_b32 v23, v3, v3 offset1:1
	ds_store_2addr_b32 v24, v3, v3 offset1:1
	;; [unrolled: 1-line block ×4, first 2 shown]
	s_wait_dscnt 0x0
	s_barrier_signal -1
	s_barrier_wait -1
	s_load_b64 s[0:1], s[34:35], 0x0
	s_wait_xcnt 0x0
	s_bfe_u32 s34, ttmp6, 0x4000c
	s_and_b32 s35, ttmp6, 15
	s_add_co_i32 s34, s34, 1
	v_lshrrev_b32_e32 v2, 6, v0
	s_mul_i32 s34, ttmp9, s34
	s_delay_alu instid0(SALU_CYCLE_1)
	s_add_co_i32 s35, s35, s34
	s_wait_kmcnt 0x0
	s_lshl_b64 s[0:1], s[0:1], 3
	s_cmp_eq_u32 s41, 0
	s_add_nc_u64 s[0:1], s[36:37], s[0:1]
	s_cselect_b32 s34, ttmp9, s35
	s_and_not1_b32 vcc_lo, exec_lo, s40
	s_load_b64 s[34:35], s[0:1], s34 offset:0x0 scale_offset
	s_wait_xcnt 0x0
	s_mov_b32 s1, 0
	s_cbranch_vccnz .LBB133_31
; %bb.12:
	s_wait_kmcnt 0x0
	s_lshl_b64 s[36:37], s[34:35], 3
	s_mov_b32 s0, s20
	s_add_nc_u64 s[4:5], s[4:5], s[36:37]
	v_sub_nc_u64_e64 v[4:5], v[2:3], s[0:1]
	s_load_b128 s[40:43], s[4:5], 0x0
	s_mov_b32 s20, exec_lo
	s_wait_kmcnt 0x0
	s_delay_alu instid0(VALU_DEP_1)
	v_add_nc_u64_e32 v[4:5], s[40:41], v[4:5]
	s_sub_nc_u64 s[4:5], s[42:43], s[0:1]
	s_delay_alu instid0(VALU_DEP_1) | instid1(SALU_CYCLE_1)
	v_cmpx_gt_i64_e64 s[4:5], v[4:5]
	s_cbranch_execz .LBB133_30
; %bb.13:
	v_dual_mov_b32 v7, v3 :: v_dual_bitop2_b32 v6, 63, v0 bitop3:0x40
	s_mov_b32 s37, 0
	s_mov_b32 s36, s21
	;; [unrolled: 1-line block ×3, first 2 shown]
	s_delay_alu instid0(VALU_DEP_1)
	v_sub_nc_u64_e64 v[6:7], v[6:7], s[36:37]
	s_branch .LBB133_15
.LBB133_14:                             ;   in Loop: Header=BB133_15 Depth=1
	s_or_b32 exec_lo, exec_lo, s40
	v_add_nc_u64_e32 v[4:5], 16, v[4:5]
	s_delay_alu instid0(VALU_DEP_1) | instskip(SKIP_1) | instid1(SALU_CYCLE_1)
	v_cmp_le_i64_e32 vcc_lo, s[4:5], v[4:5]
	s_or_b32 s21, vcc_lo, s21
	s_and_not1_b32 exec_lo, exec_lo, s21
	s_cbranch_execz .LBB133_30
.LBB133_15:                             ; =>This Loop Header: Depth=1
                                        ;     Child Loop BB133_19 Depth 2
                                        ;       Child Loop BB133_22 Depth 3
	v_lshl_add_u64 v[8:9], v[4:5], 3, s[6:7]
	s_mov_b32 s40, exec_lo
	global_load_b64 v[8:9], v[8:9], off
	s_wait_loadcnt 0x0
	s_wait_xcnt 0x0
	v_sub_nc_u64_e64 v[8:9], v[8:9], s[0:1]
	s_delay_alu instid0(VALU_DEP_1)
	v_lshl_add_u64 v[8:9], v[8:9], 3, s[10:11]
	global_load_b128 v[10:13], v[8:9], off
	s_wait_loadcnt 0x0
	s_wait_xcnt 0x0
	v_sub_nc_u64_e64 v[8:9], v[12:13], s[36:37]
	v_add_nc_u64_e32 v[10:11], v[10:11], v[6:7]
	s_delay_alu instid0(VALU_DEP_1)
	v_cmpx_lt_i64_e64 v[10:11], v[8:9]
	s_cbranch_execz .LBB133_14
; %bb.16:                               ;   in Loop: Header=BB133_15 Depth=1
	v_lshl_add_u64 v[12:13], v[4:5], 3, s[8:9]
	s_mov_b32 s41, 0
	global_load_b64 v[12:13], v[12:13], off
	s_wait_loadcnt 0x0
	v_mul_f32_e64 v1, v13, -s3
	s_delay_alu instid0(VALU_DEP_1) | instskip(NEXT) | instid1(VALU_DEP_1)
	v_dual_mul_f32 v3, s39, v13 :: v_dual_fmac_f32 v1, s39, v12
	v_fmac_f32_e32 v3, s3, v12
	s_branch .LBB133_19
.LBB133_17:                             ;   in Loop: Header=BB133_19 Depth=2
	s_or_b32 exec_lo, exec_lo, s43
.LBB133_18:                             ;   in Loop: Header=BB133_19 Depth=2
	s_delay_alu instid0(SALU_CYCLE_1) | instskip(SKIP_4) | instid1(VALU_DEP_3)
	s_or_b32 exec_lo, exec_lo, s42
	s_wait_loadcnt 0x0
	v_dual_mul_f32 v15, v13, -v3 :: v_dual_lshlrev_b32 v14, 3, v14
	v_mul_f32_e32 v13, v1, v13
	v_add_nc_u64_e32 v[10:11], 64, v[10:11]
	v_fmac_f32_e32 v15, v1, v12
	s_delay_alu instid0(VALU_DEP_4) | instskip(NEXT) | instid1(VALU_DEP_4)
	v_add3_u32 v14, 0, v14, 0x10000
	v_fmac_f32_e32 v13, v3, v12
	ds_add_f32 v14, v15
	ds_add_f32 v14, v13 offset:4
	v_cmp_ge_i64_e32 vcc_lo, v[10:11], v[8:9]
	s_or_b32 s41, vcc_lo, s41
	s_delay_alu instid0(SALU_CYCLE_1)
	s_and_not1_b32 exec_lo, exec_lo, s41
	s_cbranch_execz .LBB133_14
.LBB133_19:                             ;   Parent Loop BB133_15 Depth=1
                                        ; =>  This Loop Header: Depth=2
                                        ;       Child Loop BB133_22 Depth 3
	s_wait_xcnt 0x0
	v_lshlrev_b64_e32 v[12:13], 3, v[10:11]
	s_mov_b32 s42, exec_lo
	s_delay_alu instid0(VALU_DEP_1)
	v_add_nc_u64_e32 v[14:15], s[24:25], v[12:13]
	v_add_nc_u64_e32 v[12:13], s[26:27], v[12:13]
	global_load_b64 v[14:15], v[14:15], off
	global_load_b64 v[12:13], v[12:13], off
	s_wait_loadcnt 0x1
	v_sub_nc_u64_e64 v[16:17], v[14:15], s[36:37]
	s_wait_xcnt 0x1
	s_delay_alu instid0(VALU_DEP_1) | instskip(NEXT) | instid1(VALU_DEP_1)
	v_mul_lo_u32 v14, 0x89, v16
	v_and_b32_e32 v14, 0x1fff, v14
	s_delay_alu instid0(VALU_DEP_1)
	v_lshl_add_u32 v23, v14, 3, 0
	ds_load_b64 v[20:21], v23
	s_wait_dscnt 0x0
	s_wait_xcnt 0x0
	v_cmpx_ne_u64_e64 v[20:21], v[16:17]
	s_cbranch_execz .LBB133_18
; %bb.20:                               ;   in Loop: Header=BB133_19 Depth=2
	s_mov_b32 s43, 0
                                        ; implicit-def: $sgpr44
                                        ; implicit-def: $sgpr45
	s_branch .LBB133_22
.LBB133_21:                             ;   in Loop: Header=BB133_22 Depth=3
	s_or_b32 exec_lo, exec_lo, s48
	s_delay_alu instid0(SALU_CYCLE_1) | instskip(NEXT) | instid1(SALU_CYCLE_1)
	s_and_b32 s46, exec_lo, s47
	s_or_b32 s43, s46, s43
	s_and_not1_b32 s44, s44, exec_lo
	s_and_b32 s46, s45, exec_lo
	s_delay_alu instid0(SALU_CYCLE_1)
	s_or_b32 s44, s44, s46
	s_and_not1_b32 exec_lo, exec_lo, s43
	s_cbranch_execz .LBB133_28
.LBB133_22:                             ;   Parent Loop BB133_15 Depth=1
                                        ;     Parent Loop BB133_19 Depth=2
                                        ; =>    This Inner Loop Header: Depth=3
	v_mov_b64_e32 v[18:19], v[14:15]
	s_mov_b32 s46, 0
	s_mov_b32 s47, exec_lo
                                        ; implicit-def: $vgpr14_vgpr15
	v_cmpx_ne_u64_e64 s[30:31], v[20:21]
	s_xor_b32 s47, exec_lo, s47
; %bb.23:                               ;   in Loop: Header=BB133_22 Depth=3
	s_delay_alu instid0(VALU_DEP_2) | instskip(SKIP_1) | instid1(VALU_DEP_1)
	v_add_nc_u32_e32 v14, 1, v18
	s_mov_b32 s46, exec_lo
                                        ; implicit-def: $vgpr23
	v_and_b32_e32 v14, 0x1fff, v14
; %bb.24:                               ;   in Loop: Header=BB133_22 Depth=3
	s_and_not1_saveexec_b32 s47, s47
	s_cbranch_execz .LBB133_26
; %bb.25:                               ;   in Loop: Header=BB133_22 Depth=3
	v_mov_b64_e32 v[14:15], s[30:31]
	s_and_not1_b32 s46, s46, exec_lo
	ds_cmpstore_rtn_b64 v[14:15], v23, v[16:17], v[14:15]
	s_wait_dscnt 0x0
	v_cmp_ne_u64_e32 vcc_lo, s[30:31], v[14:15]
	v_mov_b64_e32 v[14:15], v[18:19]
	s_and_b32 s48, vcc_lo, exec_lo
	s_delay_alu instid0(SALU_CYCLE_1)
	s_or_b32 s46, s46, s48
.LBB133_26:                             ;   in Loop: Header=BB133_22 Depth=3
	s_or_b32 exec_lo, exec_lo, s47
	s_mov_b32 s47, -1
	s_or_b32 s45, s45, exec_lo
                                        ; implicit-def: $vgpr23
                                        ; implicit-def: $vgpr20_vgpr21
	s_and_saveexec_b32 s48, s46
	s_cbranch_execz .LBB133_21
; %bb.27:                               ;   in Loop: Header=BB133_22 Depth=3
	v_lshl_add_u32 v23, v14, 3, 0
	s_and_not1_b32 s45, s45, exec_lo
	ds_load_b64 v[20:21], v23
	s_wait_dscnt 0x0
	v_cmp_eq_u64_e32 vcc_lo, v[20:21], v[16:17]
	s_or_not1_b32 s47, vcc_lo, exec_lo
	s_branch .LBB133_21
.LBB133_28:                             ;   in Loop: Header=BB133_19 Depth=2
	s_or_b32 exec_lo, exec_lo, s43
	s_and_saveexec_b32 s43, s44
	s_delay_alu instid0(SALU_CYCLE_1)
	s_xor_b32 s43, exec_lo, s43
	s_cbranch_execz .LBB133_17
; %bb.29:                               ;   in Loop: Header=BB133_19 Depth=2
	v_mov_b32_e32 v14, v18
	s_branch .LBB133_17
.LBB133_30:
	s_or_b32 exec_lo, exec_lo, s20
.LBB133_31:
	s_delay_alu instid0(SALU_CYCLE_1)
	s_and_not1_b32 vcc_lo, exec_lo, s2
	s_cbranch_vccnz .LBB133_48
; %bb.32:
	s_wait_kmcnt 0x0
	s_lshl_b64 s[0:1], s[34:35], 3
	v_mov_b32_e32 v1, 0
	s_add_nc_u64 s[0:1], s[12:13], s[0:1]
	s_load_b128 s[4:7], s[0:1], 0x0
	s_wait_xcnt 0x0
	s_mov_b32 s1, 0
	s_mov_b32 s0, s23
	s_delay_alu instid0(SALU_CYCLE_1) | instskip(SKIP_1) | instid1(VALU_DEP_1)
	v_sub_nc_u64_e64 v[4:5], v[0:1], s[0:1]
	s_wait_kmcnt 0x0
	v_add_nc_u64_e32 v[4:5], s[4:5], v[4:5]
	s_sub_nc_u64 s[2:3], s[6:7], s[0:1]
	s_mov_b32 s4, exec_lo
	s_delay_alu instid0(VALU_DEP_1)
	v_cmpx_gt_i64_e64 s[2:3], v[4:5]
	s_cbranch_execz .LBB133_47
; %bb.33:
	s_mov_b32 s5, s1
	s_branch .LBB133_36
.LBB133_34:                             ;   in Loop: Header=BB133_36 Depth=1
	s_or_b32 exec_lo, exec_lo, s7
.LBB133_35:                             ;   in Loop: Header=BB133_36 Depth=1
	s_delay_alu instid0(SALU_CYCLE_1) | instskip(SKIP_4) | instid1(VALU_DEP_3)
	s_or_b32 exec_lo, exec_lo, s6
	s_wait_loadcnt 0x0
	v_mul_f32_e64 v1, v7, -s38
	v_dual_lshlrev_b32 v3, 3, v8 :: v_dual_mul_f32 v7, s33, v7
	v_add_nc_u64_e32 v[4:5], 0x400, v[4:5]
	v_fmac_f32_e32 v1, s33, v6
	s_delay_alu instid0(VALU_DEP_3) | instskip(NEXT) | instid1(VALU_DEP_4)
	v_add3_u32 v3, 0, v3, 0x10000
	v_fmac_f32_e32 v7, s38, v6
	ds_add_f32 v3, v1
	ds_add_f32 v3, v7 offset:4
	v_cmp_le_i64_e32 vcc_lo, s[2:3], v[4:5]
	s_or_b32 s5, vcc_lo, s5
	s_delay_alu instid0(SALU_CYCLE_1)
	s_and_not1_b32 exec_lo, exec_lo, s5
	s_cbranch_execz .LBB133_47
.LBB133_36:                             ; =>This Loop Header: Depth=1
                                        ;     Child Loop BB133_39 Depth 2
	v_lshlrev_b64_e32 v[6:7], 3, v[4:5]
	s_mov_b32 s6, exec_lo
	s_delay_alu instid0(VALU_DEP_1)
	v_add_nc_u64_e32 v[8:9], s[14:15], v[6:7]
	v_add_nc_u64_e32 v[6:7], s[16:17], v[6:7]
	global_load_b64 v[8:9], v[8:9], off
	global_load_b64 v[6:7], v[6:7], off
	s_wait_loadcnt 0x1
	v_sub_nc_u64_e64 v[10:11], v[8:9], s[0:1]
	s_delay_alu instid0(VALU_DEP_1) | instskip(NEXT) | instid1(VALU_DEP_1)
	v_mul_lo_u32 v1, 0x89, v10
	v_and_b32_e32 v8, 0x1fff, v1
	s_delay_alu instid0(VALU_DEP_1)
	v_lshl_add_u32 v1, v8, 3, 0
	ds_load_b64 v[14:15], v1
	s_wait_dscnt 0x0
	s_wait_xcnt 0x0
	v_cmpx_ne_u64_e64 v[14:15], v[10:11]
	s_cbranch_execz .LBB133_35
; %bb.37:                               ;   in Loop: Header=BB133_36 Depth=1
	s_mov_b32 s7, 0
                                        ; implicit-def: $sgpr8
                                        ; implicit-def: $sgpr9
	s_branch .LBB133_39
.LBB133_38:                             ;   in Loop: Header=BB133_39 Depth=2
	s_or_b32 exec_lo, exec_lo, s12
	s_delay_alu instid0(SALU_CYCLE_1) | instskip(NEXT) | instid1(SALU_CYCLE_1)
	s_and_b32 s10, exec_lo, s11
	s_or_b32 s7, s10, s7
	s_and_not1_b32 s8, s8, exec_lo
	s_and_b32 s10, s9, exec_lo
	s_delay_alu instid0(SALU_CYCLE_1)
	s_or_b32 s8, s8, s10
	s_and_not1_b32 exec_lo, exec_lo, s7
	s_cbranch_execz .LBB133_45
.LBB133_39:                             ;   Parent Loop BB133_36 Depth=1
                                        ; =>  This Inner Loop Header: Depth=2
	v_mov_b64_e32 v[12:13], v[8:9]
	s_mov_b32 s10, 0
	s_mov_b32 s11, exec_lo
                                        ; implicit-def: $vgpr8_vgpr9
	v_cmpx_ne_u64_e64 s[30:31], v[14:15]
	s_xor_b32 s11, exec_lo, s11
; %bb.40:                               ;   in Loop: Header=BB133_39 Depth=2
	s_delay_alu instid0(VALU_DEP_2) | instskip(SKIP_1) | instid1(VALU_DEP_1)
	v_add_nc_u32_e32 v1, 1, v12
	s_mov_b32 s10, exec_lo
	v_and_b32_e32 v8, 0x1fff, v1
                                        ; implicit-def: $vgpr1
; %bb.41:                               ;   in Loop: Header=BB133_39 Depth=2
	s_and_not1_saveexec_b32 s11, s11
	s_cbranch_execz .LBB133_43
; %bb.42:                               ;   in Loop: Header=BB133_39 Depth=2
	v_mov_b64_e32 v[8:9], s[30:31]
	s_and_not1_b32 s10, s10, exec_lo
	ds_cmpstore_rtn_b64 v[8:9], v1, v[10:11], v[8:9]
	s_wait_dscnt 0x0
	v_cmp_ne_u64_e32 vcc_lo, s[30:31], v[8:9]
	v_mov_b64_e32 v[8:9], v[12:13]
	s_and_b32 s12, vcc_lo, exec_lo
	s_delay_alu instid0(SALU_CYCLE_1)
	s_or_b32 s10, s10, s12
.LBB133_43:                             ;   in Loop: Header=BB133_39 Depth=2
	s_or_b32 exec_lo, exec_lo, s11
	s_mov_b32 s11, -1
	s_or_b32 s9, s9, exec_lo
                                        ; implicit-def: $vgpr1
                                        ; implicit-def: $vgpr14_vgpr15
	s_and_saveexec_b32 s12, s10
	s_cbranch_execz .LBB133_38
; %bb.44:                               ;   in Loop: Header=BB133_39 Depth=2
	v_lshl_add_u32 v1, v8, 3, 0
	s_and_not1_b32 s9, s9, exec_lo
	ds_load_b64 v[14:15], v1
	s_wait_dscnt 0x0
	v_cmp_eq_u64_e32 vcc_lo, v[14:15], v[10:11]
	s_or_not1_b32 s11, vcc_lo, exec_lo
	s_branch .LBB133_38
.LBB133_45:                             ;   in Loop: Header=BB133_36 Depth=1
	s_or_b32 exec_lo, exec_lo, s7
	s_and_saveexec_b32 s7, s8
	s_delay_alu instid0(SALU_CYCLE_1)
	s_xor_b32 s7, exec_lo, s7
	s_cbranch_execz .LBB133_34
; %bb.46:                               ;   in Loop: Header=BB133_36 Depth=1
	v_mov_b32_e32 v8, v12
	s_branch .LBB133_34
.LBB133_47:
	s_or_b32 exec_lo, exec_lo, s4
.LBB133_48:
	v_mbcnt_lo_u32_b32 v1, -1, 0
	v_lshlrev_b32_e32 v2, 3, v2
	v_mov_b64_e32 v[6:7], 0
	s_add_co_i32 s38, 0, 0x20078
	s_delay_alu instid0(SALU_CYCLE_1)
	v_dual_mov_b32 v3, 0 :: v_dual_mov_b32 v14, s38
	v_xor_b32_e32 v4, 31, v1
	v_add3_u32 v1, 0x20000, 0, v2
	v_cmp_lt_u32_e64 s0, 63, v0
	v_cmp_lt_u32_e64 s1, 0x7f, v0
	;; [unrolled: 1-line block ×3, first 2 shown]
	v_lshrrev_b32_e64 v4, v4, -1
	v_cmp_lt_u32_e64 s3, 0xff, v0
	v_cmp_lt_u32_e64 s4, 0x13f, v0
	;; [unrolled: 1-line block ×12, first 2 shown]
	v_or_b32_e32 v5, 0xfffffc00, v0
	s_mov_b32 s16, 0
	s_add_co_i32 s17, 0, 0x20000
	s_add_co_i32 s20, 0, 0x20008
	;; [unrolled: 1-line block ×15, first 2 shown]
	s_wait_dscnt 0x0
	s_barrier_signal -1
	s_barrier_wait -1
	v_cmp_eq_u32_e32 vcc_lo, 0x3ff, v0
	s_branch .LBB133_50
.LBB133_49:                             ;   in Loop: Header=BB133_50 Depth=1
	s_or_b32 exec_lo, exec_lo, s15
	s_wait_dscnt 0x0
	s_barrier_signal -1
	s_barrier_wait -1
	ds_load_b64 v[8:9], v14
	v_add_nc_u32_e32 v5, 0x400, v5
	v_add_nc_u32_e32 v22, 0x2000, v22
	s_delay_alu instid0(VALU_DEP_2)
	v_cmp_lt_u32_e64 s15, 0x1bff, v5
	s_or_b32 s16, s15, s16
	s_wait_dscnt 0x0
	v_add_nc_u64_e32 v[6:7], v[8:9], v[6:7]
	s_and_not1_b32 exec_lo, exec_lo, s16
	s_cbranch_execz .LBB133_84
.LBB133_50:                             ; =>This Inner Loop Header: Depth=1
	ds_load_b64 v[8:9], v22
	v_add_nc_u32_e32 v2, 0x10000, v22
	ds_load_2addr_b32 v[10:11], v2 offset1:1
	s_wait_dscnt 0x0
	s_barrier_signal -1
	s_barrier_wait -1
	v_cmp_gt_i64_e64 s15, s[30:31], v[8:9]
	s_bcnt1_i32_b32 s43, s15
	s_delay_alu instid0(SALU_CYCLE_1) | instskip(NEXT) | instid1(VALU_DEP_1)
	v_dual_mov_b32 v2, s43 :: v_dual_bitop2_b32 v12, s15, v4 bitop3:0x40
	v_bcnt_u32_b32 v12, v12, 0
	ds_store_b64 v1, v[2:3]
	s_wait_dscnt 0x0
	s_barrier_signal -1
	s_barrier_wait -1
	s_and_saveexec_b32 s43, s0
	s_cbranch_execnz .LBB133_67
; %bb.51:                               ;   in Loop: Header=BB133_50 Depth=1
	s_or_b32 exec_lo, exec_lo, s43
	s_and_saveexec_b32 s43, s1
	s_cbranch_execnz .LBB133_68
.LBB133_52:                             ;   in Loop: Header=BB133_50 Depth=1
	s_or_b32 exec_lo, exec_lo, s43
	s_and_saveexec_b32 s43, s2
	s_cbranch_execnz .LBB133_69
.LBB133_53:                             ;   in Loop: Header=BB133_50 Depth=1
	s_or_b32 exec_lo, exec_lo, s43
	s_and_saveexec_b32 s43, s3
	s_cbranch_execnz .LBB133_70
.LBB133_54:                             ;   in Loop: Header=BB133_50 Depth=1
	s_or_b32 exec_lo, exec_lo, s43
	s_and_saveexec_b32 s43, s4
	s_cbranch_execnz .LBB133_71
.LBB133_55:                             ;   in Loop: Header=BB133_50 Depth=1
	s_or_b32 exec_lo, exec_lo, s43
	s_and_saveexec_b32 s43, s5
	s_cbranch_execnz .LBB133_72
.LBB133_56:                             ;   in Loop: Header=BB133_50 Depth=1
	s_or_b32 exec_lo, exec_lo, s43
	s_and_saveexec_b32 s43, s6
	s_cbranch_execnz .LBB133_73
.LBB133_57:                             ;   in Loop: Header=BB133_50 Depth=1
	s_or_b32 exec_lo, exec_lo, s43
	s_and_saveexec_b32 s43, s7
	s_cbranch_execnz .LBB133_74
.LBB133_58:                             ;   in Loop: Header=BB133_50 Depth=1
	s_or_b32 exec_lo, exec_lo, s43
	s_and_saveexec_b32 s43, s8
	s_cbranch_execnz .LBB133_75
.LBB133_59:                             ;   in Loop: Header=BB133_50 Depth=1
	s_or_b32 exec_lo, exec_lo, s43
	s_and_saveexec_b32 s43, s9
	s_cbranch_execnz .LBB133_76
.LBB133_60:                             ;   in Loop: Header=BB133_50 Depth=1
	s_or_b32 exec_lo, exec_lo, s43
	s_and_saveexec_b32 s43, s10
	s_cbranch_execnz .LBB133_77
.LBB133_61:                             ;   in Loop: Header=BB133_50 Depth=1
	s_or_b32 exec_lo, exec_lo, s43
	s_and_saveexec_b32 s43, s11
	s_cbranch_execnz .LBB133_78
.LBB133_62:                             ;   in Loop: Header=BB133_50 Depth=1
	s_or_b32 exec_lo, exec_lo, s43
	s_and_saveexec_b32 s43, s12
	s_cbranch_execnz .LBB133_79
.LBB133_63:                             ;   in Loop: Header=BB133_50 Depth=1
	s_or_b32 exec_lo, exec_lo, s43
	s_and_saveexec_b32 s43, s13
	s_cbranch_execnz .LBB133_80
.LBB133_64:                             ;   in Loop: Header=BB133_50 Depth=1
	s_or_b32 exec_lo, exec_lo, s43
	s_and_saveexec_b32 s43, s14
	s_cbranch_execnz .LBB133_81
.LBB133_65:                             ;   in Loop: Header=BB133_50 Depth=1
	s_or_b32 exec_lo, exec_lo, s43
	v_ashrrev_i32_e32 v13, 31, v12
	s_and_saveexec_b32 s43, s15
	s_cbranch_execnz .LBB133_82
.LBB133_66:                             ;   in Loop: Header=BB133_50 Depth=1
	s_or_b32 exec_lo, exec_lo, s43
	s_and_saveexec_b32 s15, vcc_lo
	s_cbranch_execz .LBB133_49
	s_branch .LBB133_83
.LBB133_67:                             ;   in Loop: Header=BB133_50 Depth=1
	v_mov_b32_e32 v2, s17
	ds_load_b32 v2, v2
	s_wait_dscnt 0x0
	v_add_nc_u32_e32 v12, v2, v12
	s_or_b32 exec_lo, exec_lo, s43
	s_and_saveexec_b32 s43, s1
	s_cbranch_execz .LBB133_52
.LBB133_68:                             ;   in Loop: Header=BB133_50 Depth=1
	v_mov_b32_e32 v2, s20
	ds_load_b32 v2, v2
	s_wait_dscnt 0x0
	v_add_nc_u32_e32 v12, v12, v2
	s_or_b32 exec_lo, exec_lo, s43
	s_and_saveexec_b32 s43, s2
	s_cbranch_execz .LBB133_53
.LBB133_69:                             ;   in Loop: Header=BB133_50 Depth=1
	v_mov_b32_e32 v2, s21
	ds_load_b32 v2, v2
	s_wait_dscnt 0x0
	v_add_nc_u32_e32 v12, v12, v2
	s_or_b32 exec_lo, exec_lo, s43
	s_and_saveexec_b32 s43, s3
	s_cbranch_execz .LBB133_54
.LBB133_70:                             ;   in Loop: Header=BB133_50 Depth=1
	v_mov_b32_e32 v2, s23
	ds_load_b32 v2, v2
	s_wait_dscnt 0x0
	v_add_nc_u32_e32 v12, v12, v2
	s_or_b32 exec_lo, exec_lo, s43
	s_and_saveexec_b32 s43, s4
	s_cbranch_execz .LBB133_55
.LBB133_71:                             ;   in Loop: Header=BB133_50 Depth=1
	v_mov_b32_e32 v2, s24
	ds_load_b32 v2, v2
	s_wait_dscnt 0x0
	v_add_nc_u32_e32 v12, v12, v2
	s_or_b32 exec_lo, exec_lo, s43
	s_and_saveexec_b32 s43, s5
	s_cbranch_execz .LBB133_56
.LBB133_72:                             ;   in Loop: Header=BB133_50 Depth=1
	v_mov_b32_e32 v2, s25
	ds_load_b32 v2, v2
	s_wait_dscnt 0x0
	v_add_nc_u32_e32 v12, v12, v2
	s_or_b32 exec_lo, exec_lo, s43
	s_and_saveexec_b32 s43, s6
	s_cbranch_execz .LBB133_57
.LBB133_73:                             ;   in Loop: Header=BB133_50 Depth=1
	v_mov_b32_e32 v2, s26
	ds_load_b32 v2, v2
	s_wait_dscnt 0x0
	v_add_nc_u32_e32 v12, v12, v2
	s_or_b32 exec_lo, exec_lo, s43
	s_and_saveexec_b32 s43, s7
	s_cbranch_execz .LBB133_58
.LBB133_74:                             ;   in Loop: Header=BB133_50 Depth=1
	v_mov_b32_e32 v2, s27
	ds_load_b32 v2, v2
	s_wait_dscnt 0x0
	v_add_nc_u32_e32 v12, v12, v2
	s_or_b32 exec_lo, exec_lo, s43
	s_and_saveexec_b32 s43, s8
	s_cbranch_execz .LBB133_59
.LBB133_75:                             ;   in Loop: Header=BB133_50 Depth=1
	v_mov_b32_e32 v2, s33
	ds_load_b32 v2, v2
	s_wait_dscnt 0x0
	v_add_nc_u32_e32 v12, v12, v2
	s_or_b32 exec_lo, exec_lo, s43
	s_and_saveexec_b32 s43, s9
	s_cbranch_execz .LBB133_60
.LBB133_76:                             ;   in Loop: Header=BB133_50 Depth=1
	v_mov_b32_e32 v2, s36
	ds_load_b32 v2, v2
	s_wait_dscnt 0x0
	v_add_nc_u32_e32 v12, v12, v2
	s_or_b32 exec_lo, exec_lo, s43
	s_and_saveexec_b32 s43, s10
	s_cbranch_execz .LBB133_61
.LBB133_77:                             ;   in Loop: Header=BB133_50 Depth=1
	v_mov_b32_e32 v2, s37
	ds_load_b32 v2, v2
	s_wait_dscnt 0x0
	v_add_nc_u32_e32 v12, v12, v2
	s_or_b32 exec_lo, exec_lo, s43
	s_and_saveexec_b32 s43, s11
	s_cbranch_execz .LBB133_62
.LBB133_78:                             ;   in Loop: Header=BB133_50 Depth=1
	v_mov_b32_e32 v2, s39
	ds_load_b32 v2, v2
	s_wait_dscnt 0x0
	v_add_nc_u32_e32 v12, v12, v2
	s_or_b32 exec_lo, exec_lo, s43
	s_and_saveexec_b32 s43, s12
	s_cbranch_execz .LBB133_63
.LBB133_79:                             ;   in Loop: Header=BB133_50 Depth=1
	v_mov_b32_e32 v2, s40
	ds_load_b32 v2, v2
	s_wait_dscnt 0x0
	v_add_nc_u32_e32 v12, v12, v2
	s_or_b32 exec_lo, exec_lo, s43
	s_and_saveexec_b32 s43, s13
	s_cbranch_execz .LBB133_64
.LBB133_80:                             ;   in Loop: Header=BB133_50 Depth=1
	v_mov_b32_e32 v2, s41
	ds_load_b32 v2, v2
	s_wait_dscnt 0x0
	v_add_nc_u32_e32 v12, v12, v2
	s_or_b32 exec_lo, exec_lo, s43
	s_and_saveexec_b32 s43, s14
	s_cbranch_execz .LBB133_65
.LBB133_81:                             ;   in Loop: Header=BB133_50 Depth=1
	v_mov_b32_e32 v2, s42
	ds_load_b32 v2, v2
	s_wait_dscnt 0x0
	v_add_nc_u32_e32 v12, v12, v2
	s_or_b32 exec_lo, exec_lo, s43
	s_delay_alu instid0(VALU_DEP_1)
	v_ashrrev_i32_e32 v13, 31, v12
	s_and_saveexec_b32 s43, s15
	s_cbranch_execz .LBB133_66
.LBB133_82:                             ;   in Loop: Header=BB133_50 Depth=1
	v_add3_u32 v2, v6, -1, v12
	v_add_lshl_u32 v15, v6, v12, 3
	s_delay_alu instid0(VALU_DEP_2) | instskip(NEXT) | instid1(VALU_DEP_2)
	v_lshl_add_u32 v2, v2, 3, 0
	v_add3_u32 v15, 0, v15, 0xfff8
	ds_store_b64 v2, v[8:9]
	ds_store_2addr_b32 v15, v10, v11 offset1:1
	s_or_b32 exec_lo, exec_lo, s43
	s_and_saveexec_b32 s15, vcc_lo
	s_cbranch_execz .LBB133_49
.LBB133_83:                             ;   in Loop: Header=BB133_50 Depth=1
	v_mov_b32_e32 v2, s38
	ds_store_b64 v2, v[12:13]
	s_branch .LBB133_49
.LBB133_84:
	s_or_b32 exec_lo, exec_lo, s16
	s_wait_kmcnt 0x0
	s_lshl_b64 s[0:1], s[34:35], 3
	v_mov_b32_e32 v1, 0
	s_add_nc_u64 s[4:5], s[18:19], s[0:1]
	s_mov_b32 s6, exec_lo
	s_load_b128 s[0:3], s[4:5], 0x0
	s_wait_kmcnt 0x0
	s_sub_nc_u64 s[4:5], s[2:3], s[0:1]
	s_delay_alu instid0(SALU_CYCLE_1)
	v_cmpx_gt_i64_e64 s[4:5], v[0:1]
	s_cbranch_execz .LBB133_94
; %bb.85:
	s_sub_nc_u64 s[8:9], s[0:1], s[2:3]
	s_and_b64 s[6:7], s[4:5], 7
	v_cmp_lt_u64_e64 s10, s[8:9], -7
	s_and_b64 s[2:3], s[4:5], -8
	s_mov_b32 s23, 0
	s_cmp_lg_u64 s[6:7], 0
	s_sub_nc_u64 s[0:1], s[0:1], s[22:23]
	s_cselect_b32 s11, -1, 0
	s_mov_b32 s12, 0
	s_branch .LBB133_87
.LBB133_86:                             ;   in Loop: Header=BB133_87 Depth=1
	v_add_nc_u64_e32 v[0:1], 0x400, v[0:1]
	s_wait_dscnt 0x1
	s_delay_alu instid0(VALU_DEP_2)
	v_lshl_add_u64 v[4:5], v[6:7], 3, s[28:29]
	s_wait_dscnt 0x0
	global_store_b64 v[4:5], v[2:3], off
	v_cmp_le_i64_e32 vcc_lo, s[4:5], v[0:1]
	s_or_b32 s12, vcc_lo, s12
	s_wait_xcnt 0x0
	s_and_not1_b32 exec_lo, exec_lo, s12
	s_cbranch_execz .LBB133_94
.LBB133_87:                             ; =>This Loop Header: Depth=1
                                        ;     Child Loop BB133_89 Depth 2
                                        ;     Child Loop BB133_93 Depth 2
	v_lshl_add_u32 v2, v0, 3, 0
	v_mov_b64_e32 v[6:7], s[0:1]
	s_and_not1_b32 vcc_lo, exec_lo, s10
	s_mov_b64 s[8:9], 0
	s_delay_alu instid0(VALU_DEP_2)
	v_add_nc_u32_e32 v3, 0x10000, v2
	ds_load_b64 v[4:5], v2
	ds_load_2addr_b32 v[2:3], v3 offset1:1
	s_cbranch_vccnz .LBB133_91
; %bb.88:                               ;   in Loop: Header=BB133_87 Depth=1
	v_mov_b64_e32 v[6:7], s[0:1]
	s_mov_b32 s13, 0
.LBB133_89:                             ;   Parent Loop BB133_87 Depth=1
                                        ; =>  This Inner Loop Header: Depth=2
	s_delay_alu instid0(SALU_CYCLE_1)
	v_dual_mov_b32 v20, s13 :: v_dual_mov_b32 v17, s23
	v_mov_b32_e32 v19, s23
	s_add_nc_u64 s[8:9], s[8:9], 8
	s_add_co_i32 s13, s13, 64
	ds_load_2addr_b64 v[8:11], v20 offset1:1
	ds_load_2addr_b64 v[12:15], v20 offset0:2 offset1:3
	s_cmp_eq_u64 s[2:3], s[8:9]
	s_wait_dscnt 0x1
	v_cmp_gt_i64_e32 vcc_lo, v[4:5], v[8:9]
	v_cndmask_b32_e64 v16, 0, 1, vcc_lo
	v_cmp_gt_i64_e32 vcc_lo, v[4:5], v[10:11]
	s_delay_alu instid0(VALU_DEP_2) | instskip(SKIP_4) | instid1(VALU_DEP_2)
	v_add_nc_u64_e32 v[10:11], v[6:7], v[16:17]
	ds_load_2addr_b64 v[6:9], v20 offset0:4 offset1:5
	v_cndmask_b32_e64 v18, 0, 1, vcc_lo
	s_wait_dscnt 0x1
	v_cmp_gt_i64_e32 vcc_lo, v[4:5], v[12:13]
	v_add_nc_u64_e32 v[10:11], v[10:11], v[18:19]
	v_cndmask_b32_e64 v16, 0, 1, vcc_lo
	v_cmp_gt_i64_e32 vcc_lo, v[4:5], v[14:15]
	s_delay_alu instid0(VALU_DEP_2)
	v_add_nc_u64_e32 v[14:15], v[10:11], v[16:17]
	ds_load_2addr_b64 v[10:13], v20 offset0:6 offset1:7
	v_cndmask_b32_e64 v18, 0, 1, vcc_lo
	s_wait_dscnt 0x1
	v_cmp_gt_i64_e32 vcc_lo, v[4:5], v[6:7]
	v_mov_b32_e32 v7, s23
	s_delay_alu instid0(VALU_DEP_3) | instskip(SKIP_3) | instid1(VALU_DEP_3)
	v_add_nc_u64_e32 v[14:15], v[14:15], v[18:19]
	v_cndmask_b32_e64 v16, 0, 1, vcc_lo
	v_cmp_gt_i64_e32 vcc_lo, v[4:5], v[8:9]
	v_mov_b32_e32 v9, s23
	v_add_nc_u64_e32 v[14:15], v[14:15], v[16:17]
	v_cndmask_b32_e64 v6, 0, 1, vcc_lo
	s_wait_dscnt 0x0
	v_cmp_gt_i64_e32 vcc_lo, v[4:5], v[10:11]
	v_mov_b32_e32 v11, s23
	s_delay_alu instid0(VALU_DEP_3) | instskip(SKIP_2) | instid1(VALU_DEP_2)
	v_add_nc_u64_e32 v[6:7], v[14:15], v[6:7]
	v_cndmask_b32_e64 v8, 0, 1, vcc_lo
	v_cmp_gt_i64_e32 vcc_lo, v[4:5], v[12:13]
	v_add_nc_u64_e32 v[6:7], v[6:7], v[8:9]
	v_cndmask_b32_e64 v10, 0, 1, vcc_lo
	s_delay_alu instid0(VALU_DEP_1)
	v_add_nc_u64_e32 v[6:7], v[6:7], v[10:11]
	s_cbranch_scc0 .LBB133_89
; %bb.90:                               ;   in Loop: Header=BB133_87 Depth=1
	s_mov_b64 s[8:9], s[2:3]
.LBB133_91:                             ;   in Loop: Header=BB133_87 Depth=1
	s_and_not1_b32 vcc_lo, exec_lo, s11
	s_cbranch_vccnz .LBB133_86
; %bb.92:                               ;   in Loop: Header=BB133_87 Depth=1
	s_lshl_b32 s8, s8, 3
	s_delay_alu instid0(SALU_CYCLE_1)
	s_add_co_i32 s13, s8, 0
	s_mov_b64 s[8:9], s[6:7]
.LBB133_93:                             ;   Parent Loop BB133_87 Depth=1
                                        ; =>  This Inner Loop Header: Depth=2
	v_dual_mov_b32 v8, s13 :: v_dual_mov_b32 v11, s23
	s_add_nc_u64 s[8:9], s[8:9], -1
	s_add_co_i32 s13, s13, 8
	s_cmp_lg_u64 s[8:9], 0
	ds_load_b64 v[8:9], v8
	s_wait_dscnt 0x0
	v_cmp_gt_i64_e32 vcc_lo, v[4:5], v[8:9]
	v_cndmask_b32_e64 v10, 0, 1, vcc_lo
	s_delay_alu instid0(VALU_DEP_1)
	v_add_nc_u64_e32 v[6:7], v[6:7], v[10:11]
	s_cbranch_scc1 .LBB133_93
	s_branch .LBB133_86
.LBB133_94:
	s_endpgm
	.section	.rodata,"a",@progbits
	.p2align	6, 0x0
	.amdhsa_kernel _ZN9rocsparseL41csrgemm_numeric_fill_block_per_row_kernelILj1024ELj64ELj8192ELj137ELj64Ell21rocsparse_complex_numIfEEEvT5_PKS3_S5_NS_24const_host_device_scalarIT6_EEPKT4_S5_PKS7_SB_S5_SD_S8_SB_S5_SD_SB_S5_PS7_21rocsparse_index_base_SF_SF_SF_bbb
		.amdhsa_group_segment_fixed_size 0
		.amdhsa_private_segment_fixed_size 0
		.amdhsa_kernarg_size 156
		.amdhsa_user_sgpr_count 2
		.amdhsa_user_sgpr_dispatch_ptr 0
		.amdhsa_user_sgpr_queue_ptr 0
		.amdhsa_user_sgpr_kernarg_segment_ptr 1
		.amdhsa_user_sgpr_dispatch_id 0
		.amdhsa_user_sgpr_kernarg_preload_length 0
		.amdhsa_user_sgpr_kernarg_preload_offset 0
		.amdhsa_user_sgpr_private_segment_size 0
		.amdhsa_wavefront_size32 1
		.amdhsa_uses_dynamic_stack 0
		.amdhsa_enable_private_segment 0
		.amdhsa_system_sgpr_workgroup_id_x 1
		.amdhsa_system_sgpr_workgroup_id_y 0
		.amdhsa_system_sgpr_workgroup_id_z 0
		.amdhsa_system_sgpr_workgroup_info 0
		.amdhsa_system_vgpr_workitem_id 0
		.amdhsa_next_free_vgpr 27
		.amdhsa_next_free_sgpr 49
		.amdhsa_named_barrier_count 0
		.amdhsa_reserve_vcc 1
		.amdhsa_float_round_mode_32 0
		.amdhsa_float_round_mode_16_64 0
		.amdhsa_float_denorm_mode_32 3
		.amdhsa_float_denorm_mode_16_64 3
		.amdhsa_fp16_overflow 0
		.amdhsa_memory_ordered 1
		.amdhsa_forward_progress 1
		.amdhsa_inst_pref_size 30
		.amdhsa_round_robin_scheduling 0
		.amdhsa_exception_fp_ieee_invalid_op 0
		.amdhsa_exception_fp_denorm_src 0
		.amdhsa_exception_fp_ieee_div_zero 0
		.amdhsa_exception_fp_ieee_overflow 0
		.amdhsa_exception_fp_ieee_underflow 0
		.amdhsa_exception_fp_ieee_inexact 0
		.amdhsa_exception_int_div_zero 0
	.end_amdhsa_kernel
	.section	.text._ZN9rocsparseL41csrgemm_numeric_fill_block_per_row_kernelILj1024ELj64ELj8192ELj137ELj64Ell21rocsparse_complex_numIfEEEvT5_PKS3_S5_NS_24const_host_device_scalarIT6_EEPKT4_S5_PKS7_SB_S5_SD_S8_SB_S5_SD_SB_S5_PS7_21rocsparse_index_base_SF_SF_SF_bbb,"axG",@progbits,_ZN9rocsparseL41csrgemm_numeric_fill_block_per_row_kernelILj1024ELj64ELj8192ELj137ELj64Ell21rocsparse_complex_numIfEEEvT5_PKS3_S5_NS_24const_host_device_scalarIT6_EEPKT4_S5_PKS7_SB_S5_SD_S8_SB_S5_SD_SB_S5_PS7_21rocsparse_index_base_SF_SF_SF_bbb,comdat
.Lfunc_end133:
	.size	_ZN9rocsparseL41csrgemm_numeric_fill_block_per_row_kernelILj1024ELj64ELj8192ELj137ELj64Ell21rocsparse_complex_numIfEEEvT5_PKS3_S5_NS_24const_host_device_scalarIT6_EEPKT4_S5_PKS7_SB_S5_SD_S8_SB_S5_SD_SB_S5_PS7_21rocsparse_index_base_SF_SF_SF_bbb, .Lfunc_end133-_ZN9rocsparseL41csrgemm_numeric_fill_block_per_row_kernelILj1024ELj64ELj8192ELj137ELj64Ell21rocsparse_complex_numIfEEEvT5_PKS3_S5_NS_24const_host_device_scalarIT6_EEPKT4_S5_PKS7_SB_S5_SD_S8_SB_S5_SD_SB_S5_PS7_21rocsparse_index_base_SF_SF_SF_bbb
                                        ; -- End function
	.set _ZN9rocsparseL41csrgemm_numeric_fill_block_per_row_kernelILj1024ELj64ELj8192ELj137ELj64Ell21rocsparse_complex_numIfEEEvT5_PKS3_S5_NS_24const_host_device_scalarIT6_EEPKT4_S5_PKS7_SB_S5_SD_S8_SB_S5_SD_SB_S5_PS7_21rocsparse_index_base_SF_SF_SF_bbb.num_vgpr, 27
	.set _ZN9rocsparseL41csrgemm_numeric_fill_block_per_row_kernelILj1024ELj64ELj8192ELj137ELj64Ell21rocsparse_complex_numIfEEEvT5_PKS3_S5_NS_24const_host_device_scalarIT6_EEPKT4_S5_PKS7_SB_S5_SD_S8_SB_S5_SD_SB_S5_PS7_21rocsparse_index_base_SF_SF_SF_bbb.num_agpr, 0
	.set _ZN9rocsparseL41csrgemm_numeric_fill_block_per_row_kernelILj1024ELj64ELj8192ELj137ELj64Ell21rocsparse_complex_numIfEEEvT5_PKS3_S5_NS_24const_host_device_scalarIT6_EEPKT4_S5_PKS7_SB_S5_SD_S8_SB_S5_SD_SB_S5_PS7_21rocsparse_index_base_SF_SF_SF_bbb.numbered_sgpr, 49
	.set _ZN9rocsparseL41csrgemm_numeric_fill_block_per_row_kernelILj1024ELj64ELj8192ELj137ELj64Ell21rocsparse_complex_numIfEEEvT5_PKS3_S5_NS_24const_host_device_scalarIT6_EEPKT4_S5_PKS7_SB_S5_SD_S8_SB_S5_SD_SB_S5_PS7_21rocsparse_index_base_SF_SF_SF_bbb.num_named_barrier, 0
	.set _ZN9rocsparseL41csrgemm_numeric_fill_block_per_row_kernelILj1024ELj64ELj8192ELj137ELj64Ell21rocsparse_complex_numIfEEEvT5_PKS3_S5_NS_24const_host_device_scalarIT6_EEPKT4_S5_PKS7_SB_S5_SD_S8_SB_S5_SD_SB_S5_PS7_21rocsparse_index_base_SF_SF_SF_bbb.private_seg_size, 0
	.set _ZN9rocsparseL41csrgemm_numeric_fill_block_per_row_kernelILj1024ELj64ELj8192ELj137ELj64Ell21rocsparse_complex_numIfEEEvT5_PKS3_S5_NS_24const_host_device_scalarIT6_EEPKT4_S5_PKS7_SB_S5_SD_S8_SB_S5_SD_SB_S5_PS7_21rocsparse_index_base_SF_SF_SF_bbb.uses_vcc, 1
	.set _ZN9rocsparseL41csrgemm_numeric_fill_block_per_row_kernelILj1024ELj64ELj8192ELj137ELj64Ell21rocsparse_complex_numIfEEEvT5_PKS3_S5_NS_24const_host_device_scalarIT6_EEPKT4_S5_PKS7_SB_S5_SD_S8_SB_S5_SD_SB_S5_PS7_21rocsparse_index_base_SF_SF_SF_bbb.uses_flat_scratch, 0
	.set _ZN9rocsparseL41csrgemm_numeric_fill_block_per_row_kernelILj1024ELj64ELj8192ELj137ELj64Ell21rocsparse_complex_numIfEEEvT5_PKS3_S5_NS_24const_host_device_scalarIT6_EEPKT4_S5_PKS7_SB_S5_SD_S8_SB_S5_SD_SB_S5_PS7_21rocsparse_index_base_SF_SF_SF_bbb.has_dyn_sized_stack, 0
	.set _ZN9rocsparseL41csrgemm_numeric_fill_block_per_row_kernelILj1024ELj64ELj8192ELj137ELj64Ell21rocsparse_complex_numIfEEEvT5_PKS3_S5_NS_24const_host_device_scalarIT6_EEPKT4_S5_PKS7_SB_S5_SD_S8_SB_S5_SD_SB_S5_PS7_21rocsparse_index_base_SF_SF_SF_bbb.has_recursion, 0
	.set _ZN9rocsparseL41csrgemm_numeric_fill_block_per_row_kernelILj1024ELj64ELj8192ELj137ELj64Ell21rocsparse_complex_numIfEEEvT5_PKS3_S5_NS_24const_host_device_scalarIT6_EEPKT4_S5_PKS7_SB_S5_SD_S8_SB_S5_SD_SB_S5_PS7_21rocsparse_index_base_SF_SF_SF_bbb.has_indirect_call, 0
	.section	.AMDGPU.csdata,"",@progbits
; Kernel info:
; codeLenInByte = 3788
; TotalNumSgprs: 51
; NumVgprs: 27
; ScratchSize: 0
; MemoryBound: 0
; FloatMode: 240
; IeeeMode: 1
; LDSByteSize: 0 bytes/workgroup (compile time only)
; SGPRBlocks: 0
; VGPRBlocks: 1
; NumSGPRsForWavesPerEU: 51
; NumVGPRsForWavesPerEU: 27
; NamedBarCnt: 0
; Occupancy: 16
; WaveLimiterHint : 1
; COMPUTE_PGM_RSRC2:SCRATCH_EN: 0
; COMPUTE_PGM_RSRC2:USER_SGPR: 2
; COMPUTE_PGM_RSRC2:TRAP_HANDLER: 0
; COMPUTE_PGM_RSRC2:TGID_X_EN: 1
; COMPUTE_PGM_RSRC2:TGID_Y_EN: 0
; COMPUTE_PGM_RSRC2:TGID_Z_EN: 0
; COMPUTE_PGM_RSRC2:TIDIG_COMP_CNT: 0
	.section	.text._ZN9rocsparseL41csrgemm_numeric_fill_block_per_row_kernelILj1024ELj64ELj16384ELj137ELj32Ell21rocsparse_complex_numIfEEEvT5_PKS3_S5_NS_24const_host_device_scalarIT6_EEPKT4_S5_PKS7_SB_S5_SD_S8_SB_S5_SD_SB_S5_PS7_21rocsparse_index_base_SF_SF_SF_bbb,"axG",@progbits,_ZN9rocsparseL41csrgemm_numeric_fill_block_per_row_kernelILj1024ELj64ELj16384ELj137ELj32Ell21rocsparse_complex_numIfEEEvT5_PKS3_S5_NS_24const_host_device_scalarIT6_EEPKT4_S5_PKS7_SB_S5_SD_S8_SB_S5_SD_SB_S5_PS7_21rocsparse_index_base_SF_SF_SF_bbb,comdat
	.globl	_ZN9rocsparseL41csrgemm_numeric_fill_block_per_row_kernelILj1024ELj64ELj16384ELj137ELj32Ell21rocsparse_complex_numIfEEEvT5_PKS3_S5_NS_24const_host_device_scalarIT6_EEPKT4_S5_PKS7_SB_S5_SD_S8_SB_S5_SD_SB_S5_PS7_21rocsparse_index_base_SF_SF_SF_bbb ; -- Begin function _ZN9rocsparseL41csrgemm_numeric_fill_block_per_row_kernelILj1024ELj64ELj16384ELj137ELj32Ell21rocsparse_complex_numIfEEEvT5_PKS3_S5_NS_24const_host_device_scalarIT6_EEPKT4_S5_PKS7_SB_S5_SD_S8_SB_S5_SD_SB_S5_PS7_21rocsparse_index_base_SF_SF_SF_bbb
	.p2align	8
	.type	_ZN9rocsparseL41csrgemm_numeric_fill_block_per_row_kernelILj1024ELj64ELj16384ELj137ELj32Ell21rocsparse_complex_numIfEEEvT5_PKS3_S5_NS_24const_host_device_scalarIT6_EEPKT4_S5_PKS7_SB_S5_SD_S8_SB_S5_SD_SB_S5_PS7_21rocsparse_index_base_SF_SF_SF_bbb,@function
_ZN9rocsparseL41csrgemm_numeric_fill_block_per_row_kernelILj1024ELj64ELj16384ELj137ELj32Ell21rocsparse_complex_numIfEEEvT5_PKS3_S5_NS_24const_host_device_scalarIT6_EEPKT4_S5_PKS7_SB_S5_SD_S8_SB_S5_SD_SB_S5_PS7_21rocsparse_index_base_SF_SF_SF_bbb: ; @_ZN9rocsparseL41csrgemm_numeric_fill_block_per_row_kernelILj1024ELj64ELj16384ELj137ELj32Ell21rocsparse_complex_numIfEEEvT5_PKS3_S5_NS_24const_host_device_scalarIT6_EEPKT4_S5_PKS7_SB_S5_SD_S8_SB_S5_SD_SB_S5_PS7_21rocsparse_index_base_SF_SF_SF_bbb
; %bb.0:
	s_clause 0x3
	s_load_b32 s22, s[0:1], 0x98
	s_load_b128 s[44:47], s[0:1], 0x88
	s_load_b64 s[16:17], s[0:1], 0x8
	s_load_b64 s[20:21], s[0:1], 0x50
	s_mov_b32 s3, 0
	s_mov_b32 s24, 0
	s_wait_kmcnt 0x0
	s_bitcmp1_b32 s22, 0
	s_cselect_b32 s25, -1, 0
	s_bitcmp1_b32 s22, 16
	s_cselect_b32 s2, -1, 0
	s_delay_alu instid0(SALU_CYCLE_1) | instskip(SKIP_2) | instid1(VALU_DEP_1)
	s_xor_b32 s4, s2, -1
	s_bitcmp0_b32 s22, 0
	v_cndmask_b32_e64 v1, 0, 1, s4
	v_cmp_ne_u32_e32 vcc_lo, 1, v1
	s_cbranch_scc1 .LBB134_5
; %bb.1:
	s_load_b64 s[2:3], s[0:1], 0x18
	s_and_b32 vcc_lo, exec_lo, vcc_lo
	s_wait_kmcnt 0x0
	s_mov_b32 s24, s2
	s_cbranch_vccnz .LBB134_3
; %bb.2:
	s_load_b32 s24, s[2:3], 0x0
.LBB134_3:
	s_and_not1_b32 vcc_lo, exec_lo, s4
	s_cbranch_vccnz .LBB134_5
; %bb.4:
	s_wait_xcnt 0x0
	s_load_b32 s3, s[2:3], 0x4
.LBB134_5:
	s_clause 0x4
	s_load_b64 s[34:35], s[0:1], 0x80
	s_load_b256 s[36:43], s[0:1], 0x58
	s_load_b128 s[12:15], s[0:1], 0x40
	s_load_b64 s[18:19], s[0:1], 0x10
	s_load_b256 s[4:11], s[0:1], 0x20
	s_bitcmp1_b32 s22, 8
	s_wait_xcnt 0x0
	s_cselect_b32 s2, -1, 0
	s_bfe_u32 s23, s22, 0x10008
	s_mov_b32 s22, 0
	s_cmp_eq_u32 s23, 0
	s_mov_b32 s23, 0
	s_cbranch_scc1 .LBB134_11
; %bb.6:
	v_cmp_ne_u32_e32 vcc_lo, 1, v1
	s_mov_b32 s22, s20
	s_cbranch_vccnz .LBB134_8
; %bb.7:
	s_load_b32 s22, s[20:21], 0x0
.LBB134_8:
	v_cmp_ne_u32_e32 vcc_lo, 1, v1
	s_cbranch_vccnz .LBB134_10
; %bb.9:
	s_wait_xcnt 0x0
	s_load_b32 s21, s[20:21], 0x4
.LBB134_10:
	s_wait_kmcnt 0x0
	s_mov_b32 s23, s21
.LBB134_11:
	s_load_b64 s[48:49], s[0:1], 0x0
	v_lshl_add_u32 v20, v0, 3, 0
	v_or_b32_e32 v21, 0xfffffc00, v0
	v_mov_b32_e32 v1, 0
	s_wait_xcnt 0x0
	s_mov_b32 s0, 0
	s_delay_alu instid0(VALU_DEP_2)
	v_dual_mov_b32 v4, v20 :: v_dual_mov_b32 v5, v21
	s_wait_kmcnt 0x0
	v_mov_b64_e32 v[2:3], s[48:49]
.LBB134_12:                             ; =>This Inner Loop Header: Depth=1
	s_delay_alu instid0(VALU_DEP_2) | instskip(NEXT) | instid1(VALU_DEP_3)
	v_add_nc_u32_e32 v5, 0x400, v5
	v_add_nc_u32_e32 v6, 0x20000, v4
	ds_store_b64 v4, v[2:3]
	v_add_nc_u32_e32 v4, 0x2000, v4
	v_cmp_lt_u32_e32 vcc_lo, 0x3bff, v5
	ds_store_2addr_b32 v6, v1, v1 offset1:1
	s_or_b32 s0, vcc_lo, s0
	s_delay_alu instid0(SALU_CYCLE_1)
	s_and_not1_b32 exec_lo, exec_lo, s0
	s_cbranch_execnz .LBB134_12
; %bb.13:
	s_or_b32 exec_lo, exec_lo, s0
	s_wait_dscnt 0x0
	s_barrier_signal -1
	s_barrier_wait -1
	s_load_b64 s[0:1], s[16:17], 0x0
	s_wait_xcnt 0x0
	s_bfe_u32 s16, ttmp6, 0x4000c
	s_and_b32 s17, ttmp6, 15
	s_add_co_i32 s16, s16, 1
	s_getreg_b32 s20, hwreg(HW_REG_IB_STS2, 6, 4)
	s_mul_i32 s16, ttmp9, s16
	s_delay_alu instid0(SALU_CYCLE_1)
	s_add_co_i32 s17, s17, s16
	s_wait_kmcnt 0x0
	s_lshl_b64 s[0:1], s[0:1], 3
	s_cmp_eq_u32 s20, 0
	s_add_nc_u64 s[0:1], s[18:19], s[0:1]
	s_cselect_b32 s16, ttmp9, s17
	s_and_b32 vcc_lo, exec_lo, s25
	s_load_b64 s[50:51], s[0:1], s16 offset:0x0 scale_offset
	s_wait_xcnt 0x0
	s_mov_b32 s1, 0
	s_cbranch_vccz .LBB134_33
; %bb.14:
	s_wait_kmcnt 0x0
	s_lshl_b64 s[16:17], s[50:51], 3
	v_dual_mov_b32 v5, 0 :: v_dual_lshrrev_b32 v4, 6, v0
	s_add_nc_u64 s[4:5], s[4:5], s[16:17]
	s_mov_b32 s0, s44
	s_load_b128 s[16:19], s[4:5], 0x0
	s_delay_alu instid0(VALU_DEP_1) | instskip(SKIP_1) | instid1(VALU_DEP_1)
	v_sub_nc_u64_e64 v[2:3], v[4:5], s[0:1]
	s_wait_kmcnt 0x0
	v_add_nc_u64_e32 v[2:3], s[16:17], v[2:3]
	s_sub_nc_u64 s[4:5], s[18:19], s[0:1]
	s_mov_b32 s18, exec_lo
	s_delay_alu instid0(VALU_DEP_1)
	v_cmpx_gt_i64_e64 s[4:5], v[2:3]
	s_cbranch_execz .LBB134_32
; %bb.15:
	v_and_b32_e32 v4, 63, v0
	s_mov_b32 s17, 0
	s_mov_b32 s16, s45
	;; [unrolled: 1-line block ×3, first 2 shown]
	s_delay_alu instid0(VALU_DEP_1)
	v_sub_nc_u64_e64 v[4:5], v[4:5], s[16:17]
	s_branch .LBB134_17
.LBB134_16:                             ;   in Loop: Header=BB134_17 Depth=1
	s_or_b32 exec_lo, exec_lo, s20
	v_add_nc_u64_e32 v[2:3], 16, v[2:3]
	s_delay_alu instid0(VALU_DEP_1) | instskip(SKIP_1) | instid1(SALU_CYCLE_1)
	v_cmp_le_i64_e32 vcc_lo, s[4:5], v[2:3]
	s_or_b32 s19, vcc_lo, s19
	s_and_not1_b32 exec_lo, exec_lo, s19
	s_cbranch_execz .LBB134_32
.LBB134_17:                             ; =>This Loop Header: Depth=1
                                        ;     Child Loop BB134_21 Depth 2
                                        ;       Child Loop BB134_24 Depth 3
	v_lshl_add_u64 v[6:7], v[2:3], 3, s[6:7]
	s_mov_b32 s20, exec_lo
	global_load_b64 v[6:7], v[6:7], off
	s_wait_loadcnt 0x0
	s_wait_xcnt 0x0
	v_sub_nc_u64_e64 v[6:7], v[6:7], s[0:1]
	s_delay_alu instid0(VALU_DEP_1)
	v_lshl_add_u64 v[6:7], v[6:7], 3, s[10:11]
	global_load_b128 v[8:11], v[6:7], off
	s_wait_loadcnt 0x0
	s_wait_xcnt 0x0
	v_sub_nc_u64_e64 v[6:7], v[10:11], s[16:17]
	v_add_nc_u64_e32 v[8:9], v[8:9], v[4:5]
	s_delay_alu instid0(VALU_DEP_1)
	v_cmpx_lt_i64_e64 v[8:9], v[6:7]
	s_cbranch_execz .LBB134_16
; %bb.18:                               ;   in Loop: Header=BB134_17 Depth=1
	v_lshl_add_u64 v[10:11], v[2:3], 3, s[8:9]
	s_mov_b32 s21, 0
	global_load_b64 v[10:11], v[10:11], off
	s_wait_loadcnt 0x0
	v_mul_f32_e64 v1, v11, -s3
	s_delay_alu instid0(VALU_DEP_1) | instskip(NEXT) | instid1(VALU_DEP_1)
	v_dual_mul_f32 v22, s24, v11 :: v_dual_fmac_f32 v1, s24, v10
	v_fmac_f32_e32 v22, s3, v10
	s_branch .LBB134_21
.LBB134_19:                             ;   in Loop: Header=BB134_21 Depth=2
	s_or_b32 exec_lo, exec_lo, s26
.LBB134_20:                             ;   in Loop: Header=BB134_21 Depth=2
	s_delay_alu instid0(SALU_CYCLE_1) | instskip(SKIP_4) | instid1(VALU_DEP_3)
	s_or_b32 exec_lo, exec_lo, s25
	s_wait_loadcnt 0x0
	v_dual_mul_f32 v13, v11, -v22 :: v_dual_lshlrev_b32 v12, 3, v12
	v_mul_f32_e32 v11, v1, v11
	v_add_nc_u64_e32 v[8:9], 64, v[8:9]
	v_fmac_f32_e32 v13, v1, v10
	s_delay_alu instid0(VALU_DEP_4) | instskip(NEXT) | instid1(VALU_DEP_4)
	v_add3_u32 v12, 0, v12, 0x20000
	v_fmac_f32_e32 v11, v22, v10
	ds_add_f32 v12, v13
	ds_add_f32 v12, v11 offset:4
	v_cmp_ge_i64_e32 vcc_lo, v[8:9], v[6:7]
	s_or_b32 s21, vcc_lo, s21
	s_delay_alu instid0(SALU_CYCLE_1)
	s_and_not1_b32 exec_lo, exec_lo, s21
	s_cbranch_execz .LBB134_16
.LBB134_21:                             ;   Parent Loop BB134_17 Depth=1
                                        ; =>  This Loop Header: Depth=2
                                        ;       Child Loop BB134_24 Depth 3
	s_wait_xcnt 0x0
	v_lshlrev_b64_e32 v[10:11], 3, v[8:9]
	s_mov_b32 s25, exec_lo
	s_delay_alu instid0(VALU_DEP_1)
	v_add_nc_u64_e32 v[12:13], s[12:13], v[10:11]
	v_add_nc_u64_e32 v[10:11], s[14:15], v[10:11]
	global_load_b64 v[12:13], v[12:13], off
	global_load_b64 v[10:11], v[10:11], off
	s_wait_loadcnt 0x1
	v_sub_nc_u64_e64 v[14:15], v[12:13], s[16:17]
	s_wait_xcnt 0x1
	s_delay_alu instid0(VALU_DEP_1) | instskip(NEXT) | instid1(VALU_DEP_1)
	v_mul_lo_u32 v12, 0x89, v14
	v_and_b32_e32 v12, 0x3fff, v12
	s_delay_alu instid0(VALU_DEP_1)
	v_lshl_add_u32 v23, v12, 3, 0
	ds_load_b64 v[18:19], v23
	s_wait_dscnt 0x0
	s_wait_xcnt 0x0
	v_cmpx_ne_u64_e64 v[18:19], v[14:15]
	s_cbranch_execz .LBB134_20
; %bb.22:                               ;   in Loop: Header=BB134_21 Depth=2
	s_mov_b32 s26, 0
                                        ; implicit-def: $sgpr27
                                        ; implicit-def: $sgpr28
	s_branch .LBB134_24
.LBB134_23:                             ;   in Loop: Header=BB134_24 Depth=3
	s_or_b32 exec_lo, exec_lo, s31
	s_delay_alu instid0(SALU_CYCLE_1) | instskip(NEXT) | instid1(SALU_CYCLE_1)
	s_and_b32 s29, exec_lo, s30
	s_or_b32 s26, s29, s26
	s_and_not1_b32 s27, s27, exec_lo
	s_and_b32 s29, s28, exec_lo
	s_delay_alu instid0(SALU_CYCLE_1)
	s_or_b32 s27, s27, s29
	s_and_not1_b32 exec_lo, exec_lo, s26
	s_cbranch_execz .LBB134_30
.LBB134_24:                             ;   Parent Loop BB134_17 Depth=1
                                        ;     Parent Loop BB134_21 Depth=2
                                        ; =>    This Inner Loop Header: Depth=3
	v_mov_b64_e32 v[16:17], v[12:13]
	s_mov_b32 s29, 0
	s_mov_b32 s30, exec_lo
                                        ; implicit-def: $vgpr12_vgpr13
	v_cmpx_ne_u64_e64 s[48:49], v[18:19]
	s_xor_b32 s30, exec_lo, s30
; %bb.25:                               ;   in Loop: Header=BB134_24 Depth=3
	s_delay_alu instid0(VALU_DEP_2) | instskip(SKIP_1) | instid1(VALU_DEP_1)
	v_add_nc_u32_e32 v12, 1, v16
	s_mov_b32 s29, exec_lo
                                        ; implicit-def: $vgpr23
	v_and_b32_e32 v12, 0x3fff, v12
; %bb.26:                               ;   in Loop: Header=BB134_24 Depth=3
	s_and_not1_saveexec_b32 s30, s30
	s_cbranch_execz .LBB134_28
; %bb.27:                               ;   in Loop: Header=BB134_24 Depth=3
	v_mov_b64_e32 v[12:13], s[48:49]
	s_and_not1_b32 s29, s29, exec_lo
	ds_cmpstore_rtn_b64 v[12:13], v23, v[14:15], v[12:13]
	s_wait_dscnt 0x0
	v_cmp_ne_u64_e32 vcc_lo, s[48:49], v[12:13]
	v_mov_b64_e32 v[12:13], v[16:17]
	s_and_b32 s31, vcc_lo, exec_lo
	s_delay_alu instid0(SALU_CYCLE_1)
	s_or_b32 s29, s29, s31
.LBB134_28:                             ;   in Loop: Header=BB134_24 Depth=3
	s_or_b32 exec_lo, exec_lo, s30
	s_mov_b32 s30, -1
	s_or_b32 s28, s28, exec_lo
                                        ; implicit-def: $vgpr23
                                        ; implicit-def: $vgpr18_vgpr19
	s_and_saveexec_b32 s31, s29
	s_cbranch_execz .LBB134_23
; %bb.29:                               ;   in Loop: Header=BB134_24 Depth=3
	v_lshl_add_u32 v23, v12, 3, 0
	s_and_not1_b32 s28, s28, exec_lo
	ds_load_b64 v[18:19], v23
	s_wait_dscnt 0x0
	v_cmp_eq_u64_e32 vcc_lo, v[18:19], v[14:15]
	s_or_not1_b32 s30, vcc_lo, exec_lo
	s_branch .LBB134_23
.LBB134_30:                             ;   in Loop: Header=BB134_21 Depth=2
	s_or_b32 exec_lo, exec_lo, s26
	s_and_saveexec_b32 s26, s27
	s_delay_alu instid0(SALU_CYCLE_1)
	s_xor_b32 s26, exec_lo, s26
	s_cbranch_execz .LBB134_19
; %bb.31:                               ;   in Loop: Header=BB134_21 Depth=2
	v_mov_b32_e32 v12, v16
	s_branch .LBB134_19
.LBB134_32:
	s_or_b32 exec_lo, exec_lo, s18
.LBB134_33:
	s_delay_alu instid0(SALU_CYCLE_1)
	s_and_not1_b32 vcc_lo, exec_lo, s2
	s_cbranch_vccnz .LBB134_50
; %bb.34:
	s_wait_kmcnt 0x0
	s_lshl_b64 s[0:1], s[50:51], 3
	v_mov_b32_e32 v1, 0
	s_add_nc_u64 s[0:1], s[36:37], s[0:1]
	s_load_b128 s[4:7], s[0:1], 0x0
	s_wait_xcnt 0x0
	s_mov_b32 s1, 0
	s_mov_b32 s0, s47
	s_delay_alu instid0(SALU_CYCLE_1) | instskip(SKIP_1) | instid1(VALU_DEP_1)
	v_sub_nc_u64_e64 v[2:3], v[0:1], s[0:1]
	s_wait_kmcnt 0x0
	v_add_nc_u64_e32 v[2:3], s[4:5], v[2:3]
	s_sub_nc_u64 s[2:3], s[6:7], s[0:1]
	s_mov_b32 s4, exec_lo
	s_delay_alu instid0(VALU_DEP_1)
	v_cmpx_gt_i64_e64 s[2:3], v[2:3]
	s_cbranch_execz .LBB134_49
; %bb.35:
	s_mov_b32 s5, s1
	s_branch .LBB134_38
.LBB134_36:                             ;   in Loop: Header=BB134_38 Depth=1
	s_or_b32 exec_lo, exec_lo, s7
.LBB134_37:                             ;   in Loop: Header=BB134_38 Depth=1
	s_delay_alu instid0(SALU_CYCLE_1) | instskip(SKIP_4) | instid1(VALU_DEP_3)
	s_or_b32 exec_lo, exec_lo, s6
	s_wait_loadcnt 0x0
	v_mul_f32_e64 v1, v5, -s23
	v_dual_mul_f32 v5, s22, v5 :: v_dual_lshlrev_b32 v6, 3, v6
	v_add_nc_u64_e32 v[2:3], 0x400, v[2:3]
	v_fmac_f32_e32 v1, s22, v4
	s_delay_alu instid0(VALU_DEP_3) | instskip(NEXT) | instid1(VALU_DEP_4)
	v_add3_u32 v6, 0, v6, 0x20000
	v_fmac_f32_e32 v5, s23, v4
	ds_add_f32 v6, v1
	ds_add_f32 v6, v5 offset:4
	v_cmp_le_i64_e32 vcc_lo, s[2:3], v[2:3]
	s_or_b32 s5, vcc_lo, s5
	s_delay_alu instid0(SALU_CYCLE_1)
	s_and_not1_b32 exec_lo, exec_lo, s5
	s_cbranch_execz .LBB134_49
.LBB134_38:                             ; =>This Loop Header: Depth=1
                                        ;     Child Loop BB134_41 Depth 2
	v_lshlrev_b64_e32 v[4:5], 3, v[2:3]
	s_mov_b32 s6, exec_lo
	s_delay_alu instid0(VALU_DEP_1)
	v_add_nc_u64_e32 v[6:7], s[38:39], v[4:5]
	v_add_nc_u64_e32 v[4:5], s[40:41], v[4:5]
	global_load_b64 v[6:7], v[6:7], off
	global_load_b64 v[4:5], v[4:5], off
	s_wait_loadcnt 0x1
	v_sub_nc_u64_e64 v[8:9], v[6:7], s[0:1]
	s_delay_alu instid0(VALU_DEP_1) | instskip(NEXT) | instid1(VALU_DEP_1)
	v_mul_lo_u32 v1, 0x89, v8
	v_and_b32_e32 v6, 0x3fff, v1
	s_delay_alu instid0(VALU_DEP_1)
	v_lshl_add_u32 v1, v6, 3, 0
	ds_load_b64 v[12:13], v1
	s_wait_dscnt 0x0
	s_wait_xcnt 0x0
	v_cmpx_ne_u64_e64 v[12:13], v[8:9]
	s_cbranch_execz .LBB134_37
; %bb.39:                               ;   in Loop: Header=BB134_38 Depth=1
	s_mov_b32 s7, 0
                                        ; implicit-def: $sgpr8
                                        ; implicit-def: $sgpr9
	s_branch .LBB134_41
.LBB134_40:                             ;   in Loop: Header=BB134_41 Depth=2
	s_or_b32 exec_lo, exec_lo, s12
	s_delay_alu instid0(SALU_CYCLE_1) | instskip(NEXT) | instid1(SALU_CYCLE_1)
	s_and_b32 s10, exec_lo, s11
	s_or_b32 s7, s10, s7
	s_and_not1_b32 s8, s8, exec_lo
	s_and_b32 s10, s9, exec_lo
	s_delay_alu instid0(SALU_CYCLE_1)
	s_or_b32 s8, s8, s10
	s_and_not1_b32 exec_lo, exec_lo, s7
	s_cbranch_execz .LBB134_47
.LBB134_41:                             ;   Parent Loop BB134_38 Depth=1
                                        ; =>  This Inner Loop Header: Depth=2
	v_mov_b64_e32 v[10:11], v[6:7]
	s_mov_b32 s10, 0
	s_mov_b32 s11, exec_lo
                                        ; implicit-def: $vgpr6_vgpr7
	v_cmpx_ne_u64_e64 s[48:49], v[12:13]
	s_xor_b32 s11, exec_lo, s11
; %bb.42:                               ;   in Loop: Header=BB134_41 Depth=2
	s_delay_alu instid0(VALU_DEP_2) | instskip(SKIP_1) | instid1(VALU_DEP_1)
	v_add_nc_u32_e32 v1, 1, v10
	s_mov_b32 s10, exec_lo
	v_and_b32_e32 v6, 0x3fff, v1
                                        ; implicit-def: $vgpr1
; %bb.43:                               ;   in Loop: Header=BB134_41 Depth=2
	s_and_not1_saveexec_b32 s11, s11
	s_cbranch_execz .LBB134_45
; %bb.44:                               ;   in Loop: Header=BB134_41 Depth=2
	v_mov_b64_e32 v[6:7], s[48:49]
	s_and_not1_b32 s10, s10, exec_lo
	ds_cmpstore_rtn_b64 v[6:7], v1, v[8:9], v[6:7]
	s_wait_dscnt 0x0
	v_cmp_ne_u64_e32 vcc_lo, s[48:49], v[6:7]
	v_mov_b64_e32 v[6:7], v[10:11]
	s_and_b32 s12, vcc_lo, exec_lo
	s_delay_alu instid0(SALU_CYCLE_1)
	s_or_b32 s10, s10, s12
.LBB134_45:                             ;   in Loop: Header=BB134_41 Depth=2
	s_or_b32 exec_lo, exec_lo, s11
	s_mov_b32 s11, -1
	s_or_b32 s9, s9, exec_lo
                                        ; implicit-def: $vgpr1
                                        ; implicit-def: $vgpr12_vgpr13
	s_and_saveexec_b32 s12, s10
	s_cbranch_execz .LBB134_40
; %bb.46:                               ;   in Loop: Header=BB134_41 Depth=2
	v_lshl_add_u32 v1, v6, 3, 0
	s_and_not1_b32 s9, s9, exec_lo
	ds_load_b64 v[12:13], v1
	s_wait_dscnt 0x0
	v_cmp_eq_u64_e32 vcc_lo, v[12:13], v[8:9]
	s_or_not1_b32 s11, vcc_lo, exec_lo
	s_branch .LBB134_40
.LBB134_47:                             ;   in Loop: Header=BB134_38 Depth=1
	s_or_b32 exec_lo, exec_lo, s7
	s_and_saveexec_b32 s7, s8
	s_delay_alu instid0(SALU_CYCLE_1)
	s_xor_b32 s7, exec_lo, s7
	s_cbranch_execz .LBB134_36
; %bb.48:                               ;   in Loop: Header=BB134_38 Depth=1
	v_mov_b32_e32 v6, v10
	s_branch .LBB134_36
.LBB134_49:
	s_or_b32 exec_lo, exec_lo, s4
.LBB134_50:
	v_mbcnt_lo_u32_b32 v1, -1, 0
	v_lshrrev_b32_e32 v2, 2, v0
	v_mov_b64_e32 v[6:7], 0
	v_mov_b32_e32 v3, 0
	v_cmp_lt_u32_e64 s0, 31, v0
	v_xor_b32_e32 v1, 31, v1
	v_and_b32_e32 v2, 0xf8, v2
	v_cmp_lt_u32_e64 s1, 63, v0
	v_cmp_lt_u32_e64 s2, 0x5f, v0
	v_cmp_lt_u32_e64 s3, 0x7f, v0
	v_lshrrev_b32_e64 v4, v1, -1
	v_add3_u32 v1, 0x40000, 0, v2
	v_cmp_lt_u32_e64 s4, 0x9f, v0
	v_cmp_lt_u32_e64 s5, 0xbf, v0
	;; [unrolled: 1-line block ×27, first 2 shown]
	s_mov_b32 s33, 0
	s_add_co_i32 s36, 0, 0x40000
	s_add_co_i32 s37, 0, 0x40008
	;; [unrolled: 1-line block ×32, first 2 shown]
	s_wait_dscnt 0x0
	s_barrier_signal -1
	s_barrier_wait -1
	v_cmp_eq_u32_e32 vcc_lo, 0x3ff, v0
	s_branch .LBB134_52
.LBB134_51:                             ;   in Loop: Header=BB134_52 Depth=1
	s_or_b32 exec_lo, exec_lo, s31
	v_dual_mov_b32 v2, s74 :: v_dual_add_nc_u32 v21, 0x400, v21
	s_wait_dscnt 0x0
	s_barrier_signal -1
	s_barrier_wait -1
	ds_load_b64 v[8:9], v2
	v_cmp_lt_u32_e64 s31, 0x3bff, v21
	v_add_nc_u32_e32 v20, 0x2000, v20
	s_or_b32 s33, s31, s33
	s_wait_dscnt 0x0
	v_add_nc_u64_e32 v[6:7], v[8:9], v[6:7]
	s_and_not1_b32 exec_lo, exec_lo, s33
	s_cbranch_execz .LBB134_118
.LBB134_52:                             ; =>This Inner Loop Header: Depth=1
	ds_load_b64 v[8:9], v20
	v_add_nc_u32_e32 v2, 0x20000, v20
	ds_load_2addr_b32 v[10:11], v2 offset1:1
	s_wait_dscnt 0x0
	s_barrier_signal -1
	s_barrier_wait -1
	v_cmp_gt_i64_e64 s31, s[48:49], v[8:9]
	s_bcnt1_i32_b32 s75, s31
	s_delay_alu instid0(SALU_CYCLE_1) | instskip(NEXT) | instid1(VALU_DEP_1)
	v_dual_mov_b32 v2, s75 :: v_dual_bitop2_b32 v5, s31, v4 bitop3:0x40
	v_bcnt_u32_b32 v12, v5, 0
	ds_store_b64 v1, v[2:3]
	s_wait_dscnt 0x0
	s_barrier_signal -1
	s_barrier_wait -1
	s_and_saveexec_b32 s75, s0
	s_cbranch_execnz .LBB134_85
; %bb.53:                               ;   in Loop: Header=BB134_52 Depth=1
	s_or_b32 exec_lo, exec_lo, s75
	s_and_saveexec_b32 s75, s1
	s_cbranch_execnz .LBB134_86
.LBB134_54:                             ;   in Loop: Header=BB134_52 Depth=1
	s_or_b32 exec_lo, exec_lo, s75
	s_and_saveexec_b32 s75, s2
	s_cbranch_execnz .LBB134_87
.LBB134_55:                             ;   in Loop: Header=BB134_52 Depth=1
	s_or_b32 exec_lo, exec_lo, s75
	s_and_saveexec_b32 s75, s3
	s_cbranch_execnz .LBB134_88
.LBB134_56:                             ;   in Loop: Header=BB134_52 Depth=1
	s_or_b32 exec_lo, exec_lo, s75
	s_and_saveexec_b32 s75, s4
	s_cbranch_execnz .LBB134_89
.LBB134_57:                             ;   in Loop: Header=BB134_52 Depth=1
	s_or_b32 exec_lo, exec_lo, s75
	s_and_saveexec_b32 s75, s5
	s_cbranch_execnz .LBB134_90
.LBB134_58:                             ;   in Loop: Header=BB134_52 Depth=1
	s_or_b32 exec_lo, exec_lo, s75
	s_and_saveexec_b32 s75, s6
	s_cbranch_execnz .LBB134_91
.LBB134_59:                             ;   in Loop: Header=BB134_52 Depth=1
	s_or_b32 exec_lo, exec_lo, s75
	s_and_saveexec_b32 s75, s7
	s_cbranch_execnz .LBB134_92
.LBB134_60:                             ;   in Loop: Header=BB134_52 Depth=1
	s_or_b32 exec_lo, exec_lo, s75
	s_and_saveexec_b32 s75, s8
	s_cbranch_execnz .LBB134_93
.LBB134_61:                             ;   in Loop: Header=BB134_52 Depth=1
	s_or_b32 exec_lo, exec_lo, s75
	s_and_saveexec_b32 s75, s9
	s_cbranch_execnz .LBB134_94
.LBB134_62:                             ;   in Loop: Header=BB134_52 Depth=1
	s_or_b32 exec_lo, exec_lo, s75
	s_and_saveexec_b32 s75, s10
	s_cbranch_execnz .LBB134_95
.LBB134_63:                             ;   in Loop: Header=BB134_52 Depth=1
	s_or_b32 exec_lo, exec_lo, s75
	s_and_saveexec_b32 s75, s11
	s_cbranch_execnz .LBB134_96
.LBB134_64:                             ;   in Loop: Header=BB134_52 Depth=1
	s_or_b32 exec_lo, exec_lo, s75
	s_and_saveexec_b32 s75, s12
	s_cbranch_execnz .LBB134_97
.LBB134_65:                             ;   in Loop: Header=BB134_52 Depth=1
	s_or_b32 exec_lo, exec_lo, s75
	s_and_saveexec_b32 s75, s13
	s_cbranch_execnz .LBB134_98
.LBB134_66:                             ;   in Loop: Header=BB134_52 Depth=1
	s_or_b32 exec_lo, exec_lo, s75
	s_and_saveexec_b32 s75, s14
	s_cbranch_execnz .LBB134_99
.LBB134_67:                             ;   in Loop: Header=BB134_52 Depth=1
	s_or_b32 exec_lo, exec_lo, s75
	s_and_saveexec_b32 s75, s15
	s_cbranch_execnz .LBB134_100
.LBB134_68:                             ;   in Loop: Header=BB134_52 Depth=1
	s_or_b32 exec_lo, exec_lo, s75
	s_and_saveexec_b32 s75, s16
	s_cbranch_execnz .LBB134_101
.LBB134_69:                             ;   in Loop: Header=BB134_52 Depth=1
	s_or_b32 exec_lo, exec_lo, s75
	s_and_saveexec_b32 s75, s17
	s_cbranch_execnz .LBB134_102
.LBB134_70:                             ;   in Loop: Header=BB134_52 Depth=1
	s_or_b32 exec_lo, exec_lo, s75
	s_and_saveexec_b32 s75, s18
	s_cbranch_execnz .LBB134_103
.LBB134_71:                             ;   in Loop: Header=BB134_52 Depth=1
	s_or_b32 exec_lo, exec_lo, s75
	s_and_saveexec_b32 s75, s19
	s_cbranch_execnz .LBB134_104
.LBB134_72:                             ;   in Loop: Header=BB134_52 Depth=1
	s_or_b32 exec_lo, exec_lo, s75
	s_and_saveexec_b32 s75, s20
	s_cbranch_execnz .LBB134_105
.LBB134_73:                             ;   in Loop: Header=BB134_52 Depth=1
	s_or_b32 exec_lo, exec_lo, s75
	s_and_saveexec_b32 s75, s21
	s_cbranch_execnz .LBB134_106
.LBB134_74:                             ;   in Loop: Header=BB134_52 Depth=1
	s_or_b32 exec_lo, exec_lo, s75
	s_and_saveexec_b32 s75, s22
	s_cbranch_execnz .LBB134_107
.LBB134_75:                             ;   in Loop: Header=BB134_52 Depth=1
	s_or_b32 exec_lo, exec_lo, s75
	s_and_saveexec_b32 s75, s23
	s_cbranch_execnz .LBB134_108
.LBB134_76:                             ;   in Loop: Header=BB134_52 Depth=1
	s_or_b32 exec_lo, exec_lo, s75
	s_and_saveexec_b32 s75, s24
	s_cbranch_execnz .LBB134_109
.LBB134_77:                             ;   in Loop: Header=BB134_52 Depth=1
	s_or_b32 exec_lo, exec_lo, s75
	s_and_saveexec_b32 s75, s25
	s_cbranch_execnz .LBB134_110
.LBB134_78:                             ;   in Loop: Header=BB134_52 Depth=1
	s_or_b32 exec_lo, exec_lo, s75
	s_and_saveexec_b32 s75, s26
	s_cbranch_execnz .LBB134_111
.LBB134_79:                             ;   in Loop: Header=BB134_52 Depth=1
	s_or_b32 exec_lo, exec_lo, s75
	s_and_saveexec_b32 s75, s27
	s_cbranch_execnz .LBB134_112
.LBB134_80:                             ;   in Loop: Header=BB134_52 Depth=1
	s_or_b32 exec_lo, exec_lo, s75
	s_and_saveexec_b32 s75, s28
	s_cbranch_execnz .LBB134_113
.LBB134_81:                             ;   in Loop: Header=BB134_52 Depth=1
	s_or_b32 exec_lo, exec_lo, s75
	s_and_saveexec_b32 s75, s29
	s_cbranch_execnz .LBB134_114
.LBB134_82:                             ;   in Loop: Header=BB134_52 Depth=1
	s_or_b32 exec_lo, exec_lo, s75
	s_and_saveexec_b32 s75, s30
	s_cbranch_execnz .LBB134_115
.LBB134_83:                             ;   in Loop: Header=BB134_52 Depth=1
	s_or_b32 exec_lo, exec_lo, s75
	v_ashrrev_i32_e32 v13, 31, v12
	s_and_saveexec_b32 s75, s31
	s_cbranch_execnz .LBB134_116
.LBB134_84:                             ;   in Loop: Header=BB134_52 Depth=1
	s_or_b32 exec_lo, exec_lo, s75
	s_and_saveexec_b32 s31, vcc_lo
	s_cbranch_execz .LBB134_51
	s_branch .LBB134_117
.LBB134_85:                             ;   in Loop: Header=BB134_52 Depth=1
	v_mov_b32_e32 v2, s36
	ds_load_b32 v2, v2
	s_wait_dscnt 0x0
	v_add_nc_u32_e32 v12, v2, v12
	s_or_b32 exec_lo, exec_lo, s75
	s_and_saveexec_b32 s75, s1
	s_cbranch_execz .LBB134_54
.LBB134_86:                             ;   in Loop: Header=BB134_52 Depth=1
	v_mov_b32_e32 v2, s37
	ds_load_b32 v2, v2
	s_wait_dscnt 0x0
	v_add_nc_u32_e32 v12, v12, v2
	s_or_b32 exec_lo, exec_lo, s75
	s_and_saveexec_b32 s75, s2
	s_cbranch_execz .LBB134_55
.LBB134_87:                             ;   in Loop: Header=BB134_52 Depth=1
	v_mov_b32_e32 v2, s38
	ds_load_b32 v2, v2
	s_wait_dscnt 0x0
	v_add_nc_u32_e32 v12, v12, v2
	s_or_b32 exec_lo, exec_lo, s75
	s_and_saveexec_b32 s75, s3
	s_cbranch_execz .LBB134_56
.LBB134_88:                             ;   in Loop: Header=BB134_52 Depth=1
	v_mov_b32_e32 v2, s39
	ds_load_b32 v2, v2
	s_wait_dscnt 0x0
	v_add_nc_u32_e32 v12, v12, v2
	s_or_b32 exec_lo, exec_lo, s75
	s_and_saveexec_b32 s75, s4
	s_cbranch_execz .LBB134_57
.LBB134_89:                             ;   in Loop: Header=BB134_52 Depth=1
	v_mov_b32_e32 v2, s40
	ds_load_b32 v2, v2
	s_wait_dscnt 0x0
	v_add_nc_u32_e32 v12, v12, v2
	s_or_b32 exec_lo, exec_lo, s75
	s_and_saveexec_b32 s75, s5
	s_cbranch_execz .LBB134_58
.LBB134_90:                             ;   in Loop: Header=BB134_52 Depth=1
	v_mov_b32_e32 v2, s41
	ds_load_b32 v2, v2
	s_wait_dscnt 0x0
	v_add_nc_u32_e32 v12, v12, v2
	s_or_b32 exec_lo, exec_lo, s75
	s_and_saveexec_b32 s75, s6
	s_cbranch_execz .LBB134_59
.LBB134_91:                             ;   in Loop: Header=BB134_52 Depth=1
	v_mov_b32_e32 v2, s44
	ds_load_b32 v2, v2
	s_wait_dscnt 0x0
	v_add_nc_u32_e32 v12, v12, v2
	s_or_b32 exec_lo, exec_lo, s75
	s_and_saveexec_b32 s75, s7
	s_cbranch_execz .LBB134_60
.LBB134_92:                             ;   in Loop: Header=BB134_52 Depth=1
	v_mov_b32_e32 v2, s45
	ds_load_b32 v2, v2
	s_wait_dscnt 0x0
	v_add_nc_u32_e32 v12, v12, v2
	s_or_b32 exec_lo, exec_lo, s75
	s_and_saveexec_b32 s75, s8
	s_cbranch_execz .LBB134_61
.LBB134_93:                             ;   in Loop: Header=BB134_52 Depth=1
	v_mov_b32_e32 v2, s47
	ds_load_b32 v2, v2
	s_wait_dscnt 0x0
	v_add_nc_u32_e32 v12, v12, v2
	s_or_b32 exec_lo, exec_lo, s75
	s_and_saveexec_b32 s75, s9
	s_cbranch_execz .LBB134_62
.LBB134_94:                             ;   in Loop: Header=BB134_52 Depth=1
	v_mov_b32_e32 v2, s52
	ds_load_b32 v2, v2
	s_wait_dscnt 0x0
	v_add_nc_u32_e32 v12, v12, v2
	s_or_b32 exec_lo, exec_lo, s75
	s_and_saveexec_b32 s75, s10
	s_cbranch_execz .LBB134_63
.LBB134_95:                             ;   in Loop: Header=BB134_52 Depth=1
	v_mov_b32_e32 v2, s53
	ds_load_b32 v2, v2
	s_wait_dscnt 0x0
	v_add_nc_u32_e32 v12, v12, v2
	s_or_b32 exec_lo, exec_lo, s75
	s_and_saveexec_b32 s75, s11
	s_cbranch_execz .LBB134_64
.LBB134_96:                             ;   in Loop: Header=BB134_52 Depth=1
	v_mov_b32_e32 v2, s54
	ds_load_b32 v2, v2
	s_wait_dscnt 0x0
	v_add_nc_u32_e32 v12, v12, v2
	s_or_b32 exec_lo, exec_lo, s75
	s_and_saveexec_b32 s75, s12
	s_cbranch_execz .LBB134_65
.LBB134_97:                             ;   in Loop: Header=BB134_52 Depth=1
	v_mov_b32_e32 v2, s55
	ds_load_b32 v2, v2
	s_wait_dscnt 0x0
	v_add_nc_u32_e32 v12, v12, v2
	s_or_b32 exec_lo, exec_lo, s75
	s_and_saveexec_b32 s75, s13
	s_cbranch_execz .LBB134_66
.LBB134_98:                             ;   in Loop: Header=BB134_52 Depth=1
	v_mov_b32_e32 v2, s56
	ds_load_b32 v2, v2
	s_wait_dscnt 0x0
	v_add_nc_u32_e32 v12, v12, v2
	s_or_b32 exec_lo, exec_lo, s75
	s_and_saveexec_b32 s75, s14
	s_cbranch_execz .LBB134_67
.LBB134_99:                             ;   in Loop: Header=BB134_52 Depth=1
	v_mov_b32_e32 v2, s57
	ds_load_b32 v2, v2
	s_wait_dscnt 0x0
	v_add_nc_u32_e32 v12, v12, v2
	s_or_b32 exec_lo, exec_lo, s75
	s_and_saveexec_b32 s75, s15
	s_cbranch_execz .LBB134_68
.LBB134_100:                            ;   in Loop: Header=BB134_52 Depth=1
	v_mov_b32_e32 v2, s58
	ds_load_b32 v2, v2
	s_wait_dscnt 0x0
	v_add_nc_u32_e32 v12, v12, v2
	s_or_b32 exec_lo, exec_lo, s75
	s_and_saveexec_b32 s75, s16
	s_cbranch_execz .LBB134_69
.LBB134_101:                            ;   in Loop: Header=BB134_52 Depth=1
	v_mov_b32_e32 v2, s59
	ds_load_b32 v2, v2
	s_wait_dscnt 0x0
	v_add_nc_u32_e32 v12, v12, v2
	s_or_b32 exec_lo, exec_lo, s75
	s_and_saveexec_b32 s75, s17
	s_cbranch_execz .LBB134_70
.LBB134_102:                            ;   in Loop: Header=BB134_52 Depth=1
	v_mov_b32_e32 v2, s60
	ds_load_b32 v2, v2
	s_wait_dscnt 0x0
	v_add_nc_u32_e32 v12, v12, v2
	s_or_b32 exec_lo, exec_lo, s75
	s_and_saveexec_b32 s75, s18
	s_cbranch_execz .LBB134_71
.LBB134_103:                            ;   in Loop: Header=BB134_52 Depth=1
	v_mov_b32_e32 v2, s61
	ds_load_b32 v2, v2
	s_wait_dscnt 0x0
	v_add_nc_u32_e32 v12, v12, v2
	s_or_b32 exec_lo, exec_lo, s75
	s_and_saveexec_b32 s75, s19
	s_cbranch_execz .LBB134_72
.LBB134_104:                            ;   in Loop: Header=BB134_52 Depth=1
	v_mov_b32_e32 v2, s62
	ds_load_b32 v2, v2
	s_wait_dscnt 0x0
	v_add_nc_u32_e32 v12, v12, v2
	s_or_b32 exec_lo, exec_lo, s75
	s_and_saveexec_b32 s75, s20
	s_cbranch_execz .LBB134_73
.LBB134_105:                            ;   in Loop: Header=BB134_52 Depth=1
	v_mov_b32_e32 v2, s63
	ds_load_b32 v2, v2
	s_wait_dscnt 0x0
	v_add_nc_u32_e32 v12, v12, v2
	s_or_b32 exec_lo, exec_lo, s75
	s_and_saveexec_b32 s75, s21
	s_cbranch_execz .LBB134_74
.LBB134_106:                            ;   in Loop: Header=BB134_52 Depth=1
	v_mov_b32_e32 v2, s64
	ds_load_b32 v2, v2
	s_wait_dscnt 0x0
	v_add_nc_u32_e32 v12, v12, v2
	s_or_b32 exec_lo, exec_lo, s75
	s_and_saveexec_b32 s75, s22
	s_cbranch_execz .LBB134_75
.LBB134_107:                            ;   in Loop: Header=BB134_52 Depth=1
	v_mov_b32_e32 v2, s65
	ds_load_b32 v2, v2
	s_wait_dscnt 0x0
	v_add_nc_u32_e32 v12, v12, v2
	s_or_b32 exec_lo, exec_lo, s75
	s_and_saveexec_b32 s75, s23
	s_cbranch_execz .LBB134_76
.LBB134_108:                            ;   in Loop: Header=BB134_52 Depth=1
	v_mov_b32_e32 v2, s66
	ds_load_b32 v2, v2
	s_wait_dscnt 0x0
	v_add_nc_u32_e32 v12, v12, v2
	s_or_b32 exec_lo, exec_lo, s75
	s_and_saveexec_b32 s75, s24
	s_cbranch_execz .LBB134_77
.LBB134_109:                            ;   in Loop: Header=BB134_52 Depth=1
	v_mov_b32_e32 v2, s67
	ds_load_b32 v2, v2
	s_wait_dscnt 0x0
	v_add_nc_u32_e32 v12, v12, v2
	s_or_b32 exec_lo, exec_lo, s75
	s_and_saveexec_b32 s75, s25
	s_cbranch_execz .LBB134_78
.LBB134_110:                            ;   in Loop: Header=BB134_52 Depth=1
	v_mov_b32_e32 v2, s68
	ds_load_b32 v2, v2
	s_wait_dscnt 0x0
	v_add_nc_u32_e32 v12, v12, v2
	s_or_b32 exec_lo, exec_lo, s75
	s_and_saveexec_b32 s75, s26
	s_cbranch_execz .LBB134_79
.LBB134_111:                            ;   in Loop: Header=BB134_52 Depth=1
	v_mov_b32_e32 v2, s69
	ds_load_b32 v2, v2
	s_wait_dscnt 0x0
	v_add_nc_u32_e32 v12, v12, v2
	s_or_b32 exec_lo, exec_lo, s75
	s_and_saveexec_b32 s75, s27
	s_cbranch_execz .LBB134_80
.LBB134_112:                            ;   in Loop: Header=BB134_52 Depth=1
	v_mov_b32_e32 v2, s70
	ds_load_b32 v2, v2
	s_wait_dscnt 0x0
	v_add_nc_u32_e32 v12, v12, v2
	s_or_b32 exec_lo, exec_lo, s75
	s_and_saveexec_b32 s75, s28
	s_cbranch_execz .LBB134_81
.LBB134_113:                            ;   in Loop: Header=BB134_52 Depth=1
	v_mov_b32_e32 v2, s71
	ds_load_b32 v2, v2
	s_wait_dscnt 0x0
	v_add_nc_u32_e32 v12, v12, v2
	s_or_b32 exec_lo, exec_lo, s75
	s_and_saveexec_b32 s75, s29
	s_cbranch_execz .LBB134_82
.LBB134_114:                            ;   in Loop: Header=BB134_52 Depth=1
	v_mov_b32_e32 v2, s72
	ds_load_b32 v2, v2
	s_wait_dscnt 0x0
	v_add_nc_u32_e32 v12, v12, v2
	s_or_b32 exec_lo, exec_lo, s75
	s_and_saveexec_b32 s75, s30
	s_cbranch_execz .LBB134_83
.LBB134_115:                            ;   in Loop: Header=BB134_52 Depth=1
	v_mov_b32_e32 v2, s73
	ds_load_b32 v2, v2
	s_wait_dscnt 0x0
	v_add_nc_u32_e32 v12, v12, v2
	s_or_b32 exec_lo, exec_lo, s75
	s_delay_alu instid0(VALU_DEP_1)
	v_ashrrev_i32_e32 v13, 31, v12
	s_and_saveexec_b32 s75, s31
	s_cbranch_execz .LBB134_84
.LBB134_116:                            ;   in Loop: Header=BB134_52 Depth=1
	v_add3_u32 v2, v6, -1, v12
	s_delay_alu instid0(VALU_DEP_1) | instskip(NEXT) | instid1(VALU_DEP_1)
	v_lshl_add_u32 v2, v2, 3, 0
	v_add_nc_u32_e32 v5, 0x20000, v2
	ds_store_b64 v2, v[8:9]
	ds_store_2addr_b32 v5, v10, v11 offset1:1
	s_or_b32 exec_lo, exec_lo, s75
	s_and_saveexec_b32 s31, vcc_lo
	s_cbranch_execz .LBB134_51
.LBB134_117:                            ;   in Loop: Header=BB134_52 Depth=1
	v_mov_b32_e32 v2, s74
	ds_store_b64 v2, v[12:13]
	s_branch .LBB134_51
.LBB134_118:
	s_or_b32 exec_lo, exec_lo, s33
	s_wait_kmcnt 0x0
	s_lshl_b64 s[0:1], s[50:51], 3
	v_mov_b32_e32 v1, 0
	s_add_nc_u64 s[4:5], s[42:43], s[0:1]
	s_mov_b32 s6, exec_lo
	s_load_b128 s[0:3], s[4:5], 0x0
	s_wait_kmcnt 0x0
	s_sub_nc_u64 s[4:5], s[2:3], s[0:1]
	s_delay_alu instid0(SALU_CYCLE_1)
	v_cmpx_gt_i64_e64 s[4:5], v[0:1]
	s_cbranch_execz .LBB134_128
; %bb.119:
	s_sub_nc_u64 s[8:9], s[0:1], s[2:3]
	s_and_b64 s[6:7], s[4:5], 7
	v_cmp_lt_u64_e64 s10, s[8:9], -7
	s_and_b64 s[2:3], s[4:5], -8
	s_mov_b32 s47, 0
	s_cmp_lg_u64 s[6:7], 0
	s_sub_nc_u64 s[0:1], s[0:1], s[46:47]
	s_cselect_b32 s11, -1, 0
	s_mov_b32 s12, 0
	s_branch .LBB134_121
.LBB134_120:                            ;   in Loop: Header=BB134_121 Depth=1
	v_add_nc_u64_e32 v[0:1], 0x400, v[0:1]
	s_wait_dscnt 0x1
	s_delay_alu instid0(VALU_DEP_2)
	v_lshl_add_u64 v[4:5], v[6:7], 3, s[34:35]
	s_wait_dscnt 0x0
	global_store_b64 v[4:5], v[2:3], off
	v_cmp_le_i64_e32 vcc_lo, s[4:5], v[0:1]
	s_or_b32 s12, vcc_lo, s12
	s_wait_xcnt 0x0
	s_and_not1_b32 exec_lo, exec_lo, s12
	s_cbranch_execz .LBB134_128
.LBB134_121:                            ; =>This Loop Header: Depth=1
                                        ;     Child Loop BB134_123 Depth 2
                                        ;     Child Loop BB134_127 Depth 2
	v_lshl_add_u32 v2, v0, 3, 0
	v_mov_b64_e32 v[6:7], s[0:1]
	s_and_not1_b32 vcc_lo, exec_lo, s10
	s_mov_b64 s[8:9], 0
	s_delay_alu instid0(VALU_DEP_2)
	v_add_nc_u32_e32 v3, 0x20000, v2
	ds_load_b64 v[4:5], v2
	ds_load_2addr_b32 v[2:3], v3 offset1:1
	s_cbranch_vccnz .LBB134_125
; %bb.122:                              ;   in Loop: Header=BB134_121 Depth=1
	v_mov_b64_e32 v[6:7], s[0:1]
	s_mov_b32 s13, 0
.LBB134_123:                            ;   Parent Loop BB134_121 Depth=1
                                        ; =>  This Inner Loop Header: Depth=2
	s_delay_alu instid0(SALU_CYCLE_1)
	v_dual_mov_b32 v20, s13 :: v_dual_mov_b32 v17, s47
	v_mov_b32_e32 v19, s47
	s_add_nc_u64 s[8:9], s[8:9], 8
	s_add_co_i32 s13, s13, 64
	ds_load_2addr_b64 v[8:11], v20 offset1:1
	ds_load_2addr_b64 v[12:15], v20 offset0:2 offset1:3
	s_cmp_eq_u64 s[2:3], s[8:9]
	s_wait_dscnt 0x1
	v_cmp_gt_i64_e32 vcc_lo, v[4:5], v[8:9]
	v_cndmask_b32_e64 v16, 0, 1, vcc_lo
	v_cmp_gt_i64_e32 vcc_lo, v[4:5], v[10:11]
	s_delay_alu instid0(VALU_DEP_2) | instskip(SKIP_4) | instid1(VALU_DEP_2)
	v_add_nc_u64_e32 v[10:11], v[6:7], v[16:17]
	ds_load_2addr_b64 v[6:9], v20 offset0:4 offset1:5
	v_cndmask_b32_e64 v18, 0, 1, vcc_lo
	s_wait_dscnt 0x1
	v_cmp_gt_i64_e32 vcc_lo, v[4:5], v[12:13]
	v_add_nc_u64_e32 v[10:11], v[10:11], v[18:19]
	v_cndmask_b32_e64 v16, 0, 1, vcc_lo
	v_cmp_gt_i64_e32 vcc_lo, v[4:5], v[14:15]
	s_delay_alu instid0(VALU_DEP_2)
	v_add_nc_u64_e32 v[14:15], v[10:11], v[16:17]
	ds_load_2addr_b64 v[10:13], v20 offset0:6 offset1:7
	v_cndmask_b32_e64 v18, 0, 1, vcc_lo
	s_wait_dscnt 0x1
	v_cmp_gt_i64_e32 vcc_lo, v[4:5], v[6:7]
	v_mov_b32_e32 v7, s47
	s_delay_alu instid0(VALU_DEP_3) | instskip(SKIP_3) | instid1(VALU_DEP_3)
	v_add_nc_u64_e32 v[14:15], v[14:15], v[18:19]
	v_cndmask_b32_e64 v16, 0, 1, vcc_lo
	v_cmp_gt_i64_e32 vcc_lo, v[4:5], v[8:9]
	v_mov_b32_e32 v9, s47
	v_add_nc_u64_e32 v[14:15], v[14:15], v[16:17]
	v_cndmask_b32_e64 v6, 0, 1, vcc_lo
	s_wait_dscnt 0x0
	v_cmp_gt_i64_e32 vcc_lo, v[4:5], v[10:11]
	v_mov_b32_e32 v11, s47
	s_delay_alu instid0(VALU_DEP_3) | instskip(SKIP_2) | instid1(VALU_DEP_2)
	v_add_nc_u64_e32 v[6:7], v[14:15], v[6:7]
	v_cndmask_b32_e64 v8, 0, 1, vcc_lo
	v_cmp_gt_i64_e32 vcc_lo, v[4:5], v[12:13]
	v_add_nc_u64_e32 v[6:7], v[6:7], v[8:9]
	v_cndmask_b32_e64 v10, 0, 1, vcc_lo
	s_delay_alu instid0(VALU_DEP_1)
	v_add_nc_u64_e32 v[6:7], v[6:7], v[10:11]
	s_cbranch_scc0 .LBB134_123
; %bb.124:                              ;   in Loop: Header=BB134_121 Depth=1
	s_mov_b64 s[8:9], s[2:3]
.LBB134_125:                            ;   in Loop: Header=BB134_121 Depth=1
	s_and_not1_b32 vcc_lo, exec_lo, s11
	s_cbranch_vccnz .LBB134_120
; %bb.126:                              ;   in Loop: Header=BB134_121 Depth=1
	s_lshl_b32 s8, s8, 3
	s_delay_alu instid0(SALU_CYCLE_1)
	s_add_co_i32 s13, s8, 0
	s_mov_b64 s[8:9], s[6:7]
.LBB134_127:                            ;   Parent Loop BB134_121 Depth=1
                                        ; =>  This Inner Loop Header: Depth=2
	v_dual_mov_b32 v8, s13 :: v_dual_mov_b32 v11, s47
	s_add_nc_u64 s[8:9], s[8:9], -1
	s_add_co_i32 s13, s13, 8
	s_cmp_lg_u64 s[8:9], 0
	ds_load_b64 v[8:9], v8
	s_wait_dscnt 0x0
	v_cmp_gt_i64_e32 vcc_lo, v[4:5], v[8:9]
	v_cndmask_b32_e64 v10, 0, 1, vcc_lo
	s_delay_alu instid0(VALU_DEP_1)
	v_add_nc_u64_e32 v[6:7], v[6:7], v[10:11]
	s_cbranch_scc1 .LBB134_127
	s_branch .LBB134_120
.LBB134_128:
	s_endpgm
	.section	.rodata,"a",@progbits
	.p2align	6, 0x0
	.amdhsa_kernel _ZN9rocsparseL41csrgemm_numeric_fill_block_per_row_kernelILj1024ELj64ELj16384ELj137ELj32Ell21rocsparse_complex_numIfEEEvT5_PKS3_S5_NS_24const_host_device_scalarIT6_EEPKT4_S5_PKS7_SB_S5_SD_S8_SB_S5_SD_SB_S5_PS7_21rocsparse_index_base_SF_SF_SF_bbb
		.amdhsa_group_segment_fixed_size 0
		.amdhsa_private_segment_fixed_size 0
		.amdhsa_kernarg_size 156
		.amdhsa_user_sgpr_count 2
		.amdhsa_user_sgpr_dispatch_ptr 0
		.amdhsa_user_sgpr_queue_ptr 0
		.amdhsa_user_sgpr_kernarg_segment_ptr 1
		.amdhsa_user_sgpr_dispatch_id 0
		.amdhsa_user_sgpr_kernarg_preload_length 0
		.amdhsa_user_sgpr_kernarg_preload_offset 0
		.amdhsa_user_sgpr_private_segment_size 0
		.amdhsa_wavefront_size32 1
		.amdhsa_uses_dynamic_stack 0
		.amdhsa_enable_private_segment 0
		.amdhsa_system_sgpr_workgroup_id_x 1
		.amdhsa_system_sgpr_workgroup_id_y 0
		.amdhsa_system_sgpr_workgroup_id_z 0
		.amdhsa_system_sgpr_workgroup_info 0
		.amdhsa_system_vgpr_workitem_id 0
		.amdhsa_next_free_vgpr 24
		.amdhsa_next_free_sgpr 76
		.amdhsa_named_barrier_count 0
		.amdhsa_reserve_vcc 1
		.amdhsa_float_round_mode_32 0
		.amdhsa_float_round_mode_16_64 0
		.amdhsa_float_denorm_mode_32 3
		.amdhsa_float_denorm_mode_16_64 3
		.amdhsa_fp16_overflow 0
		.amdhsa_memory_ordered 1
		.amdhsa_forward_progress 1
		.amdhsa_inst_pref_size 37
		.amdhsa_round_robin_scheduling 0
		.amdhsa_exception_fp_ieee_invalid_op 0
		.amdhsa_exception_fp_denorm_src 0
		.amdhsa_exception_fp_ieee_div_zero 0
		.amdhsa_exception_fp_ieee_overflow 0
		.amdhsa_exception_fp_ieee_underflow 0
		.amdhsa_exception_fp_ieee_inexact 0
		.amdhsa_exception_int_div_zero 0
	.end_amdhsa_kernel
	.section	.text._ZN9rocsparseL41csrgemm_numeric_fill_block_per_row_kernelILj1024ELj64ELj16384ELj137ELj32Ell21rocsparse_complex_numIfEEEvT5_PKS3_S5_NS_24const_host_device_scalarIT6_EEPKT4_S5_PKS7_SB_S5_SD_S8_SB_S5_SD_SB_S5_PS7_21rocsparse_index_base_SF_SF_SF_bbb,"axG",@progbits,_ZN9rocsparseL41csrgemm_numeric_fill_block_per_row_kernelILj1024ELj64ELj16384ELj137ELj32Ell21rocsparse_complex_numIfEEEvT5_PKS3_S5_NS_24const_host_device_scalarIT6_EEPKT4_S5_PKS7_SB_S5_SD_S8_SB_S5_SD_SB_S5_PS7_21rocsparse_index_base_SF_SF_SF_bbb,comdat
.Lfunc_end134:
	.size	_ZN9rocsparseL41csrgemm_numeric_fill_block_per_row_kernelILj1024ELj64ELj16384ELj137ELj32Ell21rocsparse_complex_numIfEEEvT5_PKS3_S5_NS_24const_host_device_scalarIT6_EEPKT4_S5_PKS7_SB_S5_SD_S8_SB_S5_SD_SB_S5_PS7_21rocsparse_index_base_SF_SF_SF_bbb, .Lfunc_end134-_ZN9rocsparseL41csrgemm_numeric_fill_block_per_row_kernelILj1024ELj64ELj16384ELj137ELj32Ell21rocsparse_complex_numIfEEEvT5_PKS3_S5_NS_24const_host_device_scalarIT6_EEPKT4_S5_PKS7_SB_S5_SD_S8_SB_S5_SD_SB_S5_PS7_21rocsparse_index_base_SF_SF_SF_bbb
                                        ; -- End function
	.set _ZN9rocsparseL41csrgemm_numeric_fill_block_per_row_kernelILj1024ELj64ELj16384ELj137ELj32Ell21rocsparse_complex_numIfEEEvT5_PKS3_S5_NS_24const_host_device_scalarIT6_EEPKT4_S5_PKS7_SB_S5_SD_S8_SB_S5_SD_SB_S5_PS7_21rocsparse_index_base_SF_SF_SF_bbb.num_vgpr, 24
	.set _ZN9rocsparseL41csrgemm_numeric_fill_block_per_row_kernelILj1024ELj64ELj16384ELj137ELj32Ell21rocsparse_complex_numIfEEEvT5_PKS3_S5_NS_24const_host_device_scalarIT6_EEPKT4_S5_PKS7_SB_S5_SD_S8_SB_S5_SD_SB_S5_PS7_21rocsparse_index_base_SF_SF_SF_bbb.num_agpr, 0
	.set _ZN9rocsparseL41csrgemm_numeric_fill_block_per_row_kernelILj1024ELj64ELj16384ELj137ELj32Ell21rocsparse_complex_numIfEEEvT5_PKS3_S5_NS_24const_host_device_scalarIT6_EEPKT4_S5_PKS7_SB_S5_SD_S8_SB_S5_SD_SB_S5_PS7_21rocsparse_index_base_SF_SF_SF_bbb.numbered_sgpr, 76
	.set _ZN9rocsparseL41csrgemm_numeric_fill_block_per_row_kernelILj1024ELj64ELj16384ELj137ELj32Ell21rocsparse_complex_numIfEEEvT5_PKS3_S5_NS_24const_host_device_scalarIT6_EEPKT4_S5_PKS7_SB_S5_SD_S8_SB_S5_SD_SB_S5_PS7_21rocsparse_index_base_SF_SF_SF_bbb.num_named_barrier, 0
	.set _ZN9rocsparseL41csrgemm_numeric_fill_block_per_row_kernelILj1024ELj64ELj16384ELj137ELj32Ell21rocsparse_complex_numIfEEEvT5_PKS3_S5_NS_24const_host_device_scalarIT6_EEPKT4_S5_PKS7_SB_S5_SD_S8_SB_S5_SD_SB_S5_PS7_21rocsparse_index_base_SF_SF_SF_bbb.private_seg_size, 0
	.set _ZN9rocsparseL41csrgemm_numeric_fill_block_per_row_kernelILj1024ELj64ELj16384ELj137ELj32Ell21rocsparse_complex_numIfEEEvT5_PKS3_S5_NS_24const_host_device_scalarIT6_EEPKT4_S5_PKS7_SB_S5_SD_S8_SB_S5_SD_SB_S5_PS7_21rocsparse_index_base_SF_SF_SF_bbb.uses_vcc, 1
	.set _ZN9rocsparseL41csrgemm_numeric_fill_block_per_row_kernelILj1024ELj64ELj16384ELj137ELj32Ell21rocsparse_complex_numIfEEEvT5_PKS3_S5_NS_24const_host_device_scalarIT6_EEPKT4_S5_PKS7_SB_S5_SD_S8_SB_S5_SD_SB_S5_PS7_21rocsparse_index_base_SF_SF_SF_bbb.uses_flat_scratch, 0
	.set _ZN9rocsparseL41csrgemm_numeric_fill_block_per_row_kernelILj1024ELj64ELj16384ELj137ELj32Ell21rocsparse_complex_numIfEEEvT5_PKS3_S5_NS_24const_host_device_scalarIT6_EEPKT4_S5_PKS7_SB_S5_SD_S8_SB_S5_SD_SB_S5_PS7_21rocsparse_index_base_SF_SF_SF_bbb.has_dyn_sized_stack, 0
	.set _ZN9rocsparseL41csrgemm_numeric_fill_block_per_row_kernelILj1024ELj64ELj16384ELj137ELj32Ell21rocsparse_complex_numIfEEEvT5_PKS3_S5_NS_24const_host_device_scalarIT6_EEPKT4_S5_PKS7_SB_S5_SD_S8_SB_S5_SD_SB_S5_PS7_21rocsparse_index_base_SF_SF_SF_bbb.has_recursion, 0
	.set _ZN9rocsparseL41csrgemm_numeric_fill_block_per_row_kernelILj1024ELj64ELj16384ELj137ELj32Ell21rocsparse_complex_numIfEEEvT5_PKS3_S5_NS_24const_host_device_scalarIT6_EEPKT4_S5_PKS7_SB_S5_SD_S8_SB_S5_SD_SB_S5_PS7_21rocsparse_index_base_SF_SF_SF_bbb.has_indirect_call, 0
	.section	.AMDGPU.csdata,"",@progbits
; Kernel info:
; codeLenInByte = 4684
; TotalNumSgprs: 78
; NumVgprs: 24
; ScratchSize: 0
; MemoryBound: 0
; FloatMode: 240
; IeeeMode: 1
; LDSByteSize: 0 bytes/workgroup (compile time only)
; SGPRBlocks: 0
; VGPRBlocks: 1
; NumSGPRsForWavesPerEU: 78
; NumVGPRsForWavesPerEU: 24
; NamedBarCnt: 0
; Occupancy: 16
; WaveLimiterHint : 1
; COMPUTE_PGM_RSRC2:SCRATCH_EN: 0
; COMPUTE_PGM_RSRC2:USER_SGPR: 2
; COMPUTE_PGM_RSRC2:TRAP_HANDLER: 0
; COMPUTE_PGM_RSRC2:TGID_X_EN: 1
; COMPUTE_PGM_RSRC2:TGID_Y_EN: 0
; COMPUTE_PGM_RSRC2:TGID_Z_EN: 0
; COMPUTE_PGM_RSRC2:TIDIG_COMP_CNT: 0
	.section	.text._ZN9rocsparseL41csrgemm_numeric_fill_block_per_row_kernelILj1024ELj64ELj16384ELj137ELj64Ell21rocsparse_complex_numIfEEEvT5_PKS3_S5_NS_24const_host_device_scalarIT6_EEPKT4_S5_PKS7_SB_S5_SD_S8_SB_S5_SD_SB_S5_PS7_21rocsparse_index_base_SF_SF_SF_bbb,"axG",@progbits,_ZN9rocsparseL41csrgemm_numeric_fill_block_per_row_kernelILj1024ELj64ELj16384ELj137ELj64Ell21rocsparse_complex_numIfEEEvT5_PKS3_S5_NS_24const_host_device_scalarIT6_EEPKT4_S5_PKS7_SB_S5_SD_S8_SB_S5_SD_SB_S5_PS7_21rocsparse_index_base_SF_SF_SF_bbb,comdat
	.globl	_ZN9rocsparseL41csrgemm_numeric_fill_block_per_row_kernelILj1024ELj64ELj16384ELj137ELj64Ell21rocsparse_complex_numIfEEEvT5_PKS3_S5_NS_24const_host_device_scalarIT6_EEPKT4_S5_PKS7_SB_S5_SD_S8_SB_S5_SD_SB_S5_PS7_21rocsparse_index_base_SF_SF_SF_bbb ; -- Begin function _ZN9rocsparseL41csrgemm_numeric_fill_block_per_row_kernelILj1024ELj64ELj16384ELj137ELj64Ell21rocsparse_complex_numIfEEEvT5_PKS3_S5_NS_24const_host_device_scalarIT6_EEPKT4_S5_PKS7_SB_S5_SD_S8_SB_S5_SD_SB_S5_PS7_21rocsparse_index_base_SF_SF_SF_bbb
	.p2align	8
	.type	_ZN9rocsparseL41csrgemm_numeric_fill_block_per_row_kernelILj1024ELj64ELj16384ELj137ELj64Ell21rocsparse_complex_numIfEEEvT5_PKS3_S5_NS_24const_host_device_scalarIT6_EEPKT4_S5_PKS7_SB_S5_SD_S8_SB_S5_SD_SB_S5_PS7_21rocsparse_index_base_SF_SF_SF_bbb,@function
_ZN9rocsparseL41csrgemm_numeric_fill_block_per_row_kernelILj1024ELj64ELj16384ELj137ELj64Ell21rocsparse_complex_numIfEEEvT5_PKS3_S5_NS_24const_host_device_scalarIT6_EEPKT4_S5_PKS7_SB_S5_SD_S8_SB_S5_SD_SB_S5_PS7_21rocsparse_index_base_SF_SF_SF_bbb: ; @_ZN9rocsparseL41csrgemm_numeric_fill_block_per_row_kernelILj1024ELj64ELj16384ELj137ELj64Ell21rocsparse_complex_numIfEEEvT5_PKS3_S5_NS_24const_host_device_scalarIT6_EEPKT4_S5_PKS7_SB_S5_SD_S8_SB_S5_SD_SB_S5_PS7_21rocsparse_index_base_SF_SF_SF_bbb
; %bb.0:
	s_clause 0x3
	s_load_b32 s33, s[0:1], 0x98
	s_load_b128 s[20:23], s[0:1], 0x88
	s_load_b64 s[34:35], s[0:1], 0x8
	s_load_b64 s[30:31], s[0:1], 0x50
	s_mov_b32 s3, 0
	s_mov_b32 s39, 0
	s_wait_kmcnt 0x0
	s_bitcmp1_b32 s33, 0
	s_cselect_b32 s40, -1, 0
	s_bitcmp1_b32 s33, 16
	s_cselect_b32 s2, -1, 0
	s_delay_alu instid0(SALU_CYCLE_1) | instskip(SKIP_2) | instid1(VALU_DEP_1)
	s_xor_b32 s4, s2, -1
	s_bitcmp0_b32 s33, 0
	v_cndmask_b32_e64 v1, 0, 1, s4
	v_cmp_ne_u32_e32 vcc_lo, 1, v1
	s_cbranch_scc1 .LBB135_5
; %bb.1:
	s_load_b64 s[2:3], s[0:1], 0x18
	s_and_b32 vcc_lo, exec_lo, vcc_lo
	s_wait_kmcnt 0x0
	s_mov_b32 s39, s2
	s_cbranch_vccnz .LBB135_3
; %bb.2:
	s_load_b32 s39, s[2:3], 0x0
.LBB135_3:
	s_and_not1_b32 vcc_lo, exec_lo, s4
	s_cbranch_vccnz .LBB135_5
; %bb.4:
	s_wait_xcnt 0x0
	s_load_b32 s3, s[2:3], 0x4
.LBB135_5:
	s_clause 0x4
	s_load_b64 s[28:29], s[0:1], 0x80
	s_load_b256 s[12:19], s[0:1], 0x58
	s_load_b128 s[24:27], s[0:1], 0x40
	s_load_b64 s[36:37], s[0:1], 0x10
	s_load_b256 s[4:11], s[0:1], 0x20
	s_bitcmp1_b32 s33, 8
	s_wait_xcnt 0x0
	s_cselect_b32 s2, -1, 0
	s_bfe_u32 s38, s33, 0x10008
	s_mov_b32 s33, 0
	s_cmp_eq_u32 s38, 0
	s_mov_b32 s38, 0
	s_cbranch_scc1 .LBB135_11
; %bb.6:
	v_cmp_ne_u32_e32 vcc_lo, 1, v1
	s_mov_b32 s33, s30
	s_cbranch_vccnz .LBB135_8
; %bb.7:
	s_load_b32 s33, s[30:31], 0x0
.LBB135_8:
	v_cmp_ne_u32_e32 vcc_lo, 1, v1
	s_cbranch_vccnz .LBB135_10
; %bb.9:
	s_wait_xcnt 0x0
	s_load_b32 s31, s[30:31], 0x4
.LBB135_10:
	s_wait_kmcnt 0x0
	s_mov_b32 s38, s31
.LBB135_11:
	s_load_b64 s[30:31], s[0:1], 0x0
	v_lshl_add_u32 v22, v0, 3, 0
	v_or_b32_e32 v23, 0xfffffc00, v0
	v_mov_b32_e32 v1, 0
	s_wait_xcnt 0x0
	s_mov_b32 s0, 0
	s_delay_alu instid0(VALU_DEP_2)
	v_dual_mov_b32 v4, v22 :: v_dual_mov_b32 v5, v23
	s_wait_kmcnt 0x0
	v_mov_b64_e32 v[2:3], s[30:31]
.LBB135_12:                             ; =>This Inner Loop Header: Depth=1
	s_delay_alu instid0(VALU_DEP_2) | instskip(NEXT) | instid1(VALU_DEP_3)
	v_add_nc_u32_e32 v5, 0x400, v5
	v_add_nc_u32_e32 v6, 0x20000, v4
	ds_store_b64 v4, v[2:3]
	v_add_nc_u32_e32 v4, 0x2000, v4
	v_cmp_lt_u32_e32 vcc_lo, 0x3bff, v5
	ds_store_2addr_b32 v6, v1, v1 offset1:1
	s_or_b32 s0, vcc_lo, s0
	s_delay_alu instid0(SALU_CYCLE_1)
	s_and_not1_b32 exec_lo, exec_lo, s0
	s_cbranch_execnz .LBB135_12
; %bb.13:
	s_or_b32 exec_lo, exec_lo, s0
	s_wait_dscnt 0x0
	s_barrier_signal -1
	s_barrier_wait -1
	s_load_b64 s[0:1], s[34:35], 0x0
	s_wait_xcnt 0x0
	s_bfe_u32 s34, ttmp6, 0x4000c
	s_and_b32 s35, ttmp6, 15
	s_add_co_i32 s34, s34, 1
	s_getreg_b32 s41, hwreg(HW_REG_IB_STS2, 6, 4)
	s_mul_i32 s34, ttmp9, s34
	v_lshrrev_b32_e32 v2, 6, v0
	s_add_co_i32 s35, s35, s34
	s_wait_kmcnt 0x0
	s_lshl_b64 s[0:1], s[0:1], 3
	s_cmp_eq_u32 s41, 0
	s_add_nc_u64 s[0:1], s[36:37], s[0:1]
	s_cselect_b32 s34, ttmp9, s35
	s_and_b32 vcc_lo, exec_lo, s40
	s_load_b64 s[34:35], s[0:1], s34 offset:0x0 scale_offset
	s_wait_xcnt 0x0
	s_mov_b32 s1, 0
	s_cbranch_vccz .LBB135_33
; %bb.14:
	s_wait_kmcnt 0x0
	s_lshl_b64 s[36:37], s[34:35], 3
	v_mov_b32_e32 v3, 0
	s_add_nc_u64 s[4:5], s[4:5], s[36:37]
	s_mov_b32 s0, s20
	s_load_b128 s[40:43], s[4:5], 0x0
	s_mov_b32 s20, exec_lo
	v_sub_nc_u64_e64 v[4:5], v[2:3], s[0:1]
	s_wait_kmcnt 0x0
	s_delay_alu instid0(VALU_DEP_1)
	v_add_nc_u64_e32 v[4:5], s[40:41], v[4:5]
	s_sub_nc_u64 s[4:5], s[42:43], s[0:1]
	s_delay_alu instid0(VALU_DEP_1) | instid1(SALU_CYCLE_1)
	v_cmpx_gt_i64_e64 s[4:5], v[4:5]
	s_cbranch_execz .LBB135_32
; %bb.15:
	v_dual_mov_b32 v7, v3 :: v_dual_bitop2_b32 v6, 63, v0 bitop3:0x40
	s_mov_b32 s37, 0
	s_mov_b32 s36, s21
	;; [unrolled: 1-line block ×3, first 2 shown]
	s_delay_alu instid0(VALU_DEP_1)
	v_sub_nc_u64_e64 v[6:7], v[6:7], s[36:37]
	s_branch .LBB135_17
.LBB135_16:                             ;   in Loop: Header=BB135_17 Depth=1
	s_or_b32 exec_lo, exec_lo, s40
	v_add_nc_u64_e32 v[4:5], 16, v[4:5]
	s_delay_alu instid0(VALU_DEP_1) | instskip(SKIP_1) | instid1(SALU_CYCLE_1)
	v_cmp_le_i64_e32 vcc_lo, s[4:5], v[4:5]
	s_or_b32 s21, vcc_lo, s21
	s_and_not1_b32 exec_lo, exec_lo, s21
	s_cbranch_execz .LBB135_32
.LBB135_17:                             ; =>This Loop Header: Depth=1
                                        ;     Child Loop BB135_21 Depth 2
                                        ;       Child Loop BB135_24 Depth 3
	v_lshl_add_u64 v[8:9], v[4:5], 3, s[6:7]
	s_mov_b32 s40, exec_lo
	global_load_b64 v[8:9], v[8:9], off
	s_wait_loadcnt 0x0
	s_wait_xcnt 0x0
	v_sub_nc_u64_e64 v[8:9], v[8:9], s[0:1]
	s_delay_alu instid0(VALU_DEP_1)
	v_lshl_add_u64 v[8:9], v[8:9], 3, s[10:11]
	global_load_b128 v[10:13], v[8:9], off
	s_wait_loadcnt 0x0
	s_wait_xcnt 0x0
	v_sub_nc_u64_e64 v[8:9], v[12:13], s[36:37]
	v_add_nc_u64_e32 v[10:11], v[10:11], v[6:7]
	s_delay_alu instid0(VALU_DEP_1)
	v_cmpx_lt_i64_e64 v[10:11], v[8:9]
	s_cbranch_execz .LBB135_16
; %bb.18:                               ;   in Loop: Header=BB135_17 Depth=1
	v_lshl_add_u64 v[12:13], v[4:5], 3, s[8:9]
	s_mov_b32 s41, 0
	global_load_b64 v[12:13], v[12:13], off
	s_wait_loadcnt 0x0
	v_mul_f32_e64 v1, v13, -s3
	s_delay_alu instid0(VALU_DEP_1) | instskip(NEXT) | instid1(VALU_DEP_1)
	v_dual_mul_f32 v3, s39, v13 :: v_dual_fmac_f32 v1, s39, v12
	v_fmac_f32_e32 v3, s3, v12
	s_branch .LBB135_21
.LBB135_19:                             ;   in Loop: Header=BB135_21 Depth=2
	s_or_b32 exec_lo, exec_lo, s43
.LBB135_20:                             ;   in Loop: Header=BB135_21 Depth=2
	s_delay_alu instid0(SALU_CYCLE_1) | instskip(SKIP_4) | instid1(VALU_DEP_3)
	s_or_b32 exec_lo, exec_lo, s42
	s_wait_loadcnt 0x0
	v_dual_mul_f32 v15, v13, -v3 :: v_dual_lshlrev_b32 v14, 3, v14
	v_mul_f32_e32 v13, v1, v13
	v_add_nc_u64_e32 v[10:11], 64, v[10:11]
	v_fmac_f32_e32 v15, v1, v12
	s_delay_alu instid0(VALU_DEP_4) | instskip(NEXT) | instid1(VALU_DEP_4)
	v_add3_u32 v14, 0, v14, 0x20000
	v_fmac_f32_e32 v13, v3, v12
	ds_add_f32 v14, v15
	ds_add_f32 v14, v13 offset:4
	v_cmp_ge_i64_e32 vcc_lo, v[10:11], v[8:9]
	s_or_b32 s41, vcc_lo, s41
	s_delay_alu instid0(SALU_CYCLE_1)
	s_and_not1_b32 exec_lo, exec_lo, s41
	s_cbranch_execz .LBB135_16
.LBB135_21:                             ;   Parent Loop BB135_17 Depth=1
                                        ; =>  This Loop Header: Depth=2
                                        ;       Child Loop BB135_24 Depth 3
	s_wait_xcnt 0x0
	v_lshlrev_b64_e32 v[12:13], 3, v[10:11]
	s_mov_b32 s42, exec_lo
	s_delay_alu instid0(VALU_DEP_1)
	v_add_nc_u64_e32 v[14:15], s[24:25], v[12:13]
	v_add_nc_u64_e32 v[12:13], s[26:27], v[12:13]
	global_load_b64 v[14:15], v[14:15], off
	global_load_b64 v[12:13], v[12:13], off
	s_wait_loadcnt 0x1
	v_sub_nc_u64_e64 v[16:17], v[14:15], s[36:37]
	s_wait_xcnt 0x1
	s_delay_alu instid0(VALU_DEP_1) | instskip(NEXT) | instid1(VALU_DEP_1)
	v_mul_lo_u32 v14, 0x89, v16
	v_and_b32_e32 v14, 0x3fff, v14
	s_delay_alu instid0(VALU_DEP_1)
	v_lshl_add_u32 v24, v14, 3, 0
	ds_load_b64 v[20:21], v24
	s_wait_dscnt 0x0
	s_wait_xcnt 0x0
	v_cmpx_ne_u64_e64 v[20:21], v[16:17]
	s_cbranch_execz .LBB135_20
; %bb.22:                               ;   in Loop: Header=BB135_21 Depth=2
	s_mov_b32 s43, 0
                                        ; implicit-def: $sgpr44
                                        ; implicit-def: $sgpr45
	s_branch .LBB135_24
.LBB135_23:                             ;   in Loop: Header=BB135_24 Depth=3
	s_or_b32 exec_lo, exec_lo, s48
	s_delay_alu instid0(SALU_CYCLE_1) | instskip(NEXT) | instid1(SALU_CYCLE_1)
	s_and_b32 s46, exec_lo, s47
	s_or_b32 s43, s46, s43
	s_and_not1_b32 s44, s44, exec_lo
	s_and_b32 s46, s45, exec_lo
	s_delay_alu instid0(SALU_CYCLE_1)
	s_or_b32 s44, s44, s46
	s_and_not1_b32 exec_lo, exec_lo, s43
	s_cbranch_execz .LBB135_30
.LBB135_24:                             ;   Parent Loop BB135_17 Depth=1
                                        ;     Parent Loop BB135_21 Depth=2
                                        ; =>    This Inner Loop Header: Depth=3
	v_mov_b64_e32 v[18:19], v[14:15]
	s_mov_b32 s46, 0
	s_mov_b32 s47, exec_lo
                                        ; implicit-def: $vgpr14_vgpr15
	v_cmpx_ne_u64_e64 s[30:31], v[20:21]
	s_xor_b32 s47, exec_lo, s47
; %bb.25:                               ;   in Loop: Header=BB135_24 Depth=3
	s_delay_alu instid0(VALU_DEP_2) | instskip(SKIP_1) | instid1(VALU_DEP_1)
	v_add_nc_u32_e32 v14, 1, v18
	s_mov_b32 s46, exec_lo
                                        ; implicit-def: $vgpr24
	v_and_b32_e32 v14, 0x3fff, v14
; %bb.26:                               ;   in Loop: Header=BB135_24 Depth=3
	s_and_not1_saveexec_b32 s47, s47
	s_cbranch_execz .LBB135_28
; %bb.27:                               ;   in Loop: Header=BB135_24 Depth=3
	v_mov_b64_e32 v[14:15], s[30:31]
	s_and_not1_b32 s46, s46, exec_lo
	ds_cmpstore_rtn_b64 v[14:15], v24, v[16:17], v[14:15]
	s_wait_dscnt 0x0
	v_cmp_ne_u64_e32 vcc_lo, s[30:31], v[14:15]
	v_mov_b64_e32 v[14:15], v[18:19]
	s_and_b32 s48, vcc_lo, exec_lo
	s_delay_alu instid0(SALU_CYCLE_1)
	s_or_b32 s46, s46, s48
.LBB135_28:                             ;   in Loop: Header=BB135_24 Depth=3
	s_or_b32 exec_lo, exec_lo, s47
	s_mov_b32 s47, -1
	s_or_b32 s45, s45, exec_lo
                                        ; implicit-def: $vgpr24
                                        ; implicit-def: $vgpr20_vgpr21
	s_and_saveexec_b32 s48, s46
	s_cbranch_execz .LBB135_23
; %bb.29:                               ;   in Loop: Header=BB135_24 Depth=3
	v_lshl_add_u32 v24, v14, 3, 0
	s_and_not1_b32 s45, s45, exec_lo
	ds_load_b64 v[20:21], v24
	s_wait_dscnt 0x0
	v_cmp_eq_u64_e32 vcc_lo, v[20:21], v[16:17]
	s_or_not1_b32 s47, vcc_lo, exec_lo
	s_branch .LBB135_23
.LBB135_30:                             ;   in Loop: Header=BB135_21 Depth=2
	s_or_b32 exec_lo, exec_lo, s43
	s_and_saveexec_b32 s43, s44
	s_delay_alu instid0(SALU_CYCLE_1)
	s_xor_b32 s43, exec_lo, s43
	s_cbranch_execz .LBB135_19
; %bb.31:                               ;   in Loop: Header=BB135_21 Depth=2
	v_mov_b32_e32 v14, v18
	s_branch .LBB135_19
.LBB135_32:
	s_or_b32 exec_lo, exec_lo, s20
.LBB135_33:
	s_delay_alu instid0(SALU_CYCLE_1)
	s_and_not1_b32 vcc_lo, exec_lo, s2
	s_cbranch_vccnz .LBB135_50
; %bb.34:
	s_wait_kmcnt 0x0
	s_lshl_b64 s[0:1], s[34:35], 3
	v_mov_b32_e32 v1, 0
	s_add_nc_u64 s[0:1], s[12:13], s[0:1]
	s_load_b128 s[4:7], s[0:1], 0x0
	s_wait_xcnt 0x0
	s_mov_b32 s1, 0
	s_mov_b32 s0, s23
	s_delay_alu instid0(SALU_CYCLE_1) | instskip(SKIP_1) | instid1(VALU_DEP_1)
	v_sub_nc_u64_e64 v[4:5], v[0:1], s[0:1]
	s_wait_kmcnt 0x0
	v_add_nc_u64_e32 v[4:5], s[4:5], v[4:5]
	s_sub_nc_u64 s[2:3], s[6:7], s[0:1]
	s_mov_b32 s4, exec_lo
	s_delay_alu instid0(VALU_DEP_1)
	v_cmpx_gt_i64_e64 s[2:3], v[4:5]
	s_cbranch_execz .LBB135_49
; %bb.35:
	s_mov_b32 s5, s1
	s_branch .LBB135_38
.LBB135_36:                             ;   in Loop: Header=BB135_38 Depth=1
	s_or_b32 exec_lo, exec_lo, s7
.LBB135_37:                             ;   in Loop: Header=BB135_38 Depth=1
	s_delay_alu instid0(SALU_CYCLE_1) | instskip(SKIP_4) | instid1(VALU_DEP_3)
	s_or_b32 exec_lo, exec_lo, s6
	s_wait_loadcnt 0x0
	v_mul_f32_e64 v1, v7, -s38
	v_dual_lshlrev_b32 v3, 3, v8 :: v_dual_mul_f32 v7, s33, v7
	v_add_nc_u64_e32 v[4:5], 0x400, v[4:5]
	v_fmac_f32_e32 v1, s33, v6
	s_delay_alu instid0(VALU_DEP_3) | instskip(NEXT) | instid1(VALU_DEP_4)
	v_add3_u32 v3, 0, v3, 0x20000
	v_fmac_f32_e32 v7, s38, v6
	ds_add_f32 v3, v1
	ds_add_f32 v3, v7 offset:4
	v_cmp_le_i64_e32 vcc_lo, s[2:3], v[4:5]
	s_or_b32 s5, vcc_lo, s5
	s_delay_alu instid0(SALU_CYCLE_1)
	s_and_not1_b32 exec_lo, exec_lo, s5
	s_cbranch_execz .LBB135_49
.LBB135_38:                             ; =>This Loop Header: Depth=1
                                        ;     Child Loop BB135_41 Depth 2
	v_lshlrev_b64_e32 v[6:7], 3, v[4:5]
	s_mov_b32 s6, exec_lo
	s_delay_alu instid0(VALU_DEP_1)
	v_add_nc_u64_e32 v[8:9], s[14:15], v[6:7]
	v_add_nc_u64_e32 v[6:7], s[16:17], v[6:7]
	global_load_b64 v[8:9], v[8:9], off
	global_load_b64 v[6:7], v[6:7], off
	s_wait_loadcnt 0x1
	v_sub_nc_u64_e64 v[10:11], v[8:9], s[0:1]
	s_delay_alu instid0(VALU_DEP_1) | instskip(NEXT) | instid1(VALU_DEP_1)
	v_mul_lo_u32 v1, 0x89, v10
	v_and_b32_e32 v8, 0x3fff, v1
	s_delay_alu instid0(VALU_DEP_1)
	v_lshl_add_u32 v1, v8, 3, 0
	ds_load_b64 v[14:15], v1
	s_wait_dscnt 0x0
	s_wait_xcnt 0x0
	v_cmpx_ne_u64_e64 v[14:15], v[10:11]
	s_cbranch_execz .LBB135_37
; %bb.39:                               ;   in Loop: Header=BB135_38 Depth=1
	s_mov_b32 s7, 0
                                        ; implicit-def: $sgpr8
                                        ; implicit-def: $sgpr9
	s_branch .LBB135_41
.LBB135_40:                             ;   in Loop: Header=BB135_41 Depth=2
	s_or_b32 exec_lo, exec_lo, s12
	s_delay_alu instid0(SALU_CYCLE_1) | instskip(NEXT) | instid1(SALU_CYCLE_1)
	s_and_b32 s10, exec_lo, s11
	s_or_b32 s7, s10, s7
	s_and_not1_b32 s8, s8, exec_lo
	s_and_b32 s10, s9, exec_lo
	s_delay_alu instid0(SALU_CYCLE_1)
	s_or_b32 s8, s8, s10
	s_and_not1_b32 exec_lo, exec_lo, s7
	s_cbranch_execz .LBB135_47
.LBB135_41:                             ;   Parent Loop BB135_38 Depth=1
                                        ; =>  This Inner Loop Header: Depth=2
	v_mov_b64_e32 v[12:13], v[8:9]
	s_mov_b32 s10, 0
	s_mov_b32 s11, exec_lo
                                        ; implicit-def: $vgpr8_vgpr9
	v_cmpx_ne_u64_e64 s[30:31], v[14:15]
	s_xor_b32 s11, exec_lo, s11
; %bb.42:                               ;   in Loop: Header=BB135_41 Depth=2
	s_delay_alu instid0(VALU_DEP_2) | instskip(SKIP_1) | instid1(VALU_DEP_1)
	v_add_nc_u32_e32 v1, 1, v12
	s_mov_b32 s10, exec_lo
	v_and_b32_e32 v8, 0x3fff, v1
                                        ; implicit-def: $vgpr1
; %bb.43:                               ;   in Loop: Header=BB135_41 Depth=2
	s_and_not1_saveexec_b32 s11, s11
	s_cbranch_execz .LBB135_45
; %bb.44:                               ;   in Loop: Header=BB135_41 Depth=2
	v_mov_b64_e32 v[8:9], s[30:31]
	s_and_not1_b32 s10, s10, exec_lo
	ds_cmpstore_rtn_b64 v[8:9], v1, v[10:11], v[8:9]
	s_wait_dscnt 0x0
	v_cmp_ne_u64_e32 vcc_lo, s[30:31], v[8:9]
	v_mov_b64_e32 v[8:9], v[12:13]
	s_and_b32 s12, vcc_lo, exec_lo
	s_delay_alu instid0(SALU_CYCLE_1)
	s_or_b32 s10, s10, s12
.LBB135_45:                             ;   in Loop: Header=BB135_41 Depth=2
	s_or_b32 exec_lo, exec_lo, s11
	s_mov_b32 s11, -1
	s_or_b32 s9, s9, exec_lo
                                        ; implicit-def: $vgpr1
                                        ; implicit-def: $vgpr14_vgpr15
	s_and_saveexec_b32 s12, s10
	s_cbranch_execz .LBB135_40
; %bb.46:                               ;   in Loop: Header=BB135_41 Depth=2
	v_lshl_add_u32 v1, v8, 3, 0
	s_and_not1_b32 s9, s9, exec_lo
	ds_load_b64 v[14:15], v1
	s_wait_dscnt 0x0
	v_cmp_eq_u64_e32 vcc_lo, v[14:15], v[10:11]
	s_or_not1_b32 s11, vcc_lo, exec_lo
	s_branch .LBB135_40
.LBB135_47:                             ;   in Loop: Header=BB135_38 Depth=1
	s_or_b32 exec_lo, exec_lo, s7
	s_and_saveexec_b32 s7, s8
	s_delay_alu instid0(SALU_CYCLE_1)
	s_xor_b32 s7, exec_lo, s7
	s_cbranch_execz .LBB135_36
; %bb.48:                               ;   in Loop: Header=BB135_38 Depth=1
	v_mov_b32_e32 v8, v12
	s_branch .LBB135_36
.LBB135_49:
	s_or_b32 exec_lo, exec_lo, s4
.LBB135_50:
	v_mbcnt_lo_u32_b32 v1, -1, 0
	v_lshlrev_b32_e32 v2, 3, v2
	v_mov_b64_e32 v[6:7], 0
	s_add_co_i32 s38, 0, 0x40078
	s_delay_alu instid0(SALU_CYCLE_1)
	v_dual_mov_b32 v3, 0 :: v_dual_mov_b32 v5, s38
	v_xor_b32_e32 v4, 31, v1
	v_add3_u32 v1, 0x40000, 0, v2
	v_cmp_lt_u32_e64 s0, 63, v0
	v_cmp_lt_u32_e64 s1, 0x7f, v0
	;; [unrolled: 1-line block ×3, first 2 shown]
	v_lshrrev_b32_e64 v4, v4, -1
	v_cmp_lt_u32_e64 s3, 0xff, v0
	v_cmp_lt_u32_e64 s4, 0x13f, v0
	v_cmp_lt_u32_e64 s5, 0x17f, v0
	v_cmp_lt_u32_e64 s6, 0x1bf, v0
	v_cmp_lt_u32_e64 s7, 0x1ff, v0
	v_cmp_lt_u32_e64 s8, 0x23f, v0
	v_cmp_lt_u32_e64 s9, 0x27f, v0
	v_cmp_lt_u32_e64 s10, 0x2bf, v0
	v_cmp_lt_u32_e64 s11, 0x2ff, v0
	v_cmp_lt_u32_e64 s12, 0x33f, v0
	v_cmp_lt_u32_e64 s13, 0x37f, v0
	v_cmp_lt_u32_e64 s14, 0x3bf, v0
	s_mov_b32 s16, 0
	s_add_co_i32 s17, 0, 0x40000
	s_add_co_i32 s20, 0, 0x40008
	;; [unrolled: 1-line block ×15, first 2 shown]
	s_wait_dscnt 0x0
	s_barrier_signal -1
	s_barrier_wait -1
	v_cmp_eq_u32_e32 vcc_lo, 0x3ff, v0
	s_branch .LBB135_52
.LBB135_51:                             ;   in Loop: Header=BB135_52 Depth=1
	s_or_b32 exec_lo, exec_lo, s15
	s_wait_dscnt 0x0
	s_barrier_signal -1
	s_barrier_wait -1
	ds_load_b64 v[8:9], v5
	v_add_nc_u32_e32 v23, 0x400, v23
	v_add_nc_u32_e32 v22, 0x2000, v22
	s_delay_alu instid0(VALU_DEP_2)
	v_cmp_lt_u32_e64 s15, 0x3bff, v23
	s_or_b32 s16, s15, s16
	s_wait_dscnt 0x0
	v_add_nc_u64_e32 v[6:7], v[8:9], v[6:7]
	s_and_not1_b32 exec_lo, exec_lo, s16
	s_cbranch_execz .LBB135_86
.LBB135_52:                             ; =>This Inner Loop Header: Depth=1
	ds_load_b64 v[8:9], v22
	v_add_nc_u32_e32 v2, 0x20000, v22
	ds_load_2addr_b32 v[10:11], v2 offset1:1
	s_wait_dscnt 0x0
	s_barrier_signal -1
	s_barrier_wait -1
	v_cmp_gt_i64_e64 s15, s[30:31], v[8:9]
	s_bcnt1_i32_b32 s43, s15
	s_delay_alu instid0(SALU_CYCLE_1) | instskip(NEXT) | instid1(VALU_DEP_1)
	v_dual_mov_b32 v2, s43 :: v_dual_bitop2_b32 v12, s15, v4 bitop3:0x40
	v_bcnt_u32_b32 v12, v12, 0
	ds_store_b64 v1, v[2:3]
	s_wait_dscnt 0x0
	s_barrier_signal -1
	s_barrier_wait -1
	s_and_saveexec_b32 s43, s0
	s_cbranch_execnz .LBB135_69
; %bb.53:                               ;   in Loop: Header=BB135_52 Depth=1
	s_or_b32 exec_lo, exec_lo, s43
	s_and_saveexec_b32 s43, s1
	s_cbranch_execnz .LBB135_70
.LBB135_54:                             ;   in Loop: Header=BB135_52 Depth=1
	s_or_b32 exec_lo, exec_lo, s43
	s_and_saveexec_b32 s43, s2
	s_cbranch_execnz .LBB135_71
.LBB135_55:                             ;   in Loop: Header=BB135_52 Depth=1
	s_or_b32 exec_lo, exec_lo, s43
	s_and_saveexec_b32 s43, s3
	s_cbranch_execnz .LBB135_72
.LBB135_56:                             ;   in Loop: Header=BB135_52 Depth=1
	s_or_b32 exec_lo, exec_lo, s43
	s_and_saveexec_b32 s43, s4
	s_cbranch_execnz .LBB135_73
.LBB135_57:                             ;   in Loop: Header=BB135_52 Depth=1
	s_or_b32 exec_lo, exec_lo, s43
	s_and_saveexec_b32 s43, s5
	s_cbranch_execnz .LBB135_74
.LBB135_58:                             ;   in Loop: Header=BB135_52 Depth=1
	s_or_b32 exec_lo, exec_lo, s43
	s_and_saveexec_b32 s43, s6
	s_cbranch_execnz .LBB135_75
.LBB135_59:                             ;   in Loop: Header=BB135_52 Depth=1
	s_or_b32 exec_lo, exec_lo, s43
	s_and_saveexec_b32 s43, s7
	s_cbranch_execnz .LBB135_76
.LBB135_60:                             ;   in Loop: Header=BB135_52 Depth=1
	s_or_b32 exec_lo, exec_lo, s43
	s_and_saveexec_b32 s43, s8
	s_cbranch_execnz .LBB135_77
.LBB135_61:                             ;   in Loop: Header=BB135_52 Depth=1
	s_or_b32 exec_lo, exec_lo, s43
	s_and_saveexec_b32 s43, s9
	s_cbranch_execnz .LBB135_78
.LBB135_62:                             ;   in Loop: Header=BB135_52 Depth=1
	s_or_b32 exec_lo, exec_lo, s43
	s_and_saveexec_b32 s43, s10
	s_cbranch_execnz .LBB135_79
.LBB135_63:                             ;   in Loop: Header=BB135_52 Depth=1
	s_or_b32 exec_lo, exec_lo, s43
	s_and_saveexec_b32 s43, s11
	s_cbranch_execnz .LBB135_80
.LBB135_64:                             ;   in Loop: Header=BB135_52 Depth=1
	s_or_b32 exec_lo, exec_lo, s43
	s_and_saveexec_b32 s43, s12
	s_cbranch_execnz .LBB135_81
.LBB135_65:                             ;   in Loop: Header=BB135_52 Depth=1
	s_or_b32 exec_lo, exec_lo, s43
	s_and_saveexec_b32 s43, s13
	s_cbranch_execnz .LBB135_82
.LBB135_66:                             ;   in Loop: Header=BB135_52 Depth=1
	s_or_b32 exec_lo, exec_lo, s43
	s_and_saveexec_b32 s43, s14
	s_cbranch_execnz .LBB135_83
.LBB135_67:                             ;   in Loop: Header=BB135_52 Depth=1
	s_or_b32 exec_lo, exec_lo, s43
	v_ashrrev_i32_e32 v13, 31, v12
	s_and_saveexec_b32 s43, s15
	s_cbranch_execnz .LBB135_84
.LBB135_68:                             ;   in Loop: Header=BB135_52 Depth=1
	s_or_b32 exec_lo, exec_lo, s43
	s_and_saveexec_b32 s15, vcc_lo
	s_cbranch_execz .LBB135_51
	s_branch .LBB135_85
.LBB135_69:                             ;   in Loop: Header=BB135_52 Depth=1
	v_mov_b32_e32 v2, s17
	ds_load_b32 v2, v2
	s_wait_dscnt 0x0
	v_add_nc_u32_e32 v12, v2, v12
	s_or_b32 exec_lo, exec_lo, s43
	s_and_saveexec_b32 s43, s1
	s_cbranch_execz .LBB135_54
.LBB135_70:                             ;   in Loop: Header=BB135_52 Depth=1
	v_mov_b32_e32 v2, s20
	ds_load_b32 v2, v2
	s_wait_dscnt 0x0
	v_add_nc_u32_e32 v12, v12, v2
	s_or_b32 exec_lo, exec_lo, s43
	s_and_saveexec_b32 s43, s2
	s_cbranch_execz .LBB135_55
.LBB135_71:                             ;   in Loop: Header=BB135_52 Depth=1
	v_mov_b32_e32 v2, s21
	ds_load_b32 v2, v2
	s_wait_dscnt 0x0
	v_add_nc_u32_e32 v12, v12, v2
	s_or_b32 exec_lo, exec_lo, s43
	s_and_saveexec_b32 s43, s3
	s_cbranch_execz .LBB135_56
.LBB135_72:                             ;   in Loop: Header=BB135_52 Depth=1
	v_mov_b32_e32 v2, s23
	ds_load_b32 v2, v2
	s_wait_dscnt 0x0
	v_add_nc_u32_e32 v12, v12, v2
	s_or_b32 exec_lo, exec_lo, s43
	s_and_saveexec_b32 s43, s4
	s_cbranch_execz .LBB135_57
.LBB135_73:                             ;   in Loop: Header=BB135_52 Depth=1
	v_mov_b32_e32 v2, s24
	ds_load_b32 v2, v2
	s_wait_dscnt 0x0
	v_add_nc_u32_e32 v12, v12, v2
	s_or_b32 exec_lo, exec_lo, s43
	s_and_saveexec_b32 s43, s5
	s_cbranch_execz .LBB135_58
.LBB135_74:                             ;   in Loop: Header=BB135_52 Depth=1
	v_mov_b32_e32 v2, s25
	ds_load_b32 v2, v2
	s_wait_dscnt 0x0
	v_add_nc_u32_e32 v12, v12, v2
	s_or_b32 exec_lo, exec_lo, s43
	s_and_saveexec_b32 s43, s6
	s_cbranch_execz .LBB135_59
.LBB135_75:                             ;   in Loop: Header=BB135_52 Depth=1
	v_mov_b32_e32 v2, s26
	ds_load_b32 v2, v2
	s_wait_dscnt 0x0
	v_add_nc_u32_e32 v12, v12, v2
	s_or_b32 exec_lo, exec_lo, s43
	s_and_saveexec_b32 s43, s7
	s_cbranch_execz .LBB135_60
.LBB135_76:                             ;   in Loop: Header=BB135_52 Depth=1
	v_mov_b32_e32 v2, s27
	ds_load_b32 v2, v2
	s_wait_dscnt 0x0
	v_add_nc_u32_e32 v12, v12, v2
	s_or_b32 exec_lo, exec_lo, s43
	s_and_saveexec_b32 s43, s8
	s_cbranch_execz .LBB135_61
.LBB135_77:                             ;   in Loop: Header=BB135_52 Depth=1
	v_mov_b32_e32 v2, s33
	ds_load_b32 v2, v2
	s_wait_dscnt 0x0
	v_add_nc_u32_e32 v12, v12, v2
	s_or_b32 exec_lo, exec_lo, s43
	s_and_saveexec_b32 s43, s9
	s_cbranch_execz .LBB135_62
.LBB135_78:                             ;   in Loop: Header=BB135_52 Depth=1
	v_mov_b32_e32 v2, s36
	ds_load_b32 v2, v2
	s_wait_dscnt 0x0
	v_add_nc_u32_e32 v12, v12, v2
	s_or_b32 exec_lo, exec_lo, s43
	s_and_saveexec_b32 s43, s10
	s_cbranch_execz .LBB135_63
.LBB135_79:                             ;   in Loop: Header=BB135_52 Depth=1
	v_mov_b32_e32 v2, s37
	ds_load_b32 v2, v2
	s_wait_dscnt 0x0
	v_add_nc_u32_e32 v12, v12, v2
	s_or_b32 exec_lo, exec_lo, s43
	s_and_saveexec_b32 s43, s11
	s_cbranch_execz .LBB135_64
.LBB135_80:                             ;   in Loop: Header=BB135_52 Depth=1
	v_mov_b32_e32 v2, s39
	ds_load_b32 v2, v2
	s_wait_dscnt 0x0
	v_add_nc_u32_e32 v12, v12, v2
	s_or_b32 exec_lo, exec_lo, s43
	s_and_saveexec_b32 s43, s12
	s_cbranch_execz .LBB135_65
.LBB135_81:                             ;   in Loop: Header=BB135_52 Depth=1
	v_mov_b32_e32 v2, s40
	ds_load_b32 v2, v2
	s_wait_dscnt 0x0
	v_add_nc_u32_e32 v12, v12, v2
	s_or_b32 exec_lo, exec_lo, s43
	s_and_saveexec_b32 s43, s13
	s_cbranch_execz .LBB135_66
.LBB135_82:                             ;   in Loop: Header=BB135_52 Depth=1
	v_mov_b32_e32 v2, s41
	ds_load_b32 v2, v2
	s_wait_dscnt 0x0
	v_add_nc_u32_e32 v12, v12, v2
	s_or_b32 exec_lo, exec_lo, s43
	s_and_saveexec_b32 s43, s14
	s_cbranch_execz .LBB135_67
.LBB135_83:                             ;   in Loop: Header=BB135_52 Depth=1
	v_mov_b32_e32 v2, s42
	ds_load_b32 v2, v2
	s_wait_dscnt 0x0
	v_add_nc_u32_e32 v12, v12, v2
	s_or_b32 exec_lo, exec_lo, s43
	s_delay_alu instid0(VALU_DEP_1)
	v_ashrrev_i32_e32 v13, 31, v12
	s_and_saveexec_b32 s43, s15
	s_cbranch_execz .LBB135_68
.LBB135_84:                             ;   in Loop: Header=BB135_52 Depth=1
	v_add3_u32 v2, v6, -1, v12
	s_delay_alu instid0(VALU_DEP_1) | instskip(NEXT) | instid1(VALU_DEP_1)
	v_lshl_add_u32 v2, v2, 3, 0
	v_add_nc_u32_e32 v14, 0x20000, v2
	ds_store_b64 v2, v[8:9]
	ds_store_2addr_b32 v14, v10, v11 offset1:1
	s_or_b32 exec_lo, exec_lo, s43
	s_and_saveexec_b32 s15, vcc_lo
	s_cbranch_execz .LBB135_51
.LBB135_85:                             ;   in Loop: Header=BB135_52 Depth=1
	v_mov_b32_e32 v2, s38
	ds_store_b64 v2, v[12:13]
	s_branch .LBB135_51
.LBB135_86:
	s_or_b32 exec_lo, exec_lo, s16
	s_wait_kmcnt 0x0
	s_lshl_b64 s[0:1], s[34:35], 3
	v_mov_b32_e32 v1, 0
	s_add_nc_u64 s[4:5], s[18:19], s[0:1]
	s_mov_b32 s6, exec_lo
	s_load_b128 s[0:3], s[4:5], 0x0
	s_wait_kmcnt 0x0
	s_sub_nc_u64 s[4:5], s[2:3], s[0:1]
	s_delay_alu instid0(SALU_CYCLE_1)
	v_cmpx_gt_i64_e64 s[4:5], v[0:1]
	s_cbranch_execz .LBB135_96
; %bb.87:
	s_sub_nc_u64 s[8:9], s[0:1], s[2:3]
	s_and_b64 s[6:7], s[4:5], 7
	v_cmp_lt_u64_e64 s10, s[8:9], -7
	s_and_b64 s[2:3], s[4:5], -8
	s_mov_b32 s23, 0
	s_cmp_lg_u64 s[6:7], 0
	s_sub_nc_u64 s[0:1], s[0:1], s[22:23]
	s_cselect_b32 s11, -1, 0
	s_mov_b32 s12, 0
	s_branch .LBB135_89
.LBB135_88:                             ;   in Loop: Header=BB135_89 Depth=1
	v_add_nc_u64_e32 v[0:1], 0x400, v[0:1]
	s_wait_dscnt 0x1
	s_delay_alu instid0(VALU_DEP_2)
	v_lshl_add_u64 v[4:5], v[6:7], 3, s[28:29]
	s_wait_dscnt 0x0
	global_store_b64 v[4:5], v[2:3], off
	v_cmp_le_i64_e32 vcc_lo, s[4:5], v[0:1]
	s_or_b32 s12, vcc_lo, s12
	s_wait_xcnt 0x0
	s_and_not1_b32 exec_lo, exec_lo, s12
	s_cbranch_execz .LBB135_96
.LBB135_89:                             ; =>This Loop Header: Depth=1
                                        ;     Child Loop BB135_91 Depth 2
                                        ;     Child Loop BB135_95 Depth 2
	v_lshl_add_u32 v2, v0, 3, 0
	v_mov_b64_e32 v[6:7], s[0:1]
	s_and_not1_b32 vcc_lo, exec_lo, s10
	s_mov_b64 s[8:9], 0
	s_delay_alu instid0(VALU_DEP_2)
	v_add_nc_u32_e32 v3, 0x20000, v2
	ds_load_b64 v[4:5], v2
	ds_load_2addr_b32 v[2:3], v3 offset1:1
	s_cbranch_vccnz .LBB135_93
; %bb.90:                               ;   in Loop: Header=BB135_89 Depth=1
	v_mov_b64_e32 v[6:7], s[0:1]
	s_mov_b32 s13, 0
.LBB135_91:                             ;   Parent Loop BB135_89 Depth=1
                                        ; =>  This Inner Loop Header: Depth=2
	s_delay_alu instid0(SALU_CYCLE_1)
	v_dual_mov_b32 v20, s13 :: v_dual_mov_b32 v17, s23
	v_mov_b32_e32 v19, s23
	s_add_nc_u64 s[8:9], s[8:9], 8
	s_add_co_i32 s13, s13, 64
	ds_load_2addr_b64 v[8:11], v20 offset1:1
	ds_load_2addr_b64 v[12:15], v20 offset0:2 offset1:3
	s_cmp_eq_u64 s[2:3], s[8:9]
	s_wait_dscnt 0x1
	v_cmp_gt_i64_e32 vcc_lo, v[4:5], v[8:9]
	v_cndmask_b32_e64 v16, 0, 1, vcc_lo
	v_cmp_gt_i64_e32 vcc_lo, v[4:5], v[10:11]
	s_delay_alu instid0(VALU_DEP_2) | instskip(SKIP_4) | instid1(VALU_DEP_2)
	v_add_nc_u64_e32 v[10:11], v[6:7], v[16:17]
	ds_load_2addr_b64 v[6:9], v20 offset0:4 offset1:5
	v_cndmask_b32_e64 v18, 0, 1, vcc_lo
	s_wait_dscnt 0x1
	v_cmp_gt_i64_e32 vcc_lo, v[4:5], v[12:13]
	v_add_nc_u64_e32 v[10:11], v[10:11], v[18:19]
	v_cndmask_b32_e64 v16, 0, 1, vcc_lo
	v_cmp_gt_i64_e32 vcc_lo, v[4:5], v[14:15]
	s_delay_alu instid0(VALU_DEP_2)
	v_add_nc_u64_e32 v[14:15], v[10:11], v[16:17]
	ds_load_2addr_b64 v[10:13], v20 offset0:6 offset1:7
	v_cndmask_b32_e64 v18, 0, 1, vcc_lo
	s_wait_dscnt 0x1
	v_cmp_gt_i64_e32 vcc_lo, v[4:5], v[6:7]
	v_mov_b32_e32 v7, s23
	s_delay_alu instid0(VALU_DEP_3) | instskip(SKIP_3) | instid1(VALU_DEP_3)
	v_add_nc_u64_e32 v[14:15], v[14:15], v[18:19]
	v_cndmask_b32_e64 v16, 0, 1, vcc_lo
	v_cmp_gt_i64_e32 vcc_lo, v[4:5], v[8:9]
	v_mov_b32_e32 v9, s23
	v_add_nc_u64_e32 v[14:15], v[14:15], v[16:17]
	v_cndmask_b32_e64 v6, 0, 1, vcc_lo
	s_wait_dscnt 0x0
	v_cmp_gt_i64_e32 vcc_lo, v[4:5], v[10:11]
	v_mov_b32_e32 v11, s23
	s_delay_alu instid0(VALU_DEP_3) | instskip(SKIP_2) | instid1(VALU_DEP_2)
	v_add_nc_u64_e32 v[6:7], v[14:15], v[6:7]
	v_cndmask_b32_e64 v8, 0, 1, vcc_lo
	v_cmp_gt_i64_e32 vcc_lo, v[4:5], v[12:13]
	v_add_nc_u64_e32 v[6:7], v[6:7], v[8:9]
	v_cndmask_b32_e64 v10, 0, 1, vcc_lo
	s_delay_alu instid0(VALU_DEP_1)
	v_add_nc_u64_e32 v[6:7], v[6:7], v[10:11]
	s_cbranch_scc0 .LBB135_91
; %bb.92:                               ;   in Loop: Header=BB135_89 Depth=1
	s_mov_b64 s[8:9], s[2:3]
.LBB135_93:                             ;   in Loop: Header=BB135_89 Depth=1
	s_and_not1_b32 vcc_lo, exec_lo, s11
	s_cbranch_vccnz .LBB135_88
; %bb.94:                               ;   in Loop: Header=BB135_89 Depth=1
	s_lshl_b32 s8, s8, 3
	s_delay_alu instid0(SALU_CYCLE_1)
	s_add_co_i32 s13, s8, 0
	s_mov_b64 s[8:9], s[6:7]
.LBB135_95:                             ;   Parent Loop BB135_89 Depth=1
                                        ; =>  This Inner Loop Header: Depth=2
	v_dual_mov_b32 v8, s13 :: v_dual_mov_b32 v11, s23
	s_add_nc_u64 s[8:9], s[8:9], -1
	s_add_co_i32 s13, s13, 8
	s_cmp_lg_u64 s[8:9], 0
	ds_load_b64 v[8:9], v8
	s_wait_dscnt 0x0
	v_cmp_gt_i64_e32 vcc_lo, v[4:5], v[8:9]
	v_cndmask_b32_e64 v10, 0, 1, vcc_lo
	s_delay_alu instid0(VALU_DEP_1)
	v_add_nc_u64_e32 v[6:7], v[6:7], v[10:11]
	s_cbranch_scc1 .LBB135_95
	s_branch .LBB135_88
.LBB135_96:
	s_endpgm
	.section	.rodata,"a",@progbits
	.p2align	6, 0x0
	.amdhsa_kernel _ZN9rocsparseL41csrgemm_numeric_fill_block_per_row_kernelILj1024ELj64ELj16384ELj137ELj64Ell21rocsparse_complex_numIfEEEvT5_PKS3_S5_NS_24const_host_device_scalarIT6_EEPKT4_S5_PKS7_SB_S5_SD_S8_SB_S5_SD_SB_S5_PS7_21rocsparse_index_base_SF_SF_SF_bbb
		.amdhsa_group_segment_fixed_size 0
		.amdhsa_private_segment_fixed_size 0
		.amdhsa_kernarg_size 156
		.amdhsa_user_sgpr_count 2
		.amdhsa_user_sgpr_dispatch_ptr 0
		.amdhsa_user_sgpr_queue_ptr 0
		.amdhsa_user_sgpr_kernarg_segment_ptr 1
		.amdhsa_user_sgpr_dispatch_id 0
		.amdhsa_user_sgpr_kernarg_preload_length 0
		.amdhsa_user_sgpr_kernarg_preload_offset 0
		.amdhsa_user_sgpr_private_segment_size 0
		.amdhsa_wavefront_size32 1
		.amdhsa_uses_dynamic_stack 0
		.amdhsa_enable_private_segment 0
		.amdhsa_system_sgpr_workgroup_id_x 1
		.amdhsa_system_sgpr_workgroup_id_y 0
		.amdhsa_system_sgpr_workgroup_id_z 0
		.amdhsa_system_sgpr_workgroup_info 0
		.amdhsa_system_vgpr_workitem_id 0
		.amdhsa_next_free_vgpr 25
		.amdhsa_next_free_sgpr 49
		.amdhsa_named_barrier_count 0
		.amdhsa_reserve_vcc 1
		.amdhsa_float_round_mode_32 0
		.amdhsa_float_round_mode_16_64 0
		.amdhsa_float_denorm_mode_32 3
		.amdhsa_float_denorm_mode_16_64 3
		.amdhsa_fp16_overflow 0
		.amdhsa_memory_ordered 1
		.amdhsa_forward_progress 1
		.amdhsa_inst_pref_size 29
		.amdhsa_round_robin_scheduling 0
		.amdhsa_exception_fp_ieee_invalid_op 0
		.amdhsa_exception_fp_denorm_src 0
		.amdhsa_exception_fp_ieee_div_zero 0
		.amdhsa_exception_fp_ieee_overflow 0
		.amdhsa_exception_fp_ieee_underflow 0
		.amdhsa_exception_fp_ieee_inexact 0
		.amdhsa_exception_int_div_zero 0
	.end_amdhsa_kernel
	.section	.text._ZN9rocsparseL41csrgemm_numeric_fill_block_per_row_kernelILj1024ELj64ELj16384ELj137ELj64Ell21rocsparse_complex_numIfEEEvT5_PKS3_S5_NS_24const_host_device_scalarIT6_EEPKT4_S5_PKS7_SB_S5_SD_S8_SB_S5_SD_SB_S5_PS7_21rocsparse_index_base_SF_SF_SF_bbb,"axG",@progbits,_ZN9rocsparseL41csrgemm_numeric_fill_block_per_row_kernelILj1024ELj64ELj16384ELj137ELj64Ell21rocsparse_complex_numIfEEEvT5_PKS3_S5_NS_24const_host_device_scalarIT6_EEPKT4_S5_PKS7_SB_S5_SD_S8_SB_S5_SD_SB_S5_PS7_21rocsparse_index_base_SF_SF_SF_bbb,comdat
.Lfunc_end135:
	.size	_ZN9rocsparseL41csrgemm_numeric_fill_block_per_row_kernelILj1024ELj64ELj16384ELj137ELj64Ell21rocsparse_complex_numIfEEEvT5_PKS3_S5_NS_24const_host_device_scalarIT6_EEPKT4_S5_PKS7_SB_S5_SD_S8_SB_S5_SD_SB_S5_PS7_21rocsparse_index_base_SF_SF_SF_bbb, .Lfunc_end135-_ZN9rocsparseL41csrgemm_numeric_fill_block_per_row_kernelILj1024ELj64ELj16384ELj137ELj64Ell21rocsparse_complex_numIfEEEvT5_PKS3_S5_NS_24const_host_device_scalarIT6_EEPKT4_S5_PKS7_SB_S5_SD_S8_SB_S5_SD_SB_S5_PS7_21rocsparse_index_base_SF_SF_SF_bbb
                                        ; -- End function
	.set _ZN9rocsparseL41csrgemm_numeric_fill_block_per_row_kernelILj1024ELj64ELj16384ELj137ELj64Ell21rocsparse_complex_numIfEEEvT5_PKS3_S5_NS_24const_host_device_scalarIT6_EEPKT4_S5_PKS7_SB_S5_SD_S8_SB_S5_SD_SB_S5_PS7_21rocsparse_index_base_SF_SF_SF_bbb.num_vgpr, 25
	.set _ZN9rocsparseL41csrgemm_numeric_fill_block_per_row_kernelILj1024ELj64ELj16384ELj137ELj64Ell21rocsparse_complex_numIfEEEvT5_PKS3_S5_NS_24const_host_device_scalarIT6_EEPKT4_S5_PKS7_SB_S5_SD_S8_SB_S5_SD_SB_S5_PS7_21rocsparse_index_base_SF_SF_SF_bbb.num_agpr, 0
	.set _ZN9rocsparseL41csrgemm_numeric_fill_block_per_row_kernelILj1024ELj64ELj16384ELj137ELj64Ell21rocsparse_complex_numIfEEEvT5_PKS3_S5_NS_24const_host_device_scalarIT6_EEPKT4_S5_PKS7_SB_S5_SD_S8_SB_S5_SD_SB_S5_PS7_21rocsparse_index_base_SF_SF_SF_bbb.numbered_sgpr, 49
	.set _ZN9rocsparseL41csrgemm_numeric_fill_block_per_row_kernelILj1024ELj64ELj16384ELj137ELj64Ell21rocsparse_complex_numIfEEEvT5_PKS3_S5_NS_24const_host_device_scalarIT6_EEPKT4_S5_PKS7_SB_S5_SD_S8_SB_S5_SD_SB_S5_PS7_21rocsparse_index_base_SF_SF_SF_bbb.num_named_barrier, 0
	.set _ZN9rocsparseL41csrgemm_numeric_fill_block_per_row_kernelILj1024ELj64ELj16384ELj137ELj64Ell21rocsparse_complex_numIfEEEvT5_PKS3_S5_NS_24const_host_device_scalarIT6_EEPKT4_S5_PKS7_SB_S5_SD_S8_SB_S5_SD_SB_S5_PS7_21rocsparse_index_base_SF_SF_SF_bbb.private_seg_size, 0
	.set _ZN9rocsparseL41csrgemm_numeric_fill_block_per_row_kernelILj1024ELj64ELj16384ELj137ELj64Ell21rocsparse_complex_numIfEEEvT5_PKS3_S5_NS_24const_host_device_scalarIT6_EEPKT4_S5_PKS7_SB_S5_SD_S8_SB_S5_SD_SB_S5_PS7_21rocsparse_index_base_SF_SF_SF_bbb.uses_vcc, 1
	.set _ZN9rocsparseL41csrgemm_numeric_fill_block_per_row_kernelILj1024ELj64ELj16384ELj137ELj64Ell21rocsparse_complex_numIfEEEvT5_PKS3_S5_NS_24const_host_device_scalarIT6_EEPKT4_S5_PKS7_SB_S5_SD_S8_SB_S5_SD_SB_S5_PS7_21rocsparse_index_base_SF_SF_SF_bbb.uses_flat_scratch, 0
	.set _ZN9rocsparseL41csrgemm_numeric_fill_block_per_row_kernelILj1024ELj64ELj16384ELj137ELj64Ell21rocsparse_complex_numIfEEEvT5_PKS3_S5_NS_24const_host_device_scalarIT6_EEPKT4_S5_PKS7_SB_S5_SD_S8_SB_S5_SD_SB_S5_PS7_21rocsparse_index_base_SF_SF_SF_bbb.has_dyn_sized_stack, 0
	.set _ZN9rocsparseL41csrgemm_numeric_fill_block_per_row_kernelILj1024ELj64ELj16384ELj137ELj64Ell21rocsparse_complex_numIfEEEvT5_PKS3_S5_NS_24const_host_device_scalarIT6_EEPKT4_S5_PKS7_SB_S5_SD_S8_SB_S5_SD_SB_S5_PS7_21rocsparse_index_base_SF_SF_SF_bbb.has_recursion, 0
	.set _ZN9rocsparseL41csrgemm_numeric_fill_block_per_row_kernelILj1024ELj64ELj16384ELj137ELj64Ell21rocsparse_complex_numIfEEEvT5_PKS3_S5_NS_24const_host_device_scalarIT6_EEPKT4_S5_PKS7_SB_S5_SD_S8_SB_S5_SD_SB_S5_PS7_21rocsparse_index_base_SF_SF_SF_bbb.has_indirect_call, 0
	.section	.AMDGPU.csdata,"",@progbits
; Kernel info:
; codeLenInByte = 3680
; TotalNumSgprs: 51
; NumVgprs: 25
; ScratchSize: 0
; MemoryBound: 0
; FloatMode: 240
; IeeeMode: 1
; LDSByteSize: 0 bytes/workgroup (compile time only)
; SGPRBlocks: 0
; VGPRBlocks: 1
; NumSGPRsForWavesPerEU: 51
; NumVGPRsForWavesPerEU: 25
; NamedBarCnt: 0
; Occupancy: 16
; WaveLimiterHint : 1
; COMPUTE_PGM_RSRC2:SCRATCH_EN: 0
; COMPUTE_PGM_RSRC2:USER_SGPR: 2
; COMPUTE_PGM_RSRC2:TRAP_HANDLER: 0
; COMPUTE_PGM_RSRC2:TGID_X_EN: 1
; COMPUTE_PGM_RSRC2:TGID_Y_EN: 0
; COMPUTE_PGM_RSRC2:TGID_Z_EN: 0
; COMPUTE_PGM_RSRC2:TIDIG_COMP_CNT: 0
	.section	.text._ZN9rocsparseL41csrgemm_numeric_fill_block_per_row_kernelILj1024ELj64ELj32768ELj137ELj32Ell21rocsparse_complex_numIfEEEvT5_PKS3_S5_NS_24const_host_device_scalarIT6_EEPKT4_S5_PKS7_SB_S5_SD_S8_SB_S5_SD_SB_S5_PS7_21rocsparse_index_base_SF_SF_SF_bbb,"axG",@progbits,_ZN9rocsparseL41csrgemm_numeric_fill_block_per_row_kernelILj1024ELj64ELj32768ELj137ELj32Ell21rocsparse_complex_numIfEEEvT5_PKS3_S5_NS_24const_host_device_scalarIT6_EEPKT4_S5_PKS7_SB_S5_SD_S8_SB_S5_SD_SB_S5_PS7_21rocsparse_index_base_SF_SF_SF_bbb,comdat
	.globl	_ZN9rocsparseL41csrgemm_numeric_fill_block_per_row_kernelILj1024ELj64ELj32768ELj137ELj32Ell21rocsparse_complex_numIfEEEvT5_PKS3_S5_NS_24const_host_device_scalarIT6_EEPKT4_S5_PKS7_SB_S5_SD_S8_SB_S5_SD_SB_S5_PS7_21rocsparse_index_base_SF_SF_SF_bbb ; -- Begin function _ZN9rocsparseL41csrgemm_numeric_fill_block_per_row_kernelILj1024ELj64ELj32768ELj137ELj32Ell21rocsparse_complex_numIfEEEvT5_PKS3_S5_NS_24const_host_device_scalarIT6_EEPKT4_S5_PKS7_SB_S5_SD_S8_SB_S5_SD_SB_S5_PS7_21rocsparse_index_base_SF_SF_SF_bbb
	.p2align	8
	.type	_ZN9rocsparseL41csrgemm_numeric_fill_block_per_row_kernelILj1024ELj64ELj32768ELj137ELj32Ell21rocsparse_complex_numIfEEEvT5_PKS3_S5_NS_24const_host_device_scalarIT6_EEPKT4_S5_PKS7_SB_S5_SD_S8_SB_S5_SD_SB_S5_PS7_21rocsparse_index_base_SF_SF_SF_bbb,@function
_ZN9rocsparseL41csrgemm_numeric_fill_block_per_row_kernelILj1024ELj64ELj32768ELj137ELj32Ell21rocsparse_complex_numIfEEEvT5_PKS3_S5_NS_24const_host_device_scalarIT6_EEPKT4_S5_PKS7_SB_S5_SD_S8_SB_S5_SD_SB_S5_PS7_21rocsparse_index_base_SF_SF_SF_bbb: ; @_ZN9rocsparseL41csrgemm_numeric_fill_block_per_row_kernelILj1024ELj64ELj32768ELj137ELj32Ell21rocsparse_complex_numIfEEEvT5_PKS3_S5_NS_24const_host_device_scalarIT6_EEPKT4_S5_PKS7_SB_S5_SD_S8_SB_S5_SD_SB_S5_PS7_21rocsparse_index_base_SF_SF_SF_bbb
; %bb.0:
	s_clause 0x3
	s_load_b32 s22, s[0:1], 0x98
	s_load_b128 s[44:47], s[0:1], 0x88
	s_load_b64 s[16:17], s[0:1], 0x8
	s_load_b64 s[20:21], s[0:1], 0x50
	s_mov_b32 s3, 0
	s_mov_b32 s24, 0
	s_wait_kmcnt 0x0
	s_bitcmp1_b32 s22, 0
	s_cselect_b32 s25, -1, 0
	s_bitcmp1_b32 s22, 16
	s_cselect_b32 s2, -1, 0
	s_delay_alu instid0(SALU_CYCLE_1) | instskip(SKIP_2) | instid1(VALU_DEP_1)
	s_xor_b32 s4, s2, -1
	s_bitcmp0_b32 s22, 0
	v_cndmask_b32_e64 v1, 0, 1, s4
	v_cmp_ne_u32_e32 vcc_lo, 1, v1
	s_cbranch_scc1 .LBB136_5
; %bb.1:
	s_load_b64 s[2:3], s[0:1], 0x18
	s_and_b32 vcc_lo, exec_lo, vcc_lo
	s_wait_kmcnt 0x0
	s_mov_b32 s24, s2
	s_cbranch_vccnz .LBB136_3
; %bb.2:
	s_load_b32 s24, s[2:3], 0x0
.LBB136_3:
	s_and_not1_b32 vcc_lo, exec_lo, s4
	s_cbranch_vccnz .LBB136_5
; %bb.4:
	s_wait_xcnt 0x0
	s_load_b32 s3, s[2:3], 0x4
.LBB136_5:
	s_clause 0x4
	s_load_b64 s[34:35], s[0:1], 0x80
	s_load_b256 s[36:43], s[0:1], 0x58
	s_load_b128 s[12:15], s[0:1], 0x40
	s_load_b64 s[18:19], s[0:1], 0x10
	s_load_b256 s[4:11], s[0:1], 0x20
	s_bitcmp1_b32 s22, 8
	s_wait_xcnt 0x0
	s_cselect_b32 s2, -1, 0
	s_bfe_u32 s23, s22, 0x10008
	s_mov_b32 s22, 0
	s_cmp_eq_u32 s23, 0
	s_mov_b32 s23, 0
	s_cbranch_scc1 .LBB136_11
; %bb.6:
	v_cmp_ne_u32_e32 vcc_lo, 1, v1
	s_mov_b32 s22, s20
	s_cbranch_vccnz .LBB136_8
; %bb.7:
	s_load_b32 s22, s[20:21], 0x0
.LBB136_8:
	v_cmp_ne_u32_e32 vcc_lo, 1, v1
	s_cbranch_vccnz .LBB136_10
; %bb.9:
	s_wait_xcnt 0x0
	s_load_b32 s21, s[20:21], 0x4
.LBB136_10:
	s_wait_kmcnt 0x0
	s_mov_b32 s23, s21
.LBB136_11:
	s_load_b64 s[48:49], s[0:1], 0x0
	v_lshl_add_u32 v20, v0, 3, 0
	v_or_b32_e32 v21, 0xfffffc00, v0
	v_mov_b32_e32 v1, 0
	s_wait_xcnt 0x0
	s_mov_b32 s0, 0
	s_delay_alu instid0(VALU_DEP_2)
	v_dual_mov_b32 v4, v20 :: v_dual_mov_b32 v5, v21
	s_wait_kmcnt 0x0
	v_mov_b64_e32 v[2:3], s[48:49]
.LBB136_12:                             ; =>This Inner Loop Header: Depth=1
	s_delay_alu instid0(VALU_DEP_2) | instskip(NEXT) | instid1(VALU_DEP_3)
	v_add_nc_u32_e32 v5, 0x400, v5
	v_add_nc_u32_e32 v6, 0x40000, v4
	ds_store_b64 v4, v[2:3]
	v_add_nc_u32_e32 v4, 0x2000, v4
	v_cmp_lt_u32_e32 vcc_lo, 0x7bff, v5
	ds_store_2addr_b32 v6, v1, v1 offset1:1
	s_or_b32 s0, vcc_lo, s0
	s_delay_alu instid0(SALU_CYCLE_1)
	s_and_not1_b32 exec_lo, exec_lo, s0
	s_cbranch_execnz .LBB136_12
; %bb.13:
	s_or_b32 exec_lo, exec_lo, s0
	s_wait_dscnt 0x0
	s_barrier_signal -1
	s_barrier_wait -1
	s_load_b64 s[0:1], s[16:17], 0x0
	s_wait_xcnt 0x0
	s_bfe_u32 s16, ttmp6, 0x4000c
	s_and_b32 s17, ttmp6, 15
	s_add_co_i32 s16, s16, 1
	s_getreg_b32 s20, hwreg(HW_REG_IB_STS2, 6, 4)
	s_mul_i32 s16, ttmp9, s16
	s_delay_alu instid0(SALU_CYCLE_1)
	s_add_co_i32 s17, s17, s16
	s_wait_kmcnt 0x0
	s_lshl_b64 s[0:1], s[0:1], 3
	s_cmp_eq_u32 s20, 0
	s_add_nc_u64 s[0:1], s[18:19], s[0:1]
	s_cselect_b32 s16, ttmp9, s17
	s_and_b32 vcc_lo, exec_lo, s25
	s_load_b64 s[50:51], s[0:1], s16 offset:0x0 scale_offset
	s_wait_xcnt 0x0
	s_mov_b32 s1, 0
	s_cbranch_vccz .LBB136_33
; %bb.14:
	s_wait_kmcnt 0x0
	s_lshl_b64 s[16:17], s[50:51], 3
	v_dual_mov_b32 v5, 0 :: v_dual_lshrrev_b32 v4, 6, v0
	s_add_nc_u64 s[4:5], s[4:5], s[16:17]
	s_mov_b32 s0, s44
	s_load_b128 s[16:19], s[4:5], 0x0
	s_delay_alu instid0(VALU_DEP_1) | instskip(SKIP_1) | instid1(VALU_DEP_1)
	v_sub_nc_u64_e64 v[2:3], v[4:5], s[0:1]
	s_wait_kmcnt 0x0
	v_add_nc_u64_e32 v[2:3], s[16:17], v[2:3]
	s_sub_nc_u64 s[4:5], s[18:19], s[0:1]
	s_mov_b32 s18, exec_lo
	s_delay_alu instid0(VALU_DEP_1)
	v_cmpx_gt_i64_e64 s[4:5], v[2:3]
	s_cbranch_execz .LBB136_32
; %bb.15:
	v_and_b32_e32 v4, 63, v0
	s_mov_b32 s17, 0
	s_mov_b32 s16, s45
	;; [unrolled: 1-line block ×3, first 2 shown]
	s_delay_alu instid0(VALU_DEP_1)
	v_sub_nc_u64_e64 v[4:5], v[4:5], s[16:17]
	s_branch .LBB136_17
.LBB136_16:                             ;   in Loop: Header=BB136_17 Depth=1
	s_or_b32 exec_lo, exec_lo, s20
	v_add_nc_u64_e32 v[2:3], 16, v[2:3]
	s_delay_alu instid0(VALU_DEP_1) | instskip(SKIP_1) | instid1(SALU_CYCLE_1)
	v_cmp_le_i64_e32 vcc_lo, s[4:5], v[2:3]
	s_or_b32 s19, vcc_lo, s19
	s_and_not1_b32 exec_lo, exec_lo, s19
	s_cbranch_execz .LBB136_32
.LBB136_17:                             ; =>This Loop Header: Depth=1
                                        ;     Child Loop BB136_21 Depth 2
                                        ;       Child Loop BB136_24 Depth 3
	v_lshl_add_u64 v[6:7], v[2:3], 3, s[6:7]
	s_mov_b32 s20, exec_lo
	global_load_b64 v[6:7], v[6:7], off
	s_wait_loadcnt 0x0
	s_wait_xcnt 0x0
	v_sub_nc_u64_e64 v[6:7], v[6:7], s[0:1]
	s_delay_alu instid0(VALU_DEP_1)
	v_lshl_add_u64 v[6:7], v[6:7], 3, s[10:11]
	global_load_b128 v[8:11], v[6:7], off
	s_wait_loadcnt 0x0
	s_wait_xcnt 0x0
	v_sub_nc_u64_e64 v[6:7], v[10:11], s[16:17]
	v_add_nc_u64_e32 v[8:9], v[8:9], v[4:5]
	s_delay_alu instid0(VALU_DEP_1)
	v_cmpx_lt_i64_e64 v[8:9], v[6:7]
	s_cbranch_execz .LBB136_16
; %bb.18:                               ;   in Loop: Header=BB136_17 Depth=1
	v_lshl_add_u64 v[10:11], v[2:3], 3, s[8:9]
	s_mov_b32 s21, 0
	global_load_b64 v[10:11], v[10:11], off
	s_wait_loadcnt 0x0
	v_mul_f32_e64 v1, v11, -s3
	s_delay_alu instid0(VALU_DEP_1) | instskip(NEXT) | instid1(VALU_DEP_1)
	v_dual_mul_f32 v22, s24, v11 :: v_dual_fmac_f32 v1, s24, v10
	v_fmac_f32_e32 v22, s3, v10
	s_branch .LBB136_21
.LBB136_19:                             ;   in Loop: Header=BB136_21 Depth=2
	s_or_b32 exec_lo, exec_lo, s26
.LBB136_20:                             ;   in Loop: Header=BB136_21 Depth=2
	s_delay_alu instid0(SALU_CYCLE_1) | instskip(SKIP_4) | instid1(VALU_DEP_3)
	s_or_b32 exec_lo, exec_lo, s25
	s_wait_loadcnt 0x0
	v_dual_mul_f32 v13, v11, -v22 :: v_dual_lshlrev_b32 v12, 3, v12
	v_mul_f32_e32 v11, v1, v11
	v_add_nc_u64_e32 v[8:9], 64, v[8:9]
	v_fmac_f32_e32 v13, v1, v10
	s_delay_alu instid0(VALU_DEP_4) | instskip(NEXT) | instid1(VALU_DEP_4)
	v_add3_u32 v12, 0, v12, 0x40000
	v_fmac_f32_e32 v11, v22, v10
	ds_add_f32 v12, v13
	ds_add_f32 v12, v11 offset:4
	v_cmp_ge_i64_e32 vcc_lo, v[8:9], v[6:7]
	s_or_b32 s21, vcc_lo, s21
	s_delay_alu instid0(SALU_CYCLE_1)
	s_and_not1_b32 exec_lo, exec_lo, s21
	s_cbranch_execz .LBB136_16
.LBB136_21:                             ;   Parent Loop BB136_17 Depth=1
                                        ; =>  This Loop Header: Depth=2
                                        ;       Child Loop BB136_24 Depth 3
	s_wait_xcnt 0x0
	v_lshlrev_b64_e32 v[10:11], 3, v[8:9]
	s_mov_b32 s25, exec_lo
	s_delay_alu instid0(VALU_DEP_1)
	v_add_nc_u64_e32 v[12:13], s[12:13], v[10:11]
	v_add_nc_u64_e32 v[10:11], s[14:15], v[10:11]
	global_load_b64 v[12:13], v[12:13], off
	global_load_b64 v[10:11], v[10:11], off
	s_wait_loadcnt 0x1
	v_sub_nc_u64_e64 v[14:15], v[12:13], s[16:17]
	s_wait_xcnt 0x1
	s_delay_alu instid0(VALU_DEP_1) | instskip(NEXT) | instid1(VALU_DEP_1)
	v_mul_lo_u32 v12, 0x89, v14
	v_and_b32_e32 v12, 0x7fff, v12
	s_delay_alu instid0(VALU_DEP_1)
	v_lshl_add_u32 v23, v12, 3, 0
	ds_load_b64 v[18:19], v23
	s_wait_dscnt 0x0
	s_wait_xcnt 0x0
	v_cmpx_ne_u64_e64 v[18:19], v[14:15]
	s_cbranch_execz .LBB136_20
; %bb.22:                               ;   in Loop: Header=BB136_21 Depth=2
	s_mov_b32 s26, 0
                                        ; implicit-def: $sgpr27
                                        ; implicit-def: $sgpr28
	s_branch .LBB136_24
.LBB136_23:                             ;   in Loop: Header=BB136_24 Depth=3
	s_or_b32 exec_lo, exec_lo, s31
	s_delay_alu instid0(SALU_CYCLE_1) | instskip(NEXT) | instid1(SALU_CYCLE_1)
	s_and_b32 s29, exec_lo, s30
	s_or_b32 s26, s29, s26
	s_and_not1_b32 s27, s27, exec_lo
	s_and_b32 s29, s28, exec_lo
	s_delay_alu instid0(SALU_CYCLE_1)
	s_or_b32 s27, s27, s29
	s_and_not1_b32 exec_lo, exec_lo, s26
	s_cbranch_execz .LBB136_30
.LBB136_24:                             ;   Parent Loop BB136_17 Depth=1
                                        ;     Parent Loop BB136_21 Depth=2
                                        ; =>    This Inner Loop Header: Depth=3
	v_mov_b64_e32 v[16:17], v[12:13]
	s_mov_b32 s29, 0
	s_mov_b32 s30, exec_lo
                                        ; implicit-def: $vgpr12_vgpr13
	v_cmpx_ne_u64_e64 s[48:49], v[18:19]
	s_xor_b32 s30, exec_lo, s30
; %bb.25:                               ;   in Loop: Header=BB136_24 Depth=3
	s_delay_alu instid0(VALU_DEP_2) | instskip(SKIP_1) | instid1(VALU_DEP_1)
	v_add_nc_u32_e32 v12, 1, v16
	s_mov_b32 s29, exec_lo
                                        ; implicit-def: $vgpr23
	v_and_b32_e32 v12, 0x7fff, v12
; %bb.26:                               ;   in Loop: Header=BB136_24 Depth=3
	s_and_not1_saveexec_b32 s30, s30
	s_cbranch_execz .LBB136_28
; %bb.27:                               ;   in Loop: Header=BB136_24 Depth=3
	v_mov_b64_e32 v[12:13], s[48:49]
	s_and_not1_b32 s29, s29, exec_lo
	ds_cmpstore_rtn_b64 v[12:13], v23, v[14:15], v[12:13]
	s_wait_dscnt 0x0
	v_cmp_ne_u64_e32 vcc_lo, s[48:49], v[12:13]
	v_mov_b64_e32 v[12:13], v[16:17]
	s_and_b32 s31, vcc_lo, exec_lo
	s_delay_alu instid0(SALU_CYCLE_1)
	s_or_b32 s29, s29, s31
.LBB136_28:                             ;   in Loop: Header=BB136_24 Depth=3
	s_or_b32 exec_lo, exec_lo, s30
	s_mov_b32 s30, -1
	s_or_b32 s28, s28, exec_lo
                                        ; implicit-def: $vgpr23
                                        ; implicit-def: $vgpr18_vgpr19
	s_and_saveexec_b32 s31, s29
	s_cbranch_execz .LBB136_23
; %bb.29:                               ;   in Loop: Header=BB136_24 Depth=3
	v_lshl_add_u32 v23, v12, 3, 0
	s_and_not1_b32 s28, s28, exec_lo
	ds_load_b64 v[18:19], v23
	s_wait_dscnt 0x0
	v_cmp_eq_u64_e32 vcc_lo, v[18:19], v[14:15]
	s_or_not1_b32 s30, vcc_lo, exec_lo
	s_branch .LBB136_23
.LBB136_30:                             ;   in Loop: Header=BB136_21 Depth=2
	s_or_b32 exec_lo, exec_lo, s26
	s_and_saveexec_b32 s26, s27
	s_delay_alu instid0(SALU_CYCLE_1)
	s_xor_b32 s26, exec_lo, s26
	s_cbranch_execz .LBB136_19
; %bb.31:                               ;   in Loop: Header=BB136_21 Depth=2
	v_mov_b32_e32 v12, v16
	s_branch .LBB136_19
.LBB136_32:
	s_or_b32 exec_lo, exec_lo, s18
.LBB136_33:
	s_delay_alu instid0(SALU_CYCLE_1)
	s_and_not1_b32 vcc_lo, exec_lo, s2
	s_cbranch_vccnz .LBB136_50
; %bb.34:
	s_wait_kmcnt 0x0
	s_lshl_b64 s[0:1], s[50:51], 3
	v_mov_b32_e32 v1, 0
	s_add_nc_u64 s[0:1], s[36:37], s[0:1]
	s_load_b128 s[4:7], s[0:1], 0x0
	s_wait_xcnt 0x0
	s_mov_b32 s1, 0
	s_mov_b32 s0, s47
	s_delay_alu instid0(SALU_CYCLE_1) | instskip(SKIP_1) | instid1(VALU_DEP_1)
	v_sub_nc_u64_e64 v[2:3], v[0:1], s[0:1]
	s_wait_kmcnt 0x0
	v_add_nc_u64_e32 v[2:3], s[4:5], v[2:3]
	s_sub_nc_u64 s[2:3], s[6:7], s[0:1]
	s_mov_b32 s4, exec_lo
	s_delay_alu instid0(VALU_DEP_1)
	v_cmpx_gt_i64_e64 s[2:3], v[2:3]
	s_cbranch_execz .LBB136_49
; %bb.35:
	s_mov_b32 s5, s1
	s_branch .LBB136_38
.LBB136_36:                             ;   in Loop: Header=BB136_38 Depth=1
	s_or_b32 exec_lo, exec_lo, s7
.LBB136_37:                             ;   in Loop: Header=BB136_38 Depth=1
	s_delay_alu instid0(SALU_CYCLE_1) | instskip(SKIP_4) | instid1(VALU_DEP_3)
	s_or_b32 exec_lo, exec_lo, s6
	s_wait_loadcnt 0x0
	v_mul_f32_e64 v1, v5, -s23
	v_dual_mul_f32 v5, s22, v5 :: v_dual_lshlrev_b32 v6, 3, v6
	v_add_nc_u64_e32 v[2:3], 0x400, v[2:3]
	v_fmac_f32_e32 v1, s22, v4
	s_delay_alu instid0(VALU_DEP_3) | instskip(NEXT) | instid1(VALU_DEP_4)
	v_add3_u32 v6, 0, v6, 0x40000
	v_fmac_f32_e32 v5, s23, v4
	ds_add_f32 v6, v1
	ds_add_f32 v6, v5 offset:4
	v_cmp_le_i64_e32 vcc_lo, s[2:3], v[2:3]
	s_or_b32 s5, vcc_lo, s5
	s_delay_alu instid0(SALU_CYCLE_1)
	s_and_not1_b32 exec_lo, exec_lo, s5
	s_cbranch_execz .LBB136_49
.LBB136_38:                             ; =>This Loop Header: Depth=1
                                        ;     Child Loop BB136_41 Depth 2
	v_lshlrev_b64_e32 v[4:5], 3, v[2:3]
	s_mov_b32 s6, exec_lo
	s_delay_alu instid0(VALU_DEP_1)
	v_add_nc_u64_e32 v[6:7], s[38:39], v[4:5]
	v_add_nc_u64_e32 v[4:5], s[40:41], v[4:5]
	global_load_b64 v[6:7], v[6:7], off
	global_load_b64 v[4:5], v[4:5], off
	s_wait_loadcnt 0x1
	v_sub_nc_u64_e64 v[8:9], v[6:7], s[0:1]
	s_delay_alu instid0(VALU_DEP_1) | instskip(NEXT) | instid1(VALU_DEP_1)
	v_mul_lo_u32 v1, 0x89, v8
	v_and_b32_e32 v6, 0x7fff, v1
	s_delay_alu instid0(VALU_DEP_1)
	v_lshl_add_u32 v1, v6, 3, 0
	ds_load_b64 v[12:13], v1
	s_wait_dscnt 0x0
	s_wait_xcnt 0x0
	v_cmpx_ne_u64_e64 v[12:13], v[8:9]
	s_cbranch_execz .LBB136_37
; %bb.39:                               ;   in Loop: Header=BB136_38 Depth=1
	s_mov_b32 s7, 0
                                        ; implicit-def: $sgpr8
                                        ; implicit-def: $sgpr9
	s_branch .LBB136_41
.LBB136_40:                             ;   in Loop: Header=BB136_41 Depth=2
	s_or_b32 exec_lo, exec_lo, s12
	s_delay_alu instid0(SALU_CYCLE_1) | instskip(NEXT) | instid1(SALU_CYCLE_1)
	s_and_b32 s10, exec_lo, s11
	s_or_b32 s7, s10, s7
	s_and_not1_b32 s8, s8, exec_lo
	s_and_b32 s10, s9, exec_lo
	s_delay_alu instid0(SALU_CYCLE_1)
	s_or_b32 s8, s8, s10
	s_and_not1_b32 exec_lo, exec_lo, s7
	s_cbranch_execz .LBB136_47
.LBB136_41:                             ;   Parent Loop BB136_38 Depth=1
                                        ; =>  This Inner Loop Header: Depth=2
	v_mov_b64_e32 v[10:11], v[6:7]
	s_mov_b32 s10, 0
	s_mov_b32 s11, exec_lo
                                        ; implicit-def: $vgpr6_vgpr7
	v_cmpx_ne_u64_e64 s[48:49], v[12:13]
	s_xor_b32 s11, exec_lo, s11
; %bb.42:                               ;   in Loop: Header=BB136_41 Depth=2
	s_delay_alu instid0(VALU_DEP_2) | instskip(SKIP_1) | instid1(VALU_DEP_1)
	v_add_nc_u32_e32 v1, 1, v10
	s_mov_b32 s10, exec_lo
	v_and_b32_e32 v6, 0x7fff, v1
                                        ; implicit-def: $vgpr1
; %bb.43:                               ;   in Loop: Header=BB136_41 Depth=2
	s_and_not1_saveexec_b32 s11, s11
	s_cbranch_execz .LBB136_45
; %bb.44:                               ;   in Loop: Header=BB136_41 Depth=2
	v_mov_b64_e32 v[6:7], s[48:49]
	s_and_not1_b32 s10, s10, exec_lo
	ds_cmpstore_rtn_b64 v[6:7], v1, v[8:9], v[6:7]
	s_wait_dscnt 0x0
	v_cmp_ne_u64_e32 vcc_lo, s[48:49], v[6:7]
	v_mov_b64_e32 v[6:7], v[10:11]
	s_and_b32 s12, vcc_lo, exec_lo
	s_delay_alu instid0(SALU_CYCLE_1)
	s_or_b32 s10, s10, s12
.LBB136_45:                             ;   in Loop: Header=BB136_41 Depth=2
	s_or_b32 exec_lo, exec_lo, s11
	s_mov_b32 s11, -1
	s_or_b32 s9, s9, exec_lo
                                        ; implicit-def: $vgpr1
                                        ; implicit-def: $vgpr12_vgpr13
	s_and_saveexec_b32 s12, s10
	s_cbranch_execz .LBB136_40
; %bb.46:                               ;   in Loop: Header=BB136_41 Depth=2
	v_lshl_add_u32 v1, v6, 3, 0
	s_and_not1_b32 s9, s9, exec_lo
	ds_load_b64 v[12:13], v1
	s_wait_dscnt 0x0
	v_cmp_eq_u64_e32 vcc_lo, v[12:13], v[8:9]
	s_or_not1_b32 s11, vcc_lo, exec_lo
	s_branch .LBB136_40
.LBB136_47:                             ;   in Loop: Header=BB136_38 Depth=1
	s_or_b32 exec_lo, exec_lo, s7
	s_and_saveexec_b32 s7, s8
	s_delay_alu instid0(SALU_CYCLE_1)
	s_xor_b32 s7, exec_lo, s7
	s_cbranch_execz .LBB136_36
; %bb.48:                               ;   in Loop: Header=BB136_38 Depth=1
	v_mov_b32_e32 v6, v10
	s_branch .LBB136_36
.LBB136_49:
	s_or_b32 exec_lo, exec_lo, s4
.LBB136_50:
	v_mbcnt_lo_u32_b32 v1, -1, 0
	v_lshrrev_b32_e32 v2, 2, v0
	v_mov_b64_e32 v[6:7], 0
	v_mov_b32_e32 v3, 0
	v_cmp_lt_u32_e64 s0, 31, v0
	v_xor_b32_e32 v1, 31, v1
	v_and_b32_e32 v2, 0xf8, v2
	v_cmp_lt_u32_e64 s1, 63, v0
	v_cmp_lt_u32_e64 s2, 0x5f, v0
	;; [unrolled: 1-line block ×3, first 2 shown]
	v_lshrrev_b32_e64 v4, v1, -1
	v_add3_u32 v1, 0x80000, 0, v2
	v_cmp_lt_u32_e64 s4, 0x9f, v0
	v_cmp_lt_u32_e64 s5, 0xbf, v0
	;; [unrolled: 1-line block ×27, first 2 shown]
	s_mov_b32 s33, 0
	s_add_co_i32 s36, 0, 0x80000
	s_add_co_i32 s37, 0, 0x80008
	s_add_co_i32 s38, 0, 0x80010
	s_add_co_i32 s39, 0, 0x80018
	s_add_co_i32 s40, 0, 0x80020
	s_add_co_i32 s41, 0, 0x80028
	s_add_co_i32 s44, 0, 0x80030
	s_add_co_i32 s45, 0, 0x80038
	s_add_co_i32 s47, 0, 0x80040
	s_add_co_i32 s52, 0, 0x80048
	s_add_co_i32 s53, 0, 0x80050
	s_add_co_i32 s54, 0, 0x80058
	s_add_co_i32 s55, 0, 0x80060
	s_add_co_i32 s56, 0, 0x80068
	s_add_co_i32 s57, 0, 0x80070
	s_add_co_i32 s58, 0, 0x80078
	s_add_co_i32 s59, 0, 0x80080
	s_add_co_i32 s60, 0, 0x80088
	s_add_co_i32 s61, 0, 0x80090
	s_add_co_i32 s62, 0, 0x80098
	s_add_co_i32 s63, 0, 0x800a0
	s_add_co_i32 s64, 0, 0x800a8
	s_add_co_i32 s65, 0, 0x800b0
	s_add_co_i32 s66, 0, 0x800b8
	s_add_co_i32 s67, 0, 0x800c0
	s_add_co_i32 s68, 0, 0x800c8
	s_add_co_i32 s69, 0, 0x800d0
	s_add_co_i32 s70, 0, 0x800d8
	s_add_co_i32 s71, 0, 0x800e0
	s_add_co_i32 s72, 0, 0x800e8
	s_add_co_i32 s73, 0, 0x800f0
	s_add_co_i32 s74, 0, 0x800f8
	s_wait_dscnt 0x0
	s_barrier_signal -1
	s_barrier_wait -1
	v_cmp_eq_u32_e32 vcc_lo, 0x3ff, v0
	s_branch .LBB136_52
.LBB136_51:                             ;   in Loop: Header=BB136_52 Depth=1
	s_or_b32 exec_lo, exec_lo, s31
	v_dual_mov_b32 v2, s74 :: v_dual_add_nc_u32 v21, 0x400, v21
	s_wait_dscnt 0x0
	s_barrier_signal -1
	s_barrier_wait -1
	ds_load_b64 v[8:9], v2
	v_cmp_lt_u32_e64 s31, 0x7bff, v21
	v_add_nc_u32_e32 v20, 0x2000, v20
	s_or_b32 s33, s31, s33
	s_wait_dscnt 0x0
	v_add_nc_u64_e32 v[6:7], v[8:9], v[6:7]
	s_and_not1_b32 exec_lo, exec_lo, s33
	s_cbranch_execz .LBB136_118
.LBB136_52:                             ; =>This Inner Loop Header: Depth=1
	ds_load_b64 v[8:9], v20
	v_add_nc_u32_e32 v2, 0x40000, v20
	ds_load_2addr_b32 v[10:11], v2 offset1:1
	s_wait_dscnt 0x0
	s_barrier_signal -1
	s_barrier_wait -1
	v_cmp_gt_i64_e64 s31, s[48:49], v[8:9]
	s_bcnt1_i32_b32 s75, s31
	s_delay_alu instid0(SALU_CYCLE_1) | instskip(NEXT) | instid1(VALU_DEP_1)
	v_dual_mov_b32 v2, s75 :: v_dual_bitop2_b32 v5, s31, v4 bitop3:0x40
	v_bcnt_u32_b32 v12, v5, 0
	ds_store_b64 v1, v[2:3]
	s_wait_dscnt 0x0
	s_barrier_signal -1
	s_barrier_wait -1
	s_and_saveexec_b32 s75, s0
	s_cbranch_execnz .LBB136_85
; %bb.53:                               ;   in Loop: Header=BB136_52 Depth=1
	s_or_b32 exec_lo, exec_lo, s75
	s_and_saveexec_b32 s75, s1
	s_cbranch_execnz .LBB136_86
.LBB136_54:                             ;   in Loop: Header=BB136_52 Depth=1
	s_or_b32 exec_lo, exec_lo, s75
	s_and_saveexec_b32 s75, s2
	s_cbranch_execnz .LBB136_87
.LBB136_55:                             ;   in Loop: Header=BB136_52 Depth=1
	s_or_b32 exec_lo, exec_lo, s75
	s_and_saveexec_b32 s75, s3
	s_cbranch_execnz .LBB136_88
.LBB136_56:                             ;   in Loop: Header=BB136_52 Depth=1
	s_or_b32 exec_lo, exec_lo, s75
	s_and_saveexec_b32 s75, s4
	s_cbranch_execnz .LBB136_89
.LBB136_57:                             ;   in Loop: Header=BB136_52 Depth=1
	s_or_b32 exec_lo, exec_lo, s75
	s_and_saveexec_b32 s75, s5
	s_cbranch_execnz .LBB136_90
.LBB136_58:                             ;   in Loop: Header=BB136_52 Depth=1
	s_or_b32 exec_lo, exec_lo, s75
	s_and_saveexec_b32 s75, s6
	s_cbranch_execnz .LBB136_91
.LBB136_59:                             ;   in Loop: Header=BB136_52 Depth=1
	s_or_b32 exec_lo, exec_lo, s75
	s_and_saveexec_b32 s75, s7
	s_cbranch_execnz .LBB136_92
.LBB136_60:                             ;   in Loop: Header=BB136_52 Depth=1
	s_or_b32 exec_lo, exec_lo, s75
	s_and_saveexec_b32 s75, s8
	s_cbranch_execnz .LBB136_93
.LBB136_61:                             ;   in Loop: Header=BB136_52 Depth=1
	s_or_b32 exec_lo, exec_lo, s75
	s_and_saveexec_b32 s75, s9
	s_cbranch_execnz .LBB136_94
.LBB136_62:                             ;   in Loop: Header=BB136_52 Depth=1
	s_or_b32 exec_lo, exec_lo, s75
	s_and_saveexec_b32 s75, s10
	s_cbranch_execnz .LBB136_95
.LBB136_63:                             ;   in Loop: Header=BB136_52 Depth=1
	s_or_b32 exec_lo, exec_lo, s75
	s_and_saveexec_b32 s75, s11
	s_cbranch_execnz .LBB136_96
.LBB136_64:                             ;   in Loop: Header=BB136_52 Depth=1
	s_or_b32 exec_lo, exec_lo, s75
	s_and_saveexec_b32 s75, s12
	s_cbranch_execnz .LBB136_97
.LBB136_65:                             ;   in Loop: Header=BB136_52 Depth=1
	s_or_b32 exec_lo, exec_lo, s75
	s_and_saveexec_b32 s75, s13
	s_cbranch_execnz .LBB136_98
.LBB136_66:                             ;   in Loop: Header=BB136_52 Depth=1
	s_or_b32 exec_lo, exec_lo, s75
	s_and_saveexec_b32 s75, s14
	s_cbranch_execnz .LBB136_99
.LBB136_67:                             ;   in Loop: Header=BB136_52 Depth=1
	s_or_b32 exec_lo, exec_lo, s75
	s_and_saveexec_b32 s75, s15
	s_cbranch_execnz .LBB136_100
.LBB136_68:                             ;   in Loop: Header=BB136_52 Depth=1
	s_or_b32 exec_lo, exec_lo, s75
	s_and_saveexec_b32 s75, s16
	s_cbranch_execnz .LBB136_101
.LBB136_69:                             ;   in Loop: Header=BB136_52 Depth=1
	s_or_b32 exec_lo, exec_lo, s75
	s_and_saveexec_b32 s75, s17
	s_cbranch_execnz .LBB136_102
.LBB136_70:                             ;   in Loop: Header=BB136_52 Depth=1
	s_or_b32 exec_lo, exec_lo, s75
	s_and_saveexec_b32 s75, s18
	s_cbranch_execnz .LBB136_103
.LBB136_71:                             ;   in Loop: Header=BB136_52 Depth=1
	s_or_b32 exec_lo, exec_lo, s75
	s_and_saveexec_b32 s75, s19
	s_cbranch_execnz .LBB136_104
.LBB136_72:                             ;   in Loop: Header=BB136_52 Depth=1
	s_or_b32 exec_lo, exec_lo, s75
	s_and_saveexec_b32 s75, s20
	s_cbranch_execnz .LBB136_105
.LBB136_73:                             ;   in Loop: Header=BB136_52 Depth=1
	s_or_b32 exec_lo, exec_lo, s75
	s_and_saveexec_b32 s75, s21
	s_cbranch_execnz .LBB136_106
.LBB136_74:                             ;   in Loop: Header=BB136_52 Depth=1
	s_or_b32 exec_lo, exec_lo, s75
	s_and_saveexec_b32 s75, s22
	s_cbranch_execnz .LBB136_107
.LBB136_75:                             ;   in Loop: Header=BB136_52 Depth=1
	s_or_b32 exec_lo, exec_lo, s75
	s_and_saveexec_b32 s75, s23
	s_cbranch_execnz .LBB136_108
.LBB136_76:                             ;   in Loop: Header=BB136_52 Depth=1
	s_or_b32 exec_lo, exec_lo, s75
	s_and_saveexec_b32 s75, s24
	s_cbranch_execnz .LBB136_109
.LBB136_77:                             ;   in Loop: Header=BB136_52 Depth=1
	s_or_b32 exec_lo, exec_lo, s75
	s_and_saveexec_b32 s75, s25
	s_cbranch_execnz .LBB136_110
.LBB136_78:                             ;   in Loop: Header=BB136_52 Depth=1
	s_or_b32 exec_lo, exec_lo, s75
	s_and_saveexec_b32 s75, s26
	s_cbranch_execnz .LBB136_111
.LBB136_79:                             ;   in Loop: Header=BB136_52 Depth=1
	s_or_b32 exec_lo, exec_lo, s75
	s_and_saveexec_b32 s75, s27
	s_cbranch_execnz .LBB136_112
.LBB136_80:                             ;   in Loop: Header=BB136_52 Depth=1
	s_or_b32 exec_lo, exec_lo, s75
	s_and_saveexec_b32 s75, s28
	s_cbranch_execnz .LBB136_113
.LBB136_81:                             ;   in Loop: Header=BB136_52 Depth=1
	s_or_b32 exec_lo, exec_lo, s75
	s_and_saveexec_b32 s75, s29
	s_cbranch_execnz .LBB136_114
.LBB136_82:                             ;   in Loop: Header=BB136_52 Depth=1
	s_or_b32 exec_lo, exec_lo, s75
	s_and_saveexec_b32 s75, s30
	s_cbranch_execnz .LBB136_115
.LBB136_83:                             ;   in Loop: Header=BB136_52 Depth=1
	s_or_b32 exec_lo, exec_lo, s75
	v_ashrrev_i32_e32 v13, 31, v12
	s_and_saveexec_b32 s75, s31
	s_cbranch_execnz .LBB136_116
.LBB136_84:                             ;   in Loop: Header=BB136_52 Depth=1
	s_or_b32 exec_lo, exec_lo, s75
	s_and_saveexec_b32 s31, vcc_lo
	s_cbranch_execz .LBB136_51
	s_branch .LBB136_117
.LBB136_85:                             ;   in Loop: Header=BB136_52 Depth=1
	v_mov_b32_e32 v2, s36
	ds_load_b32 v2, v2
	s_wait_dscnt 0x0
	v_add_nc_u32_e32 v12, v2, v12
	s_or_b32 exec_lo, exec_lo, s75
	s_and_saveexec_b32 s75, s1
	s_cbranch_execz .LBB136_54
.LBB136_86:                             ;   in Loop: Header=BB136_52 Depth=1
	v_mov_b32_e32 v2, s37
	ds_load_b32 v2, v2
	s_wait_dscnt 0x0
	v_add_nc_u32_e32 v12, v12, v2
	s_or_b32 exec_lo, exec_lo, s75
	s_and_saveexec_b32 s75, s2
	s_cbranch_execz .LBB136_55
.LBB136_87:                             ;   in Loop: Header=BB136_52 Depth=1
	v_mov_b32_e32 v2, s38
	ds_load_b32 v2, v2
	s_wait_dscnt 0x0
	v_add_nc_u32_e32 v12, v12, v2
	s_or_b32 exec_lo, exec_lo, s75
	s_and_saveexec_b32 s75, s3
	s_cbranch_execz .LBB136_56
.LBB136_88:                             ;   in Loop: Header=BB136_52 Depth=1
	v_mov_b32_e32 v2, s39
	ds_load_b32 v2, v2
	s_wait_dscnt 0x0
	v_add_nc_u32_e32 v12, v12, v2
	s_or_b32 exec_lo, exec_lo, s75
	s_and_saveexec_b32 s75, s4
	s_cbranch_execz .LBB136_57
.LBB136_89:                             ;   in Loop: Header=BB136_52 Depth=1
	v_mov_b32_e32 v2, s40
	ds_load_b32 v2, v2
	s_wait_dscnt 0x0
	v_add_nc_u32_e32 v12, v12, v2
	s_or_b32 exec_lo, exec_lo, s75
	s_and_saveexec_b32 s75, s5
	s_cbranch_execz .LBB136_58
.LBB136_90:                             ;   in Loop: Header=BB136_52 Depth=1
	v_mov_b32_e32 v2, s41
	ds_load_b32 v2, v2
	s_wait_dscnt 0x0
	v_add_nc_u32_e32 v12, v12, v2
	s_or_b32 exec_lo, exec_lo, s75
	s_and_saveexec_b32 s75, s6
	s_cbranch_execz .LBB136_59
.LBB136_91:                             ;   in Loop: Header=BB136_52 Depth=1
	v_mov_b32_e32 v2, s44
	ds_load_b32 v2, v2
	s_wait_dscnt 0x0
	v_add_nc_u32_e32 v12, v12, v2
	s_or_b32 exec_lo, exec_lo, s75
	s_and_saveexec_b32 s75, s7
	s_cbranch_execz .LBB136_60
.LBB136_92:                             ;   in Loop: Header=BB136_52 Depth=1
	v_mov_b32_e32 v2, s45
	ds_load_b32 v2, v2
	s_wait_dscnt 0x0
	v_add_nc_u32_e32 v12, v12, v2
	s_or_b32 exec_lo, exec_lo, s75
	s_and_saveexec_b32 s75, s8
	s_cbranch_execz .LBB136_61
.LBB136_93:                             ;   in Loop: Header=BB136_52 Depth=1
	v_mov_b32_e32 v2, s47
	ds_load_b32 v2, v2
	s_wait_dscnt 0x0
	v_add_nc_u32_e32 v12, v12, v2
	s_or_b32 exec_lo, exec_lo, s75
	s_and_saveexec_b32 s75, s9
	s_cbranch_execz .LBB136_62
.LBB136_94:                             ;   in Loop: Header=BB136_52 Depth=1
	v_mov_b32_e32 v2, s52
	ds_load_b32 v2, v2
	s_wait_dscnt 0x0
	v_add_nc_u32_e32 v12, v12, v2
	s_or_b32 exec_lo, exec_lo, s75
	s_and_saveexec_b32 s75, s10
	s_cbranch_execz .LBB136_63
.LBB136_95:                             ;   in Loop: Header=BB136_52 Depth=1
	v_mov_b32_e32 v2, s53
	ds_load_b32 v2, v2
	s_wait_dscnt 0x0
	v_add_nc_u32_e32 v12, v12, v2
	s_or_b32 exec_lo, exec_lo, s75
	s_and_saveexec_b32 s75, s11
	s_cbranch_execz .LBB136_64
.LBB136_96:                             ;   in Loop: Header=BB136_52 Depth=1
	v_mov_b32_e32 v2, s54
	ds_load_b32 v2, v2
	s_wait_dscnt 0x0
	v_add_nc_u32_e32 v12, v12, v2
	s_or_b32 exec_lo, exec_lo, s75
	s_and_saveexec_b32 s75, s12
	s_cbranch_execz .LBB136_65
.LBB136_97:                             ;   in Loop: Header=BB136_52 Depth=1
	v_mov_b32_e32 v2, s55
	ds_load_b32 v2, v2
	s_wait_dscnt 0x0
	v_add_nc_u32_e32 v12, v12, v2
	s_or_b32 exec_lo, exec_lo, s75
	s_and_saveexec_b32 s75, s13
	s_cbranch_execz .LBB136_66
.LBB136_98:                             ;   in Loop: Header=BB136_52 Depth=1
	v_mov_b32_e32 v2, s56
	ds_load_b32 v2, v2
	s_wait_dscnt 0x0
	v_add_nc_u32_e32 v12, v12, v2
	s_or_b32 exec_lo, exec_lo, s75
	s_and_saveexec_b32 s75, s14
	s_cbranch_execz .LBB136_67
.LBB136_99:                             ;   in Loop: Header=BB136_52 Depth=1
	v_mov_b32_e32 v2, s57
	ds_load_b32 v2, v2
	s_wait_dscnt 0x0
	v_add_nc_u32_e32 v12, v12, v2
	s_or_b32 exec_lo, exec_lo, s75
	s_and_saveexec_b32 s75, s15
	s_cbranch_execz .LBB136_68
.LBB136_100:                            ;   in Loop: Header=BB136_52 Depth=1
	v_mov_b32_e32 v2, s58
	ds_load_b32 v2, v2
	s_wait_dscnt 0x0
	v_add_nc_u32_e32 v12, v12, v2
	s_or_b32 exec_lo, exec_lo, s75
	s_and_saveexec_b32 s75, s16
	s_cbranch_execz .LBB136_69
.LBB136_101:                            ;   in Loop: Header=BB136_52 Depth=1
	v_mov_b32_e32 v2, s59
	ds_load_b32 v2, v2
	s_wait_dscnt 0x0
	v_add_nc_u32_e32 v12, v12, v2
	s_or_b32 exec_lo, exec_lo, s75
	s_and_saveexec_b32 s75, s17
	s_cbranch_execz .LBB136_70
.LBB136_102:                            ;   in Loop: Header=BB136_52 Depth=1
	v_mov_b32_e32 v2, s60
	ds_load_b32 v2, v2
	s_wait_dscnt 0x0
	v_add_nc_u32_e32 v12, v12, v2
	s_or_b32 exec_lo, exec_lo, s75
	s_and_saveexec_b32 s75, s18
	s_cbranch_execz .LBB136_71
.LBB136_103:                            ;   in Loop: Header=BB136_52 Depth=1
	v_mov_b32_e32 v2, s61
	ds_load_b32 v2, v2
	s_wait_dscnt 0x0
	v_add_nc_u32_e32 v12, v12, v2
	s_or_b32 exec_lo, exec_lo, s75
	s_and_saveexec_b32 s75, s19
	s_cbranch_execz .LBB136_72
.LBB136_104:                            ;   in Loop: Header=BB136_52 Depth=1
	v_mov_b32_e32 v2, s62
	ds_load_b32 v2, v2
	s_wait_dscnt 0x0
	v_add_nc_u32_e32 v12, v12, v2
	s_or_b32 exec_lo, exec_lo, s75
	s_and_saveexec_b32 s75, s20
	s_cbranch_execz .LBB136_73
.LBB136_105:                            ;   in Loop: Header=BB136_52 Depth=1
	v_mov_b32_e32 v2, s63
	ds_load_b32 v2, v2
	s_wait_dscnt 0x0
	v_add_nc_u32_e32 v12, v12, v2
	s_or_b32 exec_lo, exec_lo, s75
	s_and_saveexec_b32 s75, s21
	s_cbranch_execz .LBB136_74
.LBB136_106:                            ;   in Loop: Header=BB136_52 Depth=1
	v_mov_b32_e32 v2, s64
	ds_load_b32 v2, v2
	s_wait_dscnt 0x0
	v_add_nc_u32_e32 v12, v12, v2
	s_or_b32 exec_lo, exec_lo, s75
	s_and_saveexec_b32 s75, s22
	s_cbranch_execz .LBB136_75
.LBB136_107:                            ;   in Loop: Header=BB136_52 Depth=1
	v_mov_b32_e32 v2, s65
	ds_load_b32 v2, v2
	s_wait_dscnt 0x0
	v_add_nc_u32_e32 v12, v12, v2
	s_or_b32 exec_lo, exec_lo, s75
	s_and_saveexec_b32 s75, s23
	s_cbranch_execz .LBB136_76
.LBB136_108:                            ;   in Loop: Header=BB136_52 Depth=1
	v_mov_b32_e32 v2, s66
	ds_load_b32 v2, v2
	s_wait_dscnt 0x0
	v_add_nc_u32_e32 v12, v12, v2
	s_or_b32 exec_lo, exec_lo, s75
	s_and_saveexec_b32 s75, s24
	s_cbranch_execz .LBB136_77
.LBB136_109:                            ;   in Loop: Header=BB136_52 Depth=1
	v_mov_b32_e32 v2, s67
	ds_load_b32 v2, v2
	s_wait_dscnt 0x0
	v_add_nc_u32_e32 v12, v12, v2
	s_or_b32 exec_lo, exec_lo, s75
	s_and_saveexec_b32 s75, s25
	s_cbranch_execz .LBB136_78
.LBB136_110:                            ;   in Loop: Header=BB136_52 Depth=1
	v_mov_b32_e32 v2, s68
	ds_load_b32 v2, v2
	s_wait_dscnt 0x0
	v_add_nc_u32_e32 v12, v12, v2
	s_or_b32 exec_lo, exec_lo, s75
	s_and_saveexec_b32 s75, s26
	s_cbranch_execz .LBB136_79
.LBB136_111:                            ;   in Loop: Header=BB136_52 Depth=1
	v_mov_b32_e32 v2, s69
	ds_load_b32 v2, v2
	s_wait_dscnt 0x0
	v_add_nc_u32_e32 v12, v12, v2
	s_or_b32 exec_lo, exec_lo, s75
	s_and_saveexec_b32 s75, s27
	s_cbranch_execz .LBB136_80
.LBB136_112:                            ;   in Loop: Header=BB136_52 Depth=1
	v_mov_b32_e32 v2, s70
	ds_load_b32 v2, v2
	s_wait_dscnt 0x0
	v_add_nc_u32_e32 v12, v12, v2
	s_or_b32 exec_lo, exec_lo, s75
	s_and_saveexec_b32 s75, s28
	s_cbranch_execz .LBB136_81
.LBB136_113:                            ;   in Loop: Header=BB136_52 Depth=1
	v_mov_b32_e32 v2, s71
	ds_load_b32 v2, v2
	s_wait_dscnt 0x0
	v_add_nc_u32_e32 v12, v12, v2
	s_or_b32 exec_lo, exec_lo, s75
	s_and_saveexec_b32 s75, s29
	s_cbranch_execz .LBB136_82
.LBB136_114:                            ;   in Loop: Header=BB136_52 Depth=1
	v_mov_b32_e32 v2, s72
	ds_load_b32 v2, v2
	s_wait_dscnt 0x0
	v_add_nc_u32_e32 v12, v12, v2
	s_or_b32 exec_lo, exec_lo, s75
	s_and_saveexec_b32 s75, s30
	s_cbranch_execz .LBB136_83
.LBB136_115:                            ;   in Loop: Header=BB136_52 Depth=1
	v_mov_b32_e32 v2, s73
	ds_load_b32 v2, v2
	s_wait_dscnt 0x0
	v_add_nc_u32_e32 v12, v12, v2
	s_or_b32 exec_lo, exec_lo, s75
	s_delay_alu instid0(VALU_DEP_1)
	v_ashrrev_i32_e32 v13, 31, v12
	s_and_saveexec_b32 s75, s31
	s_cbranch_execz .LBB136_84
.LBB136_116:                            ;   in Loop: Header=BB136_52 Depth=1
	v_add3_u32 v2, v6, -1, v12
	s_delay_alu instid0(VALU_DEP_1) | instskip(NEXT) | instid1(VALU_DEP_1)
	v_lshl_add_u32 v2, v2, 3, 0
	v_add_nc_u32_e32 v5, 0x40000, v2
	ds_store_b64 v2, v[8:9]
	ds_store_2addr_b32 v5, v10, v11 offset1:1
	s_or_b32 exec_lo, exec_lo, s75
	s_and_saveexec_b32 s31, vcc_lo
	s_cbranch_execz .LBB136_51
.LBB136_117:                            ;   in Loop: Header=BB136_52 Depth=1
	v_mov_b32_e32 v2, s74
	ds_store_b64 v2, v[12:13]
	s_branch .LBB136_51
.LBB136_118:
	s_or_b32 exec_lo, exec_lo, s33
	s_wait_kmcnt 0x0
	s_lshl_b64 s[0:1], s[50:51], 3
	v_mov_b32_e32 v1, 0
	s_add_nc_u64 s[4:5], s[42:43], s[0:1]
	s_mov_b32 s6, exec_lo
	s_load_b128 s[0:3], s[4:5], 0x0
	s_wait_kmcnt 0x0
	s_sub_nc_u64 s[4:5], s[2:3], s[0:1]
	s_delay_alu instid0(SALU_CYCLE_1)
	v_cmpx_gt_i64_e64 s[4:5], v[0:1]
	s_cbranch_execz .LBB136_128
; %bb.119:
	s_sub_nc_u64 s[8:9], s[0:1], s[2:3]
	s_and_b64 s[6:7], s[4:5], 7
	v_cmp_lt_u64_e64 s10, s[8:9], -7
	s_and_b64 s[2:3], s[4:5], -8
	s_mov_b32 s47, 0
	s_cmp_lg_u64 s[6:7], 0
	s_sub_nc_u64 s[0:1], s[0:1], s[46:47]
	s_cselect_b32 s11, -1, 0
	s_mov_b32 s12, 0
	s_branch .LBB136_121
.LBB136_120:                            ;   in Loop: Header=BB136_121 Depth=1
	v_add_nc_u64_e32 v[0:1], 0x400, v[0:1]
	s_wait_dscnt 0x1
	s_delay_alu instid0(VALU_DEP_2)
	v_lshl_add_u64 v[4:5], v[6:7], 3, s[34:35]
	s_wait_dscnt 0x0
	global_store_b64 v[4:5], v[2:3], off
	v_cmp_le_i64_e32 vcc_lo, s[4:5], v[0:1]
	s_or_b32 s12, vcc_lo, s12
	s_wait_xcnt 0x0
	s_and_not1_b32 exec_lo, exec_lo, s12
	s_cbranch_execz .LBB136_128
.LBB136_121:                            ; =>This Loop Header: Depth=1
                                        ;     Child Loop BB136_123 Depth 2
                                        ;     Child Loop BB136_127 Depth 2
	v_lshl_add_u32 v2, v0, 3, 0
	v_mov_b64_e32 v[6:7], s[0:1]
	s_and_not1_b32 vcc_lo, exec_lo, s10
	s_mov_b64 s[8:9], 0
	s_delay_alu instid0(VALU_DEP_2)
	v_add_nc_u32_e32 v3, 0x40000, v2
	ds_load_b64 v[4:5], v2
	ds_load_2addr_b32 v[2:3], v3 offset1:1
	s_cbranch_vccnz .LBB136_125
; %bb.122:                              ;   in Loop: Header=BB136_121 Depth=1
	v_mov_b64_e32 v[6:7], s[0:1]
	s_mov_b32 s13, 0
.LBB136_123:                            ;   Parent Loop BB136_121 Depth=1
                                        ; =>  This Inner Loop Header: Depth=2
	s_delay_alu instid0(SALU_CYCLE_1)
	v_dual_mov_b32 v20, s13 :: v_dual_mov_b32 v17, s47
	v_mov_b32_e32 v19, s47
	s_add_nc_u64 s[8:9], s[8:9], 8
	s_add_co_i32 s13, s13, 64
	ds_load_2addr_b64 v[8:11], v20 offset1:1
	ds_load_2addr_b64 v[12:15], v20 offset0:2 offset1:3
	s_cmp_eq_u64 s[2:3], s[8:9]
	s_wait_dscnt 0x1
	v_cmp_gt_i64_e32 vcc_lo, v[4:5], v[8:9]
	v_cndmask_b32_e64 v16, 0, 1, vcc_lo
	v_cmp_gt_i64_e32 vcc_lo, v[4:5], v[10:11]
	s_delay_alu instid0(VALU_DEP_2) | instskip(SKIP_4) | instid1(VALU_DEP_2)
	v_add_nc_u64_e32 v[10:11], v[6:7], v[16:17]
	ds_load_2addr_b64 v[6:9], v20 offset0:4 offset1:5
	v_cndmask_b32_e64 v18, 0, 1, vcc_lo
	s_wait_dscnt 0x1
	v_cmp_gt_i64_e32 vcc_lo, v[4:5], v[12:13]
	v_add_nc_u64_e32 v[10:11], v[10:11], v[18:19]
	v_cndmask_b32_e64 v16, 0, 1, vcc_lo
	v_cmp_gt_i64_e32 vcc_lo, v[4:5], v[14:15]
	s_delay_alu instid0(VALU_DEP_2)
	v_add_nc_u64_e32 v[14:15], v[10:11], v[16:17]
	ds_load_2addr_b64 v[10:13], v20 offset0:6 offset1:7
	v_cndmask_b32_e64 v18, 0, 1, vcc_lo
	s_wait_dscnt 0x1
	v_cmp_gt_i64_e32 vcc_lo, v[4:5], v[6:7]
	v_mov_b32_e32 v7, s47
	s_delay_alu instid0(VALU_DEP_3) | instskip(SKIP_3) | instid1(VALU_DEP_3)
	v_add_nc_u64_e32 v[14:15], v[14:15], v[18:19]
	v_cndmask_b32_e64 v16, 0, 1, vcc_lo
	v_cmp_gt_i64_e32 vcc_lo, v[4:5], v[8:9]
	v_mov_b32_e32 v9, s47
	v_add_nc_u64_e32 v[14:15], v[14:15], v[16:17]
	v_cndmask_b32_e64 v6, 0, 1, vcc_lo
	s_wait_dscnt 0x0
	v_cmp_gt_i64_e32 vcc_lo, v[4:5], v[10:11]
	v_mov_b32_e32 v11, s47
	s_delay_alu instid0(VALU_DEP_3) | instskip(SKIP_2) | instid1(VALU_DEP_2)
	v_add_nc_u64_e32 v[6:7], v[14:15], v[6:7]
	v_cndmask_b32_e64 v8, 0, 1, vcc_lo
	v_cmp_gt_i64_e32 vcc_lo, v[4:5], v[12:13]
	v_add_nc_u64_e32 v[6:7], v[6:7], v[8:9]
	v_cndmask_b32_e64 v10, 0, 1, vcc_lo
	s_delay_alu instid0(VALU_DEP_1)
	v_add_nc_u64_e32 v[6:7], v[6:7], v[10:11]
	s_cbranch_scc0 .LBB136_123
; %bb.124:                              ;   in Loop: Header=BB136_121 Depth=1
	s_mov_b64 s[8:9], s[2:3]
.LBB136_125:                            ;   in Loop: Header=BB136_121 Depth=1
	s_and_not1_b32 vcc_lo, exec_lo, s11
	s_cbranch_vccnz .LBB136_120
; %bb.126:                              ;   in Loop: Header=BB136_121 Depth=1
	s_lshl_b32 s8, s8, 3
	s_delay_alu instid0(SALU_CYCLE_1)
	s_add_co_i32 s13, s8, 0
	s_mov_b64 s[8:9], s[6:7]
.LBB136_127:                            ;   Parent Loop BB136_121 Depth=1
                                        ; =>  This Inner Loop Header: Depth=2
	v_dual_mov_b32 v8, s13 :: v_dual_mov_b32 v11, s47
	s_add_nc_u64 s[8:9], s[8:9], -1
	s_add_co_i32 s13, s13, 8
	s_cmp_lg_u64 s[8:9], 0
	ds_load_b64 v[8:9], v8
	s_wait_dscnt 0x0
	v_cmp_gt_i64_e32 vcc_lo, v[4:5], v[8:9]
	v_cndmask_b32_e64 v10, 0, 1, vcc_lo
	s_delay_alu instid0(VALU_DEP_1)
	v_add_nc_u64_e32 v[6:7], v[6:7], v[10:11]
	s_cbranch_scc1 .LBB136_127
	s_branch .LBB136_120
.LBB136_128:
	s_endpgm
	.section	.rodata,"a",@progbits
	.p2align	6, 0x0
	.amdhsa_kernel _ZN9rocsparseL41csrgemm_numeric_fill_block_per_row_kernelILj1024ELj64ELj32768ELj137ELj32Ell21rocsparse_complex_numIfEEEvT5_PKS3_S5_NS_24const_host_device_scalarIT6_EEPKT4_S5_PKS7_SB_S5_SD_S8_SB_S5_SD_SB_S5_PS7_21rocsparse_index_base_SF_SF_SF_bbb
		.amdhsa_group_segment_fixed_size 0
		.amdhsa_private_segment_fixed_size 0
		.amdhsa_kernarg_size 156
		.amdhsa_user_sgpr_count 2
		.amdhsa_user_sgpr_dispatch_ptr 0
		.amdhsa_user_sgpr_queue_ptr 0
		.amdhsa_user_sgpr_kernarg_segment_ptr 1
		.amdhsa_user_sgpr_dispatch_id 0
		.amdhsa_user_sgpr_kernarg_preload_length 0
		.amdhsa_user_sgpr_kernarg_preload_offset 0
		.amdhsa_user_sgpr_private_segment_size 0
		.amdhsa_wavefront_size32 1
		.amdhsa_uses_dynamic_stack 0
		.amdhsa_enable_private_segment 0
		.amdhsa_system_sgpr_workgroup_id_x 1
		.amdhsa_system_sgpr_workgroup_id_y 0
		.amdhsa_system_sgpr_workgroup_id_z 0
		.amdhsa_system_sgpr_workgroup_info 0
		.amdhsa_system_vgpr_workitem_id 0
		.amdhsa_next_free_vgpr 24
		.amdhsa_next_free_sgpr 76
		.amdhsa_named_barrier_count 0
		.amdhsa_reserve_vcc 1
		.amdhsa_float_round_mode_32 0
		.amdhsa_float_round_mode_16_64 0
		.amdhsa_float_denorm_mode_32 3
		.amdhsa_float_denorm_mode_16_64 3
		.amdhsa_fp16_overflow 0
		.amdhsa_memory_ordered 1
		.amdhsa_forward_progress 1
		.amdhsa_inst_pref_size 37
		.amdhsa_round_robin_scheduling 0
		.amdhsa_exception_fp_ieee_invalid_op 0
		.amdhsa_exception_fp_denorm_src 0
		.amdhsa_exception_fp_ieee_div_zero 0
		.amdhsa_exception_fp_ieee_overflow 0
		.amdhsa_exception_fp_ieee_underflow 0
		.amdhsa_exception_fp_ieee_inexact 0
		.amdhsa_exception_int_div_zero 0
	.end_amdhsa_kernel
	.section	.text._ZN9rocsparseL41csrgemm_numeric_fill_block_per_row_kernelILj1024ELj64ELj32768ELj137ELj32Ell21rocsparse_complex_numIfEEEvT5_PKS3_S5_NS_24const_host_device_scalarIT6_EEPKT4_S5_PKS7_SB_S5_SD_S8_SB_S5_SD_SB_S5_PS7_21rocsparse_index_base_SF_SF_SF_bbb,"axG",@progbits,_ZN9rocsparseL41csrgemm_numeric_fill_block_per_row_kernelILj1024ELj64ELj32768ELj137ELj32Ell21rocsparse_complex_numIfEEEvT5_PKS3_S5_NS_24const_host_device_scalarIT6_EEPKT4_S5_PKS7_SB_S5_SD_S8_SB_S5_SD_SB_S5_PS7_21rocsparse_index_base_SF_SF_SF_bbb,comdat
.Lfunc_end136:
	.size	_ZN9rocsparseL41csrgemm_numeric_fill_block_per_row_kernelILj1024ELj64ELj32768ELj137ELj32Ell21rocsparse_complex_numIfEEEvT5_PKS3_S5_NS_24const_host_device_scalarIT6_EEPKT4_S5_PKS7_SB_S5_SD_S8_SB_S5_SD_SB_S5_PS7_21rocsparse_index_base_SF_SF_SF_bbb, .Lfunc_end136-_ZN9rocsparseL41csrgemm_numeric_fill_block_per_row_kernelILj1024ELj64ELj32768ELj137ELj32Ell21rocsparse_complex_numIfEEEvT5_PKS3_S5_NS_24const_host_device_scalarIT6_EEPKT4_S5_PKS7_SB_S5_SD_S8_SB_S5_SD_SB_S5_PS7_21rocsparse_index_base_SF_SF_SF_bbb
                                        ; -- End function
	.set _ZN9rocsparseL41csrgemm_numeric_fill_block_per_row_kernelILj1024ELj64ELj32768ELj137ELj32Ell21rocsparse_complex_numIfEEEvT5_PKS3_S5_NS_24const_host_device_scalarIT6_EEPKT4_S5_PKS7_SB_S5_SD_S8_SB_S5_SD_SB_S5_PS7_21rocsparse_index_base_SF_SF_SF_bbb.num_vgpr, 24
	.set _ZN9rocsparseL41csrgemm_numeric_fill_block_per_row_kernelILj1024ELj64ELj32768ELj137ELj32Ell21rocsparse_complex_numIfEEEvT5_PKS3_S5_NS_24const_host_device_scalarIT6_EEPKT4_S5_PKS7_SB_S5_SD_S8_SB_S5_SD_SB_S5_PS7_21rocsparse_index_base_SF_SF_SF_bbb.num_agpr, 0
	.set _ZN9rocsparseL41csrgemm_numeric_fill_block_per_row_kernelILj1024ELj64ELj32768ELj137ELj32Ell21rocsparse_complex_numIfEEEvT5_PKS3_S5_NS_24const_host_device_scalarIT6_EEPKT4_S5_PKS7_SB_S5_SD_S8_SB_S5_SD_SB_S5_PS7_21rocsparse_index_base_SF_SF_SF_bbb.numbered_sgpr, 76
	.set _ZN9rocsparseL41csrgemm_numeric_fill_block_per_row_kernelILj1024ELj64ELj32768ELj137ELj32Ell21rocsparse_complex_numIfEEEvT5_PKS3_S5_NS_24const_host_device_scalarIT6_EEPKT4_S5_PKS7_SB_S5_SD_S8_SB_S5_SD_SB_S5_PS7_21rocsparse_index_base_SF_SF_SF_bbb.num_named_barrier, 0
	.set _ZN9rocsparseL41csrgemm_numeric_fill_block_per_row_kernelILj1024ELj64ELj32768ELj137ELj32Ell21rocsparse_complex_numIfEEEvT5_PKS3_S5_NS_24const_host_device_scalarIT6_EEPKT4_S5_PKS7_SB_S5_SD_S8_SB_S5_SD_SB_S5_PS7_21rocsparse_index_base_SF_SF_SF_bbb.private_seg_size, 0
	.set _ZN9rocsparseL41csrgemm_numeric_fill_block_per_row_kernelILj1024ELj64ELj32768ELj137ELj32Ell21rocsparse_complex_numIfEEEvT5_PKS3_S5_NS_24const_host_device_scalarIT6_EEPKT4_S5_PKS7_SB_S5_SD_S8_SB_S5_SD_SB_S5_PS7_21rocsparse_index_base_SF_SF_SF_bbb.uses_vcc, 1
	.set _ZN9rocsparseL41csrgemm_numeric_fill_block_per_row_kernelILj1024ELj64ELj32768ELj137ELj32Ell21rocsparse_complex_numIfEEEvT5_PKS3_S5_NS_24const_host_device_scalarIT6_EEPKT4_S5_PKS7_SB_S5_SD_S8_SB_S5_SD_SB_S5_PS7_21rocsparse_index_base_SF_SF_SF_bbb.uses_flat_scratch, 0
	.set _ZN9rocsparseL41csrgemm_numeric_fill_block_per_row_kernelILj1024ELj64ELj32768ELj137ELj32Ell21rocsparse_complex_numIfEEEvT5_PKS3_S5_NS_24const_host_device_scalarIT6_EEPKT4_S5_PKS7_SB_S5_SD_S8_SB_S5_SD_SB_S5_PS7_21rocsparse_index_base_SF_SF_SF_bbb.has_dyn_sized_stack, 0
	.set _ZN9rocsparseL41csrgemm_numeric_fill_block_per_row_kernelILj1024ELj64ELj32768ELj137ELj32Ell21rocsparse_complex_numIfEEEvT5_PKS3_S5_NS_24const_host_device_scalarIT6_EEPKT4_S5_PKS7_SB_S5_SD_S8_SB_S5_SD_SB_S5_PS7_21rocsparse_index_base_SF_SF_SF_bbb.has_recursion, 0
	.set _ZN9rocsparseL41csrgemm_numeric_fill_block_per_row_kernelILj1024ELj64ELj32768ELj137ELj32Ell21rocsparse_complex_numIfEEEvT5_PKS3_S5_NS_24const_host_device_scalarIT6_EEPKT4_S5_PKS7_SB_S5_SD_S8_SB_S5_SD_SB_S5_PS7_21rocsparse_index_base_SF_SF_SF_bbb.has_indirect_call, 0
	.section	.AMDGPU.csdata,"",@progbits
; Kernel info:
; codeLenInByte = 4684
; TotalNumSgprs: 78
; NumVgprs: 24
; ScratchSize: 0
; MemoryBound: 0
; FloatMode: 240
; IeeeMode: 1
; LDSByteSize: 0 bytes/workgroup (compile time only)
; SGPRBlocks: 0
; VGPRBlocks: 1
; NumSGPRsForWavesPerEU: 78
; NumVGPRsForWavesPerEU: 24
; NamedBarCnt: 0
; Occupancy: 16
; WaveLimiterHint : 1
; COMPUTE_PGM_RSRC2:SCRATCH_EN: 0
; COMPUTE_PGM_RSRC2:USER_SGPR: 2
; COMPUTE_PGM_RSRC2:TRAP_HANDLER: 0
; COMPUTE_PGM_RSRC2:TGID_X_EN: 1
; COMPUTE_PGM_RSRC2:TGID_Y_EN: 0
; COMPUTE_PGM_RSRC2:TGID_Z_EN: 0
; COMPUTE_PGM_RSRC2:TIDIG_COMP_CNT: 0
	.section	.text._ZN9rocsparseL41csrgemm_numeric_fill_block_per_row_kernelILj1024ELj64ELj32768ELj137ELj64Ell21rocsparse_complex_numIfEEEvT5_PKS3_S5_NS_24const_host_device_scalarIT6_EEPKT4_S5_PKS7_SB_S5_SD_S8_SB_S5_SD_SB_S5_PS7_21rocsparse_index_base_SF_SF_SF_bbb,"axG",@progbits,_ZN9rocsparseL41csrgemm_numeric_fill_block_per_row_kernelILj1024ELj64ELj32768ELj137ELj64Ell21rocsparse_complex_numIfEEEvT5_PKS3_S5_NS_24const_host_device_scalarIT6_EEPKT4_S5_PKS7_SB_S5_SD_S8_SB_S5_SD_SB_S5_PS7_21rocsparse_index_base_SF_SF_SF_bbb,comdat
	.globl	_ZN9rocsparseL41csrgemm_numeric_fill_block_per_row_kernelILj1024ELj64ELj32768ELj137ELj64Ell21rocsparse_complex_numIfEEEvT5_PKS3_S5_NS_24const_host_device_scalarIT6_EEPKT4_S5_PKS7_SB_S5_SD_S8_SB_S5_SD_SB_S5_PS7_21rocsparse_index_base_SF_SF_SF_bbb ; -- Begin function _ZN9rocsparseL41csrgemm_numeric_fill_block_per_row_kernelILj1024ELj64ELj32768ELj137ELj64Ell21rocsparse_complex_numIfEEEvT5_PKS3_S5_NS_24const_host_device_scalarIT6_EEPKT4_S5_PKS7_SB_S5_SD_S8_SB_S5_SD_SB_S5_PS7_21rocsparse_index_base_SF_SF_SF_bbb
	.p2align	8
	.type	_ZN9rocsparseL41csrgemm_numeric_fill_block_per_row_kernelILj1024ELj64ELj32768ELj137ELj64Ell21rocsparse_complex_numIfEEEvT5_PKS3_S5_NS_24const_host_device_scalarIT6_EEPKT4_S5_PKS7_SB_S5_SD_S8_SB_S5_SD_SB_S5_PS7_21rocsparse_index_base_SF_SF_SF_bbb,@function
_ZN9rocsparseL41csrgemm_numeric_fill_block_per_row_kernelILj1024ELj64ELj32768ELj137ELj64Ell21rocsparse_complex_numIfEEEvT5_PKS3_S5_NS_24const_host_device_scalarIT6_EEPKT4_S5_PKS7_SB_S5_SD_S8_SB_S5_SD_SB_S5_PS7_21rocsparse_index_base_SF_SF_SF_bbb: ; @_ZN9rocsparseL41csrgemm_numeric_fill_block_per_row_kernelILj1024ELj64ELj32768ELj137ELj64Ell21rocsparse_complex_numIfEEEvT5_PKS3_S5_NS_24const_host_device_scalarIT6_EEPKT4_S5_PKS7_SB_S5_SD_S8_SB_S5_SD_SB_S5_PS7_21rocsparse_index_base_SF_SF_SF_bbb
; %bb.0:
	s_clause 0x3
	s_load_b32 s33, s[0:1], 0x98
	s_load_b128 s[20:23], s[0:1], 0x88
	s_load_b64 s[34:35], s[0:1], 0x8
	s_load_b64 s[30:31], s[0:1], 0x50
	s_mov_b32 s3, 0
	s_mov_b32 s39, 0
	s_wait_kmcnt 0x0
	s_bitcmp1_b32 s33, 0
	s_cselect_b32 s40, -1, 0
	s_bitcmp1_b32 s33, 16
	s_cselect_b32 s2, -1, 0
	s_delay_alu instid0(SALU_CYCLE_1) | instskip(SKIP_2) | instid1(VALU_DEP_1)
	s_xor_b32 s4, s2, -1
	s_bitcmp0_b32 s33, 0
	v_cndmask_b32_e64 v1, 0, 1, s4
	v_cmp_ne_u32_e32 vcc_lo, 1, v1
	s_cbranch_scc1 .LBB137_5
; %bb.1:
	s_load_b64 s[2:3], s[0:1], 0x18
	s_and_b32 vcc_lo, exec_lo, vcc_lo
	s_wait_kmcnt 0x0
	s_mov_b32 s39, s2
	s_cbranch_vccnz .LBB137_3
; %bb.2:
	s_load_b32 s39, s[2:3], 0x0
.LBB137_3:
	s_and_not1_b32 vcc_lo, exec_lo, s4
	s_cbranch_vccnz .LBB137_5
; %bb.4:
	s_wait_xcnt 0x0
	s_load_b32 s3, s[2:3], 0x4
.LBB137_5:
	s_clause 0x4
	s_load_b64 s[28:29], s[0:1], 0x80
	s_load_b256 s[12:19], s[0:1], 0x58
	s_load_b128 s[24:27], s[0:1], 0x40
	s_load_b64 s[36:37], s[0:1], 0x10
	s_load_b256 s[4:11], s[0:1], 0x20
	s_bitcmp1_b32 s33, 8
	s_wait_xcnt 0x0
	s_cselect_b32 s2, -1, 0
	s_bfe_u32 s38, s33, 0x10008
	s_mov_b32 s33, 0
	s_cmp_eq_u32 s38, 0
	s_mov_b32 s38, 0
	s_cbranch_scc1 .LBB137_11
; %bb.6:
	v_cmp_ne_u32_e32 vcc_lo, 1, v1
	s_mov_b32 s33, s30
	s_cbranch_vccnz .LBB137_8
; %bb.7:
	s_load_b32 s33, s[30:31], 0x0
.LBB137_8:
	v_cmp_ne_u32_e32 vcc_lo, 1, v1
	s_cbranch_vccnz .LBB137_10
; %bb.9:
	s_wait_xcnt 0x0
	s_load_b32 s31, s[30:31], 0x4
.LBB137_10:
	s_wait_kmcnt 0x0
	s_mov_b32 s38, s31
.LBB137_11:
	s_load_b64 s[30:31], s[0:1], 0x0
	v_lshl_add_u32 v22, v0, 3, 0
	v_or_b32_e32 v23, 0xfffffc00, v0
	v_mov_b32_e32 v1, 0
	s_wait_xcnt 0x0
	s_mov_b32 s0, 0
	s_delay_alu instid0(VALU_DEP_2)
	v_dual_mov_b32 v4, v22 :: v_dual_mov_b32 v5, v23
	s_wait_kmcnt 0x0
	v_mov_b64_e32 v[2:3], s[30:31]
.LBB137_12:                             ; =>This Inner Loop Header: Depth=1
	s_delay_alu instid0(VALU_DEP_2) | instskip(NEXT) | instid1(VALU_DEP_3)
	v_add_nc_u32_e32 v5, 0x400, v5
	v_add_nc_u32_e32 v6, 0x40000, v4
	ds_store_b64 v4, v[2:3]
	v_add_nc_u32_e32 v4, 0x2000, v4
	v_cmp_lt_u32_e32 vcc_lo, 0x7bff, v5
	ds_store_2addr_b32 v6, v1, v1 offset1:1
	s_or_b32 s0, vcc_lo, s0
	s_delay_alu instid0(SALU_CYCLE_1)
	s_and_not1_b32 exec_lo, exec_lo, s0
	s_cbranch_execnz .LBB137_12
; %bb.13:
	s_or_b32 exec_lo, exec_lo, s0
	s_wait_dscnt 0x0
	s_barrier_signal -1
	s_barrier_wait -1
	s_load_b64 s[0:1], s[34:35], 0x0
	s_wait_xcnt 0x0
	s_bfe_u32 s34, ttmp6, 0x4000c
	s_and_b32 s35, ttmp6, 15
	s_add_co_i32 s34, s34, 1
	s_getreg_b32 s41, hwreg(HW_REG_IB_STS2, 6, 4)
	s_mul_i32 s34, ttmp9, s34
	v_lshrrev_b32_e32 v2, 6, v0
	s_add_co_i32 s35, s35, s34
	s_wait_kmcnt 0x0
	s_lshl_b64 s[0:1], s[0:1], 3
	s_cmp_eq_u32 s41, 0
	s_add_nc_u64 s[0:1], s[36:37], s[0:1]
	s_cselect_b32 s34, ttmp9, s35
	s_and_b32 vcc_lo, exec_lo, s40
	s_load_b64 s[34:35], s[0:1], s34 offset:0x0 scale_offset
	s_wait_xcnt 0x0
	s_mov_b32 s1, 0
	s_cbranch_vccz .LBB137_33
; %bb.14:
	s_wait_kmcnt 0x0
	s_lshl_b64 s[36:37], s[34:35], 3
	v_mov_b32_e32 v3, 0
	s_add_nc_u64 s[4:5], s[4:5], s[36:37]
	s_mov_b32 s0, s20
	s_load_b128 s[40:43], s[4:5], 0x0
	s_mov_b32 s20, exec_lo
	v_sub_nc_u64_e64 v[4:5], v[2:3], s[0:1]
	s_wait_kmcnt 0x0
	s_delay_alu instid0(VALU_DEP_1)
	v_add_nc_u64_e32 v[4:5], s[40:41], v[4:5]
	s_sub_nc_u64 s[4:5], s[42:43], s[0:1]
	s_delay_alu instid0(VALU_DEP_1) | instid1(SALU_CYCLE_1)
	v_cmpx_gt_i64_e64 s[4:5], v[4:5]
	s_cbranch_execz .LBB137_32
; %bb.15:
	v_dual_mov_b32 v7, v3 :: v_dual_bitop2_b32 v6, 63, v0 bitop3:0x40
	s_mov_b32 s37, 0
	s_mov_b32 s36, s21
	;; [unrolled: 1-line block ×3, first 2 shown]
	s_delay_alu instid0(VALU_DEP_1)
	v_sub_nc_u64_e64 v[6:7], v[6:7], s[36:37]
	s_branch .LBB137_17
.LBB137_16:                             ;   in Loop: Header=BB137_17 Depth=1
	s_or_b32 exec_lo, exec_lo, s40
	v_add_nc_u64_e32 v[4:5], 16, v[4:5]
	s_delay_alu instid0(VALU_DEP_1) | instskip(SKIP_1) | instid1(SALU_CYCLE_1)
	v_cmp_le_i64_e32 vcc_lo, s[4:5], v[4:5]
	s_or_b32 s21, vcc_lo, s21
	s_and_not1_b32 exec_lo, exec_lo, s21
	s_cbranch_execz .LBB137_32
.LBB137_17:                             ; =>This Loop Header: Depth=1
                                        ;     Child Loop BB137_21 Depth 2
                                        ;       Child Loop BB137_24 Depth 3
	v_lshl_add_u64 v[8:9], v[4:5], 3, s[6:7]
	s_mov_b32 s40, exec_lo
	global_load_b64 v[8:9], v[8:9], off
	s_wait_loadcnt 0x0
	s_wait_xcnt 0x0
	v_sub_nc_u64_e64 v[8:9], v[8:9], s[0:1]
	s_delay_alu instid0(VALU_DEP_1)
	v_lshl_add_u64 v[8:9], v[8:9], 3, s[10:11]
	global_load_b128 v[10:13], v[8:9], off
	s_wait_loadcnt 0x0
	s_wait_xcnt 0x0
	v_sub_nc_u64_e64 v[8:9], v[12:13], s[36:37]
	v_add_nc_u64_e32 v[10:11], v[10:11], v[6:7]
	s_delay_alu instid0(VALU_DEP_1)
	v_cmpx_lt_i64_e64 v[10:11], v[8:9]
	s_cbranch_execz .LBB137_16
; %bb.18:                               ;   in Loop: Header=BB137_17 Depth=1
	v_lshl_add_u64 v[12:13], v[4:5], 3, s[8:9]
	s_mov_b32 s41, 0
	global_load_b64 v[12:13], v[12:13], off
	s_wait_loadcnt 0x0
	v_mul_f32_e64 v1, v13, -s3
	s_delay_alu instid0(VALU_DEP_1) | instskip(NEXT) | instid1(VALU_DEP_1)
	v_dual_mul_f32 v3, s39, v13 :: v_dual_fmac_f32 v1, s39, v12
	v_fmac_f32_e32 v3, s3, v12
	s_branch .LBB137_21
.LBB137_19:                             ;   in Loop: Header=BB137_21 Depth=2
	s_or_b32 exec_lo, exec_lo, s43
.LBB137_20:                             ;   in Loop: Header=BB137_21 Depth=2
	s_delay_alu instid0(SALU_CYCLE_1) | instskip(SKIP_4) | instid1(VALU_DEP_3)
	s_or_b32 exec_lo, exec_lo, s42
	s_wait_loadcnt 0x0
	v_dual_mul_f32 v15, v13, -v3 :: v_dual_lshlrev_b32 v14, 3, v14
	v_mul_f32_e32 v13, v1, v13
	v_add_nc_u64_e32 v[10:11], 64, v[10:11]
	v_fmac_f32_e32 v15, v1, v12
	s_delay_alu instid0(VALU_DEP_4) | instskip(NEXT) | instid1(VALU_DEP_4)
	v_add3_u32 v14, 0, v14, 0x40000
	v_fmac_f32_e32 v13, v3, v12
	ds_add_f32 v14, v15
	ds_add_f32 v14, v13 offset:4
	v_cmp_ge_i64_e32 vcc_lo, v[10:11], v[8:9]
	s_or_b32 s41, vcc_lo, s41
	s_delay_alu instid0(SALU_CYCLE_1)
	s_and_not1_b32 exec_lo, exec_lo, s41
	s_cbranch_execz .LBB137_16
.LBB137_21:                             ;   Parent Loop BB137_17 Depth=1
                                        ; =>  This Loop Header: Depth=2
                                        ;       Child Loop BB137_24 Depth 3
	s_wait_xcnt 0x0
	v_lshlrev_b64_e32 v[12:13], 3, v[10:11]
	s_mov_b32 s42, exec_lo
	s_delay_alu instid0(VALU_DEP_1)
	v_add_nc_u64_e32 v[14:15], s[24:25], v[12:13]
	v_add_nc_u64_e32 v[12:13], s[26:27], v[12:13]
	global_load_b64 v[14:15], v[14:15], off
	global_load_b64 v[12:13], v[12:13], off
	s_wait_loadcnt 0x1
	v_sub_nc_u64_e64 v[16:17], v[14:15], s[36:37]
	s_wait_xcnt 0x1
	s_delay_alu instid0(VALU_DEP_1) | instskip(NEXT) | instid1(VALU_DEP_1)
	v_mul_lo_u32 v14, 0x89, v16
	v_and_b32_e32 v14, 0x7fff, v14
	s_delay_alu instid0(VALU_DEP_1)
	v_lshl_add_u32 v24, v14, 3, 0
	ds_load_b64 v[20:21], v24
	s_wait_dscnt 0x0
	s_wait_xcnt 0x0
	v_cmpx_ne_u64_e64 v[20:21], v[16:17]
	s_cbranch_execz .LBB137_20
; %bb.22:                               ;   in Loop: Header=BB137_21 Depth=2
	s_mov_b32 s43, 0
                                        ; implicit-def: $sgpr44
                                        ; implicit-def: $sgpr45
	s_branch .LBB137_24
.LBB137_23:                             ;   in Loop: Header=BB137_24 Depth=3
	s_or_b32 exec_lo, exec_lo, s48
	s_delay_alu instid0(SALU_CYCLE_1) | instskip(NEXT) | instid1(SALU_CYCLE_1)
	s_and_b32 s46, exec_lo, s47
	s_or_b32 s43, s46, s43
	s_and_not1_b32 s44, s44, exec_lo
	s_and_b32 s46, s45, exec_lo
	s_delay_alu instid0(SALU_CYCLE_1)
	s_or_b32 s44, s44, s46
	s_and_not1_b32 exec_lo, exec_lo, s43
	s_cbranch_execz .LBB137_30
.LBB137_24:                             ;   Parent Loop BB137_17 Depth=1
                                        ;     Parent Loop BB137_21 Depth=2
                                        ; =>    This Inner Loop Header: Depth=3
	v_mov_b64_e32 v[18:19], v[14:15]
	s_mov_b32 s46, 0
	s_mov_b32 s47, exec_lo
                                        ; implicit-def: $vgpr14_vgpr15
	v_cmpx_ne_u64_e64 s[30:31], v[20:21]
	s_xor_b32 s47, exec_lo, s47
; %bb.25:                               ;   in Loop: Header=BB137_24 Depth=3
	s_delay_alu instid0(VALU_DEP_2) | instskip(SKIP_1) | instid1(VALU_DEP_1)
	v_add_nc_u32_e32 v14, 1, v18
	s_mov_b32 s46, exec_lo
                                        ; implicit-def: $vgpr24
	v_and_b32_e32 v14, 0x7fff, v14
; %bb.26:                               ;   in Loop: Header=BB137_24 Depth=3
	s_and_not1_saveexec_b32 s47, s47
	s_cbranch_execz .LBB137_28
; %bb.27:                               ;   in Loop: Header=BB137_24 Depth=3
	v_mov_b64_e32 v[14:15], s[30:31]
	s_and_not1_b32 s46, s46, exec_lo
	ds_cmpstore_rtn_b64 v[14:15], v24, v[16:17], v[14:15]
	s_wait_dscnt 0x0
	v_cmp_ne_u64_e32 vcc_lo, s[30:31], v[14:15]
	v_mov_b64_e32 v[14:15], v[18:19]
	s_and_b32 s48, vcc_lo, exec_lo
	s_delay_alu instid0(SALU_CYCLE_1)
	s_or_b32 s46, s46, s48
.LBB137_28:                             ;   in Loop: Header=BB137_24 Depth=3
	s_or_b32 exec_lo, exec_lo, s47
	s_mov_b32 s47, -1
	s_or_b32 s45, s45, exec_lo
                                        ; implicit-def: $vgpr24
                                        ; implicit-def: $vgpr20_vgpr21
	s_and_saveexec_b32 s48, s46
	s_cbranch_execz .LBB137_23
; %bb.29:                               ;   in Loop: Header=BB137_24 Depth=3
	v_lshl_add_u32 v24, v14, 3, 0
	s_and_not1_b32 s45, s45, exec_lo
	ds_load_b64 v[20:21], v24
	s_wait_dscnt 0x0
	v_cmp_eq_u64_e32 vcc_lo, v[20:21], v[16:17]
	s_or_not1_b32 s47, vcc_lo, exec_lo
	s_branch .LBB137_23
.LBB137_30:                             ;   in Loop: Header=BB137_21 Depth=2
	s_or_b32 exec_lo, exec_lo, s43
	s_and_saveexec_b32 s43, s44
	s_delay_alu instid0(SALU_CYCLE_1)
	s_xor_b32 s43, exec_lo, s43
	s_cbranch_execz .LBB137_19
; %bb.31:                               ;   in Loop: Header=BB137_21 Depth=2
	v_mov_b32_e32 v14, v18
	s_branch .LBB137_19
.LBB137_32:
	s_or_b32 exec_lo, exec_lo, s20
.LBB137_33:
	s_delay_alu instid0(SALU_CYCLE_1)
	s_and_not1_b32 vcc_lo, exec_lo, s2
	s_cbranch_vccnz .LBB137_50
; %bb.34:
	s_wait_kmcnt 0x0
	s_lshl_b64 s[0:1], s[34:35], 3
	v_mov_b32_e32 v1, 0
	s_add_nc_u64 s[0:1], s[12:13], s[0:1]
	s_load_b128 s[4:7], s[0:1], 0x0
	s_wait_xcnt 0x0
	s_mov_b32 s1, 0
	s_mov_b32 s0, s23
	s_delay_alu instid0(SALU_CYCLE_1) | instskip(SKIP_1) | instid1(VALU_DEP_1)
	v_sub_nc_u64_e64 v[4:5], v[0:1], s[0:1]
	s_wait_kmcnt 0x0
	v_add_nc_u64_e32 v[4:5], s[4:5], v[4:5]
	s_sub_nc_u64 s[2:3], s[6:7], s[0:1]
	s_mov_b32 s4, exec_lo
	s_delay_alu instid0(VALU_DEP_1)
	v_cmpx_gt_i64_e64 s[2:3], v[4:5]
	s_cbranch_execz .LBB137_49
; %bb.35:
	s_mov_b32 s5, s1
	s_branch .LBB137_38
.LBB137_36:                             ;   in Loop: Header=BB137_38 Depth=1
	s_or_b32 exec_lo, exec_lo, s7
.LBB137_37:                             ;   in Loop: Header=BB137_38 Depth=1
	s_delay_alu instid0(SALU_CYCLE_1) | instskip(SKIP_4) | instid1(VALU_DEP_3)
	s_or_b32 exec_lo, exec_lo, s6
	s_wait_loadcnt 0x0
	v_mul_f32_e64 v1, v7, -s38
	v_dual_lshlrev_b32 v3, 3, v8 :: v_dual_mul_f32 v7, s33, v7
	v_add_nc_u64_e32 v[4:5], 0x400, v[4:5]
	v_fmac_f32_e32 v1, s33, v6
	s_delay_alu instid0(VALU_DEP_3) | instskip(NEXT) | instid1(VALU_DEP_4)
	v_add3_u32 v3, 0, v3, 0x40000
	v_fmac_f32_e32 v7, s38, v6
	ds_add_f32 v3, v1
	ds_add_f32 v3, v7 offset:4
	v_cmp_le_i64_e32 vcc_lo, s[2:3], v[4:5]
	s_or_b32 s5, vcc_lo, s5
	s_delay_alu instid0(SALU_CYCLE_1)
	s_and_not1_b32 exec_lo, exec_lo, s5
	s_cbranch_execz .LBB137_49
.LBB137_38:                             ; =>This Loop Header: Depth=1
                                        ;     Child Loop BB137_41 Depth 2
	v_lshlrev_b64_e32 v[6:7], 3, v[4:5]
	s_mov_b32 s6, exec_lo
	s_delay_alu instid0(VALU_DEP_1)
	v_add_nc_u64_e32 v[8:9], s[14:15], v[6:7]
	v_add_nc_u64_e32 v[6:7], s[16:17], v[6:7]
	global_load_b64 v[8:9], v[8:9], off
	global_load_b64 v[6:7], v[6:7], off
	s_wait_loadcnt 0x1
	v_sub_nc_u64_e64 v[10:11], v[8:9], s[0:1]
	s_delay_alu instid0(VALU_DEP_1) | instskip(NEXT) | instid1(VALU_DEP_1)
	v_mul_lo_u32 v1, 0x89, v10
	v_and_b32_e32 v8, 0x7fff, v1
	s_delay_alu instid0(VALU_DEP_1)
	v_lshl_add_u32 v1, v8, 3, 0
	ds_load_b64 v[14:15], v1
	s_wait_dscnt 0x0
	s_wait_xcnt 0x0
	v_cmpx_ne_u64_e64 v[14:15], v[10:11]
	s_cbranch_execz .LBB137_37
; %bb.39:                               ;   in Loop: Header=BB137_38 Depth=1
	s_mov_b32 s7, 0
                                        ; implicit-def: $sgpr8
                                        ; implicit-def: $sgpr9
	s_branch .LBB137_41
.LBB137_40:                             ;   in Loop: Header=BB137_41 Depth=2
	s_or_b32 exec_lo, exec_lo, s12
	s_delay_alu instid0(SALU_CYCLE_1) | instskip(NEXT) | instid1(SALU_CYCLE_1)
	s_and_b32 s10, exec_lo, s11
	s_or_b32 s7, s10, s7
	s_and_not1_b32 s8, s8, exec_lo
	s_and_b32 s10, s9, exec_lo
	s_delay_alu instid0(SALU_CYCLE_1)
	s_or_b32 s8, s8, s10
	s_and_not1_b32 exec_lo, exec_lo, s7
	s_cbranch_execz .LBB137_47
.LBB137_41:                             ;   Parent Loop BB137_38 Depth=1
                                        ; =>  This Inner Loop Header: Depth=2
	v_mov_b64_e32 v[12:13], v[8:9]
	s_mov_b32 s10, 0
	s_mov_b32 s11, exec_lo
                                        ; implicit-def: $vgpr8_vgpr9
	v_cmpx_ne_u64_e64 s[30:31], v[14:15]
	s_xor_b32 s11, exec_lo, s11
; %bb.42:                               ;   in Loop: Header=BB137_41 Depth=2
	s_delay_alu instid0(VALU_DEP_2) | instskip(SKIP_1) | instid1(VALU_DEP_1)
	v_add_nc_u32_e32 v1, 1, v12
	s_mov_b32 s10, exec_lo
	v_and_b32_e32 v8, 0x7fff, v1
                                        ; implicit-def: $vgpr1
; %bb.43:                               ;   in Loop: Header=BB137_41 Depth=2
	s_and_not1_saveexec_b32 s11, s11
	s_cbranch_execz .LBB137_45
; %bb.44:                               ;   in Loop: Header=BB137_41 Depth=2
	v_mov_b64_e32 v[8:9], s[30:31]
	s_and_not1_b32 s10, s10, exec_lo
	ds_cmpstore_rtn_b64 v[8:9], v1, v[10:11], v[8:9]
	s_wait_dscnt 0x0
	v_cmp_ne_u64_e32 vcc_lo, s[30:31], v[8:9]
	v_mov_b64_e32 v[8:9], v[12:13]
	s_and_b32 s12, vcc_lo, exec_lo
	s_delay_alu instid0(SALU_CYCLE_1)
	s_or_b32 s10, s10, s12
.LBB137_45:                             ;   in Loop: Header=BB137_41 Depth=2
	s_or_b32 exec_lo, exec_lo, s11
	s_mov_b32 s11, -1
	s_or_b32 s9, s9, exec_lo
                                        ; implicit-def: $vgpr1
                                        ; implicit-def: $vgpr14_vgpr15
	s_and_saveexec_b32 s12, s10
	s_cbranch_execz .LBB137_40
; %bb.46:                               ;   in Loop: Header=BB137_41 Depth=2
	v_lshl_add_u32 v1, v8, 3, 0
	s_and_not1_b32 s9, s9, exec_lo
	ds_load_b64 v[14:15], v1
	s_wait_dscnt 0x0
	v_cmp_eq_u64_e32 vcc_lo, v[14:15], v[10:11]
	s_or_not1_b32 s11, vcc_lo, exec_lo
	s_branch .LBB137_40
.LBB137_47:                             ;   in Loop: Header=BB137_38 Depth=1
	s_or_b32 exec_lo, exec_lo, s7
	s_and_saveexec_b32 s7, s8
	s_delay_alu instid0(SALU_CYCLE_1)
	s_xor_b32 s7, exec_lo, s7
	s_cbranch_execz .LBB137_36
; %bb.48:                               ;   in Loop: Header=BB137_38 Depth=1
	v_mov_b32_e32 v8, v12
	s_branch .LBB137_36
.LBB137_49:
	s_or_b32 exec_lo, exec_lo, s4
.LBB137_50:
	v_mbcnt_lo_u32_b32 v1, -1, 0
	v_lshlrev_b32_e32 v2, 3, v2
	v_mov_b64_e32 v[6:7], 0
	s_add_co_i32 s38, 0, 0x80078
	s_delay_alu instid0(SALU_CYCLE_1)
	v_dual_mov_b32 v3, 0 :: v_dual_mov_b32 v5, s38
	v_xor_b32_e32 v4, 31, v1
	v_add3_u32 v1, 0x80000, 0, v2
	v_cmp_lt_u32_e64 s0, 63, v0
	v_cmp_lt_u32_e64 s1, 0x7f, v0
	;; [unrolled: 1-line block ×3, first 2 shown]
	v_lshrrev_b32_e64 v4, v4, -1
	v_cmp_lt_u32_e64 s3, 0xff, v0
	v_cmp_lt_u32_e64 s4, 0x13f, v0
	;; [unrolled: 1-line block ×12, first 2 shown]
	s_mov_b32 s16, 0
	s_add_co_i32 s17, 0, 0x80000
	s_add_co_i32 s20, 0, 0x80008
	;; [unrolled: 1-line block ×15, first 2 shown]
	s_wait_dscnt 0x0
	s_barrier_signal -1
	s_barrier_wait -1
	v_cmp_eq_u32_e32 vcc_lo, 0x3ff, v0
	s_branch .LBB137_52
.LBB137_51:                             ;   in Loop: Header=BB137_52 Depth=1
	s_or_b32 exec_lo, exec_lo, s15
	s_wait_dscnt 0x0
	s_barrier_signal -1
	s_barrier_wait -1
	ds_load_b64 v[8:9], v5
	v_add_nc_u32_e32 v23, 0x400, v23
	v_add_nc_u32_e32 v22, 0x2000, v22
	s_delay_alu instid0(VALU_DEP_2)
	v_cmp_lt_u32_e64 s15, 0x7bff, v23
	s_or_b32 s16, s15, s16
	s_wait_dscnt 0x0
	v_add_nc_u64_e32 v[6:7], v[8:9], v[6:7]
	s_and_not1_b32 exec_lo, exec_lo, s16
	s_cbranch_execz .LBB137_86
.LBB137_52:                             ; =>This Inner Loop Header: Depth=1
	ds_load_b64 v[8:9], v22
	v_add_nc_u32_e32 v2, 0x40000, v22
	ds_load_2addr_b32 v[10:11], v2 offset1:1
	s_wait_dscnt 0x0
	s_barrier_signal -1
	s_barrier_wait -1
	v_cmp_gt_i64_e64 s15, s[30:31], v[8:9]
	s_bcnt1_i32_b32 s43, s15
	s_delay_alu instid0(SALU_CYCLE_1) | instskip(NEXT) | instid1(VALU_DEP_1)
	v_dual_mov_b32 v2, s43 :: v_dual_bitop2_b32 v12, s15, v4 bitop3:0x40
	v_bcnt_u32_b32 v12, v12, 0
	ds_store_b64 v1, v[2:3]
	s_wait_dscnt 0x0
	s_barrier_signal -1
	s_barrier_wait -1
	s_and_saveexec_b32 s43, s0
	s_cbranch_execnz .LBB137_69
; %bb.53:                               ;   in Loop: Header=BB137_52 Depth=1
	s_or_b32 exec_lo, exec_lo, s43
	s_and_saveexec_b32 s43, s1
	s_cbranch_execnz .LBB137_70
.LBB137_54:                             ;   in Loop: Header=BB137_52 Depth=1
	s_or_b32 exec_lo, exec_lo, s43
	s_and_saveexec_b32 s43, s2
	s_cbranch_execnz .LBB137_71
.LBB137_55:                             ;   in Loop: Header=BB137_52 Depth=1
	s_or_b32 exec_lo, exec_lo, s43
	s_and_saveexec_b32 s43, s3
	s_cbranch_execnz .LBB137_72
.LBB137_56:                             ;   in Loop: Header=BB137_52 Depth=1
	s_or_b32 exec_lo, exec_lo, s43
	s_and_saveexec_b32 s43, s4
	s_cbranch_execnz .LBB137_73
.LBB137_57:                             ;   in Loop: Header=BB137_52 Depth=1
	s_or_b32 exec_lo, exec_lo, s43
	s_and_saveexec_b32 s43, s5
	s_cbranch_execnz .LBB137_74
.LBB137_58:                             ;   in Loop: Header=BB137_52 Depth=1
	s_or_b32 exec_lo, exec_lo, s43
	s_and_saveexec_b32 s43, s6
	s_cbranch_execnz .LBB137_75
.LBB137_59:                             ;   in Loop: Header=BB137_52 Depth=1
	s_or_b32 exec_lo, exec_lo, s43
	s_and_saveexec_b32 s43, s7
	s_cbranch_execnz .LBB137_76
.LBB137_60:                             ;   in Loop: Header=BB137_52 Depth=1
	s_or_b32 exec_lo, exec_lo, s43
	s_and_saveexec_b32 s43, s8
	s_cbranch_execnz .LBB137_77
.LBB137_61:                             ;   in Loop: Header=BB137_52 Depth=1
	s_or_b32 exec_lo, exec_lo, s43
	s_and_saveexec_b32 s43, s9
	s_cbranch_execnz .LBB137_78
.LBB137_62:                             ;   in Loop: Header=BB137_52 Depth=1
	s_or_b32 exec_lo, exec_lo, s43
	s_and_saveexec_b32 s43, s10
	s_cbranch_execnz .LBB137_79
.LBB137_63:                             ;   in Loop: Header=BB137_52 Depth=1
	s_or_b32 exec_lo, exec_lo, s43
	s_and_saveexec_b32 s43, s11
	s_cbranch_execnz .LBB137_80
.LBB137_64:                             ;   in Loop: Header=BB137_52 Depth=1
	s_or_b32 exec_lo, exec_lo, s43
	s_and_saveexec_b32 s43, s12
	s_cbranch_execnz .LBB137_81
.LBB137_65:                             ;   in Loop: Header=BB137_52 Depth=1
	s_or_b32 exec_lo, exec_lo, s43
	s_and_saveexec_b32 s43, s13
	s_cbranch_execnz .LBB137_82
.LBB137_66:                             ;   in Loop: Header=BB137_52 Depth=1
	s_or_b32 exec_lo, exec_lo, s43
	s_and_saveexec_b32 s43, s14
	s_cbranch_execnz .LBB137_83
.LBB137_67:                             ;   in Loop: Header=BB137_52 Depth=1
	s_or_b32 exec_lo, exec_lo, s43
	v_ashrrev_i32_e32 v13, 31, v12
	s_and_saveexec_b32 s43, s15
	s_cbranch_execnz .LBB137_84
.LBB137_68:                             ;   in Loop: Header=BB137_52 Depth=1
	s_or_b32 exec_lo, exec_lo, s43
	s_and_saveexec_b32 s15, vcc_lo
	s_cbranch_execz .LBB137_51
	s_branch .LBB137_85
.LBB137_69:                             ;   in Loop: Header=BB137_52 Depth=1
	v_mov_b32_e32 v2, s17
	ds_load_b32 v2, v2
	s_wait_dscnt 0x0
	v_add_nc_u32_e32 v12, v2, v12
	s_or_b32 exec_lo, exec_lo, s43
	s_and_saveexec_b32 s43, s1
	s_cbranch_execz .LBB137_54
.LBB137_70:                             ;   in Loop: Header=BB137_52 Depth=1
	v_mov_b32_e32 v2, s20
	ds_load_b32 v2, v2
	s_wait_dscnt 0x0
	v_add_nc_u32_e32 v12, v12, v2
	s_or_b32 exec_lo, exec_lo, s43
	s_and_saveexec_b32 s43, s2
	s_cbranch_execz .LBB137_55
.LBB137_71:                             ;   in Loop: Header=BB137_52 Depth=1
	v_mov_b32_e32 v2, s21
	ds_load_b32 v2, v2
	s_wait_dscnt 0x0
	v_add_nc_u32_e32 v12, v12, v2
	s_or_b32 exec_lo, exec_lo, s43
	s_and_saveexec_b32 s43, s3
	s_cbranch_execz .LBB137_56
.LBB137_72:                             ;   in Loop: Header=BB137_52 Depth=1
	v_mov_b32_e32 v2, s23
	ds_load_b32 v2, v2
	s_wait_dscnt 0x0
	v_add_nc_u32_e32 v12, v12, v2
	s_or_b32 exec_lo, exec_lo, s43
	s_and_saveexec_b32 s43, s4
	s_cbranch_execz .LBB137_57
.LBB137_73:                             ;   in Loop: Header=BB137_52 Depth=1
	v_mov_b32_e32 v2, s24
	ds_load_b32 v2, v2
	s_wait_dscnt 0x0
	v_add_nc_u32_e32 v12, v12, v2
	s_or_b32 exec_lo, exec_lo, s43
	s_and_saveexec_b32 s43, s5
	s_cbranch_execz .LBB137_58
.LBB137_74:                             ;   in Loop: Header=BB137_52 Depth=1
	v_mov_b32_e32 v2, s25
	ds_load_b32 v2, v2
	s_wait_dscnt 0x0
	v_add_nc_u32_e32 v12, v12, v2
	s_or_b32 exec_lo, exec_lo, s43
	s_and_saveexec_b32 s43, s6
	s_cbranch_execz .LBB137_59
.LBB137_75:                             ;   in Loop: Header=BB137_52 Depth=1
	v_mov_b32_e32 v2, s26
	ds_load_b32 v2, v2
	s_wait_dscnt 0x0
	v_add_nc_u32_e32 v12, v12, v2
	s_or_b32 exec_lo, exec_lo, s43
	s_and_saveexec_b32 s43, s7
	s_cbranch_execz .LBB137_60
.LBB137_76:                             ;   in Loop: Header=BB137_52 Depth=1
	v_mov_b32_e32 v2, s27
	ds_load_b32 v2, v2
	s_wait_dscnt 0x0
	v_add_nc_u32_e32 v12, v12, v2
	s_or_b32 exec_lo, exec_lo, s43
	s_and_saveexec_b32 s43, s8
	s_cbranch_execz .LBB137_61
.LBB137_77:                             ;   in Loop: Header=BB137_52 Depth=1
	v_mov_b32_e32 v2, s33
	ds_load_b32 v2, v2
	s_wait_dscnt 0x0
	v_add_nc_u32_e32 v12, v12, v2
	s_or_b32 exec_lo, exec_lo, s43
	s_and_saveexec_b32 s43, s9
	s_cbranch_execz .LBB137_62
.LBB137_78:                             ;   in Loop: Header=BB137_52 Depth=1
	v_mov_b32_e32 v2, s36
	ds_load_b32 v2, v2
	s_wait_dscnt 0x0
	v_add_nc_u32_e32 v12, v12, v2
	s_or_b32 exec_lo, exec_lo, s43
	s_and_saveexec_b32 s43, s10
	s_cbranch_execz .LBB137_63
.LBB137_79:                             ;   in Loop: Header=BB137_52 Depth=1
	v_mov_b32_e32 v2, s37
	ds_load_b32 v2, v2
	s_wait_dscnt 0x0
	v_add_nc_u32_e32 v12, v12, v2
	s_or_b32 exec_lo, exec_lo, s43
	s_and_saveexec_b32 s43, s11
	s_cbranch_execz .LBB137_64
.LBB137_80:                             ;   in Loop: Header=BB137_52 Depth=1
	v_mov_b32_e32 v2, s39
	ds_load_b32 v2, v2
	s_wait_dscnt 0x0
	v_add_nc_u32_e32 v12, v12, v2
	s_or_b32 exec_lo, exec_lo, s43
	s_and_saveexec_b32 s43, s12
	s_cbranch_execz .LBB137_65
.LBB137_81:                             ;   in Loop: Header=BB137_52 Depth=1
	v_mov_b32_e32 v2, s40
	ds_load_b32 v2, v2
	s_wait_dscnt 0x0
	v_add_nc_u32_e32 v12, v12, v2
	s_or_b32 exec_lo, exec_lo, s43
	s_and_saveexec_b32 s43, s13
	s_cbranch_execz .LBB137_66
.LBB137_82:                             ;   in Loop: Header=BB137_52 Depth=1
	v_mov_b32_e32 v2, s41
	ds_load_b32 v2, v2
	s_wait_dscnt 0x0
	v_add_nc_u32_e32 v12, v12, v2
	s_or_b32 exec_lo, exec_lo, s43
	s_and_saveexec_b32 s43, s14
	s_cbranch_execz .LBB137_67
.LBB137_83:                             ;   in Loop: Header=BB137_52 Depth=1
	v_mov_b32_e32 v2, s42
	ds_load_b32 v2, v2
	s_wait_dscnt 0x0
	v_add_nc_u32_e32 v12, v12, v2
	s_or_b32 exec_lo, exec_lo, s43
	s_delay_alu instid0(VALU_DEP_1)
	v_ashrrev_i32_e32 v13, 31, v12
	s_and_saveexec_b32 s43, s15
	s_cbranch_execz .LBB137_68
.LBB137_84:                             ;   in Loop: Header=BB137_52 Depth=1
	v_add3_u32 v2, v6, -1, v12
	s_delay_alu instid0(VALU_DEP_1) | instskip(NEXT) | instid1(VALU_DEP_1)
	v_lshl_add_u32 v2, v2, 3, 0
	v_add_nc_u32_e32 v14, 0x40000, v2
	ds_store_b64 v2, v[8:9]
	ds_store_2addr_b32 v14, v10, v11 offset1:1
	s_or_b32 exec_lo, exec_lo, s43
	s_and_saveexec_b32 s15, vcc_lo
	s_cbranch_execz .LBB137_51
.LBB137_85:                             ;   in Loop: Header=BB137_52 Depth=1
	v_mov_b32_e32 v2, s38
	ds_store_b64 v2, v[12:13]
	s_branch .LBB137_51
.LBB137_86:
	s_or_b32 exec_lo, exec_lo, s16
	s_wait_kmcnt 0x0
	s_lshl_b64 s[0:1], s[34:35], 3
	v_mov_b32_e32 v1, 0
	s_add_nc_u64 s[4:5], s[18:19], s[0:1]
	s_mov_b32 s6, exec_lo
	s_load_b128 s[0:3], s[4:5], 0x0
	s_wait_kmcnt 0x0
	s_sub_nc_u64 s[4:5], s[2:3], s[0:1]
	s_delay_alu instid0(SALU_CYCLE_1)
	v_cmpx_gt_i64_e64 s[4:5], v[0:1]
	s_cbranch_execz .LBB137_96
; %bb.87:
	s_sub_nc_u64 s[8:9], s[0:1], s[2:3]
	s_and_b64 s[6:7], s[4:5], 7
	v_cmp_lt_u64_e64 s10, s[8:9], -7
	s_and_b64 s[2:3], s[4:5], -8
	s_mov_b32 s23, 0
	s_cmp_lg_u64 s[6:7], 0
	s_sub_nc_u64 s[0:1], s[0:1], s[22:23]
	s_cselect_b32 s11, -1, 0
	s_mov_b32 s12, 0
	s_branch .LBB137_89
.LBB137_88:                             ;   in Loop: Header=BB137_89 Depth=1
	v_add_nc_u64_e32 v[0:1], 0x400, v[0:1]
	s_wait_dscnt 0x1
	s_delay_alu instid0(VALU_DEP_2)
	v_lshl_add_u64 v[4:5], v[6:7], 3, s[28:29]
	s_wait_dscnt 0x0
	global_store_b64 v[4:5], v[2:3], off
	v_cmp_le_i64_e32 vcc_lo, s[4:5], v[0:1]
	s_or_b32 s12, vcc_lo, s12
	s_wait_xcnt 0x0
	s_and_not1_b32 exec_lo, exec_lo, s12
	s_cbranch_execz .LBB137_96
.LBB137_89:                             ; =>This Loop Header: Depth=1
                                        ;     Child Loop BB137_91 Depth 2
                                        ;     Child Loop BB137_95 Depth 2
	v_lshl_add_u32 v2, v0, 3, 0
	v_mov_b64_e32 v[6:7], s[0:1]
	s_and_not1_b32 vcc_lo, exec_lo, s10
	s_mov_b64 s[8:9], 0
	s_delay_alu instid0(VALU_DEP_2)
	v_add_nc_u32_e32 v3, 0x40000, v2
	ds_load_b64 v[4:5], v2
	ds_load_2addr_b32 v[2:3], v3 offset1:1
	s_cbranch_vccnz .LBB137_93
; %bb.90:                               ;   in Loop: Header=BB137_89 Depth=1
	v_mov_b64_e32 v[6:7], s[0:1]
	s_mov_b32 s13, 0
.LBB137_91:                             ;   Parent Loop BB137_89 Depth=1
                                        ; =>  This Inner Loop Header: Depth=2
	s_delay_alu instid0(SALU_CYCLE_1)
	v_dual_mov_b32 v20, s13 :: v_dual_mov_b32 v17, s23
	v_mov_b32_e32 v19, s23
	s_add_nc_u64 s[8:9], s[8:9], 8
	s_add_co_i32 s13, s13, 64
	ds_load_2addr_b64 v[8:11], v20 offset1:1
	ds_load_2addr_b64 v[12:15], v20 offset0:2 offset1:3
	s_cmp_eq_u64 s[2:3], s[8:9]
	s_wait_dscnt 0x1
	v_cmp_gt_i64_e32 vcc_lo, v[4:5], v[8:9]
	v_cndmask_b32_e64 v16, 0, 1, vcc_lo
	v_cmp_gt_i64_e32 vcc_lo, v[4:5], v[10:11]
	s_delay_alu instid0(VALU_DEP_2) | instskip(SKIP_4) | instid1(VALU_DEP_2)
	v_add_nc_u64_e32 v[10:11], v[6:7], v[16:17]
	ds_load_2addr_b64 v[6:9], v20 offset0:4 offset1:5
	v_cndmask_b32_e64 v18, 0, 1, vcc_lo
	s_wait_dscnt 0x1
	v_cmp_gt_i64_e32 vcc_lo, v[4:5], v[12:13]
	v_add_nc_u64_e32 v[10:11], v[10:11], v[18:19]
	v_cndmask_b32_e64 v16, 0, 1, vcc_lo
	v_cmp_gt_i64_e32 vcc_lo, v[4:5], v[14:15]
	s_delay_alu instid0(VALU_DEP_2)
	v_add_nc_u64_e32 v[14:15], v[10:11], v[16:17]
	ds_load_2addr_b64 v[10:13], v20 offset0:6 offset1:7
	v_cndmask_b32_e64 v18, 0, 1, vcc_lo
	s_wait_dscnt 0x1
	v_cmp_gt_i64_e32 vcc_lo, v[4:5], v[6:7]
	v_mov_b32_e32 v7, s23
	s_delay_alu instid0(VALU_DEP_3) | instskip(SKIP_3) | instid1(VALU_DEP_3)
	v_add_nc_u64_e32 v[14:15], v[14:15], v[18:19]
	v_cndmask_b32_e64 v16, 0, 1, vcc_lo
	v_cmp_gt_i64_e32 vcc_lo, v[4:5], v[8:9]
	v_mov_b32_e32 v9, s23
	v_add_nc_u64_e32 v[14:15], v[14:15], v[16:17]
	v_cndmask_b32_e64 v6, 0, 1, vcc_lo
	s_wait_dscnt 0x0
	v_cmp_gt_i64_e32 vcc_lo, v[4:5], v[10:11]
	v_mov_b32_e32 v11, s23
	s_delay_alu instid0(VALU_DEP_3) | instskip(SKIP_2) | instid1(VALU_DEP_2)
	v_add_nc_u64_e32 v[6:7], v[14:15], v[6:7]
	v_cndmask_b32_e64 v8, 0, 1, vcc_lo
	v_cmp_gt_i64_e32 vcc_lo, v[4:5], v[12:13]
	v_add_nc_u64_e32 v[6:7], v[6:7], v[8:9]
	v_cndmask_b32_e64 v10, 0, 1, vcc_lo
	s_delay_alu instid0(VALU_DEP_1)
	v_add_nc_u64_e32 v[6:7], v[6:7], v[10:11]
	s_cbranch_scc0 .LBB137_91
; %bb.92:                               ;   in Loop: Header=BB137_89 Depth=1
	s_mov_b64 s[8:9], s[2:3]
.LBB137_93:                             ;   in Loop: Header=BB137_89 Depth=1
	s_and_not1_b32 vcc_lo, exec_lo, s11
	s_cbranch_vccnz .LBB137_88
; %bb.94:                               ;   in Loop: Header=BB137_89 Depth=1
	s_lshl_b32 s8, s8, 3
	s_delay_alu instid0(SALU_CYCLE_1)
	s_add_co_i32 s13, s8, 0
	s_mov_b64 s[8:9], s[6:7]
.LBB137_95:                             ;   Parent Loop BB137_89 Depth=1
                                        ; =>  This Inner Loop Header: Depth=2
	v_dual_mov_b32 v8, s13 :: v_dual_mov_b32 v11, s23
	s_add_nc_u64 s[8:9], s[8:9], -1
	s_add_co_i32 s13, s13, 8
	s_cmp_lg_u64 s[8:9], 0
	ds_load_b64 v[8:9], v8
	s_wait_dscnt 0x0
	v_cmp_gt_i64_e32 vcc_lo, v[4:5], v[8:9]
	v_cndmask_b32_e64 v10, 0, 1, vcc_lo
	s_delay_alu instid0(VALU_DEP_1)
	v_add_nc_u64_e32 v[6:7], v[6:7], v[10:11]
	s_cbranch_scc1 .LBB137_95
	s_branch .LBB137_88
.LBB137_96:
	s_endpgm
	.section	.rodata,"a",@progbits
	.p2align	6, 0x0
	.amdhsa_kernel _ZN9rocsparseL41csrgemm_numeric_fill_block_per_row_kernelILj1024ELj64ELj32768ELj137ELj64Ell21rocsparse_complex_numIfEEEvT5_PKS3_S5_NS_24const_host_device_scalarIT6_EEPKT4_S5_PKS7_SB_S5_SD_S8_SB_S5_SD_SB_S5_PS7_21rocsparse_index_base_SF_SF_SF_bbb
		.amdhsa_group_segment_fixed_size 0
		.amdhsa_private_segment_fixed_size 0
		.amdhsa_kernarg_size 156
		.amdhsa_user_sgpr_count 2
		.amdhsa_user_sgpr_dispatch_ptr 0
		.amdhsa_user_sgpr_queue_ptr 0
		.amdhsa_user_sgpr_kernarg_segment_ptr 1
		.amdhsa_user_sgpr_dispatch_id 0
		.amdhsa_user_sgpr_kernarg_preload_length 0
		.amdhsa_user_sgpr_kernarg_preload_offset 0
		.amdhsa_user_sgpr_private_segment_size 0
		.amdhsa_wavefront_size32 1
		.amdhsa_uses_dynamic_stack 0
		.amdhsa_enable_private_segment 0
		.amdhsa_system_sgpr_workgroup_id_x 1
		.amdhsa_system_sgpr_workgroup_id_y 0
		.amdhsa_system_sgpr_workgroup_id_z 0
		.amdhsa_system_sgpr_workgroup_info 0
		.amdhsa_system_vgpr_workitem_id 0
		.amdhsa_next_free_vgpr 25
		.amdhsa_next_free_sgpr 49
		.amdhsa_named_barrier_count 0
		.amdhsa_reserve_vcc 1
		.amdhsa_float_round_mode_32 0
		.amdhsa_float_round_mode_16_64 0
		.amdhsa_float_denorm_mode_32 3
		.amdhsa_float_denorm_mode_16_64 3
		.amdhsa_fp16_overflow 0
		.amdhsa_memory_ordered 1
		.amdhsa_forward_progress 1
		.amdhsa_inst_pref_size 29
		.amdhsa_round_robin_scheduling 0
		.amdhsa_exception_fp_ieee_invalid_op 0
		.amdhsa_exception_fp_denorm_src 0
		.amdhsa_exception_fp_ieee_div_zero 0
		.amdhsa_exception_fp_ieee_overflow 0
		.amdhsa_exception_fp_ieee_underflow 0
		.amdhsa_exception_fp_ieee_inexact 0
		.amdhsa_exception_int_div_zero 0
	.end_amdhsa_kernel
	.section	.text._ZN9rocsparseL41csrgemm_numeric_fill_block_per_row_kernelILj1024ELj64ELj32768ELj137ELj64Ell21rocsparse_complex_numIfEEEvT5_PKS3_S5_NS_24const_host_device_scalarIT6_EEPKT4_S5_PKS7_SB_S5_SD_S8_SB_S5_SD_SB_S5_PS7_21rocsparse_index_base_SF_SF_SF_bbb,"axG",@progbits,_ZN9rocsparseL41csrgemm_numeric_fill_block_per_row_kernelILj1024ELj64ELj32768ELj137ELj64Ell21rocsparse_complex_numIfEEEvT5_PKS3_S5_NS_24const_host_device_scalarIT6_EEPKT4_S5_PKS7_SB_S5_SD_S8_SB_S5_SD_SB_S5_PS7_21rocsparse_index_base_SF_SF_SF_bbb,comdat
.Lfunc_end137:
	.size	_ZN9rocsparseL41csrgemm_numeric_fill_block_per_row_kernelILj1024ELj64ELj32768ELj137ELj64Ell21rocsparse_complex_numIfEEEvT5_PKS3_S5_NS_24const_host_device_scalarIT6_EEPKT4_S5_PKS7_SB_S5_SD_S8_SB_S5_SD_SB_S5_PS7_21rocsparse_index_base_SF_SF_SF_bbb, .Lfunc_end137-_ZN9rocsparseL41csrgemm_numeric_fill_block_per_row_kernelILj1024ELj64ELj32768ELj137ELj64Ell21rocsparse_complex_numIfEEEvT5_PKS3_S5_NS_24const_host_device_scalarIT6_EEPKT4_S5_PKS7_SB_S5_SD_S8_SB_S5_SD_SB_S5_PS7_21rocsparse_index_base_SF_SF_SF_bbb
                                        ; -- End function
	.set _ZN9rocsparseL41csrgemm_numeric_fill_block_per_row_kernelILj1024ELj64ELj32768ELj137ELj64Ell21rocsparse_complex_numIfEEEvT5_PKS3_S5_NS_24const_host_device_scalarIT6_EEPKT4_S5_PKS7_SB_S5_SD_S8_SB_S5_SD_SB_S5_PS7_21rocsparse_index_base_SF_SF_SF_bbb.num_vgpr, 25
	.set _ZN9rocsparseL41csrgemm_numeric_fill_block_per_row_kernelILj1024ELj64ELj32768ELj137ELj64Ell21rocsparse_complex_numIfEEEvT5_PKS3_S5_NS_24const_host_device_scalarIT6_EEPKT4_S5_PKS7_SB_S5_SD_S8_SB_S5_SD_SB_S5_PS7_21rocsparse_index_base_SF_SF_SF_bbb.num_agpr, 0
	.set _ZN9rocsparseL41csrgemm_numeric_fill_block_per_row_kernelILj1024ELj64ELj32768ELj137ELj64Ell21rocsparse_complex_numIfEEEvT5_PKS3_S5_NS_24const_host_device_scalarIT6_EEPKT4_S5_PKS7_SB_S5_SD_S8_SB_S5_SD_SB_S5_PS7_21rocsparse_index_base_SF_SF_SF_bbb.numbered_sgpr, 49
	.set _ZN9rocsparseL41csrgemm_numeric_fill_block_per_row_kernelILj1024ELj64ELj32768ELj137ELj64Ell21rocsparse_complex_numIfEEEvT5_PKS3_S5_NS_24const_host_device_scalarIT6_EEPKT4_S5_PKS7_SB_S5_SD_S8_SB_S5_SD_SB_S5_PS7_21rocsparse_index_base_SF_SF_SF_bbb.num_named_barrier, 0
	.set _ZN9rocsparseL41csrgemm_numeric_fill_block_per_row_kernelILj1024ELj64ELj32768ELj137ELj64Ell21rocsparse_complex_numIfEEEvT5_PKS3_S5_NS_24const_host_device_scalarIT6_EEPKT4_S5_PKS7_SB_S5_SD_S8_SB_S5_SD_SB_S5_PS7_21rocsparse_index_base_SF_SF_SF_bbb.private_seg_size, 0
	.set _ZN9rocsparseL41csrgemm_numeric_fill_block_per_row_kernelILj1024ELj64ELj32768ELj137ELj64Ell21rocsparse_complex_numIfEEEvT5_PKS3_S5_NS_24const_host_device_scalarIT6_EEPKT4_S5_PKS7_SB_S5_SD_S8_SB_S5_SD_SB_S5_PS7_21rocsparse_index_base_SF_SF_SF_bbb.uses_vcc, 1
	.set _ZN9rocsparseL41csrgemm_numeric_fill_block_per_row_kernelILj1024ELj64ELj32768ELj137ELj64Ell21rocsparse_complex_numIfEEEvT5_PKS3_S5_NS_24const_host_device_scalarIT6_EEPKT4_S5_PKS7_SB_S5_SD_S8_SB_S5_SD_SB_S5_PS7_21rocsparse_index_base_SF_SF_SF_bbb.uses_flat_scratch, 0
	.set _ZN9rocsparseL41csrgemm_numeric_fill_block_per_row_kernelILj1024ELj64ELj32768ELj137ELj64Ell21rocsparse_complex_numIfEEEvT5_PKS3_S5_NS_24const_host_device_scalarIT6_EEPKT4_S5_PKS7_SB_S5_SD_S8_SB_S5_SD_SB_S5_PS7_21rocsparse_index_base_SF_SF_SF_bbb.has_dyn_sized_stack, 0
	.set _ZN9rocsparseL41csrgemm_numeric_fill_block_per_row_kernelILj1024ELj64ELj32768ELj137ELj64Ell21rocsparse_complex_numIfEEEvT5_PKS3_S5_NS_24const_host_device_scalarIT6_EEPKT4_S5_PKS7_SB_S5_SD_S8_SB_S5_SD_SB_S5_PS7_21rocsparse_index_base_SF_SF_SF_bbb.has_recursion, 0
	.set _ZN9rocsparseL41csrgemm_numeric_fill_block_per_row_kernelILj1024ELj64ELj32768ELj137ELj64Ell21rocsparse_complex_numIfEEEvT5_PKS3_S5_NS_24const_host_device_scalarIT6_EEPKT4_S5_PKS7_SB_S5_SD_S8_SB_S5_SD_SB_S5_PS7_21rocsparse_index_base_SF_SF_SF_bbb.has_indirect_call, 0
	.section	.AMDGPU.csdata,"",@progbits
; Kernel info:
; codeLenInByte = 3680
; TotalNumSgprs: 51
; NumVgprs: 25
; ScratchSize: 0
; MemoryBound: 0
; FloatMode: 240
; IeeeMode: 1
; LDSByteSize: 0 bytes/workgroup (compile time only)
; SGPRBlocks: 0
; VGPRBlocks: 1
; NumSGPRsForWavesPerEU: 51
; NumVGPRsForWavesPerEU: 25
; NamedBarCnt: 0
; Occupancy: 16
; WaveLimiterHint : 1
; COMPUTE_PGM_RSRC2:SCRATCH_EN: 0
; COMPUTE_PGM_RSRC2:USER_SGPR: 2
; COMPUTE_PGM_RSRC2:TRAP_HANDLER: 0
; COMPUTE_PGM_RSRC2:TGID_X_EN: 1
; COMPUTE_PGM_RSRC2:TGID_Y_EN: 0
; COMPUTE_PGM_RSRC2:TGID_Z_EN: 0
; COMPUTE_PGM_RSRC2:TIDIG_COMP_CNT: 0
	.section	.text._ZN9rocsparseL51csrgemm_numeric_fill_block_per_row_multipass_kernelILj512ELj16ELj2048ELj32Ell21rocsparse_complex_numIfEEEvT4_PKS3_S5_NS_24const_host_device_scalarIT5_EEPKT3_S5_PKS7_SB_S5_SD_S8_SB_S5_SD_SB_S5_PS7_PS9_21rocsparse_index_base_SG_SG_SG_bbb,"axG",@progbits,_ZN9rocsparseL51csrgemm_numeric_fill_block_per_row_multipass_kernelILj512ELj16ELj2048ELj32Ell21rocsparse_complex_numIfEEEvT4_PKS3_S5_NS_24const_host_device_scalarIT5_EEPKT3_S5_PKS7_SB_S5_SD_S8_SB_S5_SD_SB_S5_PS7_PS9_21rocsparse_index_base_SG_SG_SG_bbb,comdat
	.globl	_ZN9rocsparseL51csrgemm_numeric_fill_block_per_row_multipass_kernelILj512ELj16ELj2048ELj32Ell21rocsparse_complex_numIfEEEvT4_PKS3_S5_NS_24const_host_device_scalarIT5_EEPKT3_S5_PKS7_SB_S5_SD_S8_SB_S5_SD_SB_S5_PS7_PS9_21rocsparse_index_base_SG_SG_SG_bbb ; -- Begin function _ZN9rocsparseL51csrgemm_numeric_fill_block_per_row_multipass_kernelILj512ELj16ELj2048ELj32Ell21rocsparse_complex_numIfEEEvT4_PKS3_S5_NS_24const_host_device_scalarIT5_EEPKT3_S5_PKS7_SB_S5_SD_S8_SB_S5_SD_SB_S5_PS7_PS9_21rocsparse_index_base_SG_SG_SG_bbb
	.p2align	8
	.type	_ZN9rocsparseL51csrgemm_numeric_fill_block_per_row_multipass_kernelILj512ELj16ELj2048ELj32Ell21rocsparse_complex_numIfEEEvT4_PKS3_S5_NS_24const_host_device_scalarIT5_EEPKT3_S5_PKS7_SB_S5_SD_S8_SB_S5_SD_SB_S5_PS7_PS9_21rocsparse_index_base_SG_SG_SG_bbb,@function
_ZN9rocsparseL51csrgemm_numeric_fill_block_per_row_multipass_kernelILj512ELj16ELj2048ELj32Ell21rocsparse_complex_numIfEEEvT4_PKS3_S5_NS_24const_host_device_scalarIT5_EEPKT3_S5_PKS7_SB_S5_SD_S8_SB_S5_SD_SB_S5_PS7_PS9_21rocsparse_index_base_SG_SG_SG_bbb: ; @_ZN9rocsparseL51csrgemm_numeric_fill_block_per_row_multipass_kernelILj512ELj16ELj2048ELj32Ell21rocsparse_complex_numIfEEEvT4_PKS3_S5_NS_24const_host_device_scalarIT5_EEPKT3_S5_PKS7_SB_S5_SD_S8_SB_S5_SD_SB_S5_PS7_PS9_21rocsparse_index_base_SG_SG_SG_bbb
; %bb.0:
	s_clause 0x3
	s_load_b32 s8, s[0:1], 0xa0
	s_load_b128 s[28:31], s[0:1], 0x90
	s_load_b64 s[2:3], s[0:1], 0x8
	s_load_b64 s[4:5], s[0:1], 0x50
	s_mov_b32 s35, 0
	s_mov_b32 s33, 0
	s_wait_kmcnt 0x0
	s_bitcmp1_b32 s8, 0
	s_cselect_b32 s18, -1, 0
	s_bitcmp1_b32 s8, 16
	s_cselect_b32 s6, -1, 0
	s_delay_alu instid0(SALU_CYCLE_1)
	s_xor_b32 s9, s6, -1
	s_bitcmp0_b32 s8, 0
	s_cbranch_scc1 .LBB138_5
; %bb.1:
	s_load_b64 s[34:35], s[0:1], 0x18
	s_and_not1_b32 vcc_lo, exec_lo, s9
	s_wait_kmcnt 0x0
	s_mov_b32 s33, s34
	s_cbranch_vccnz .LBB138_3
; %bb.2:
	s_load_b32 s33, s[34:35], 0x0
.LBB138_3:
	s_and_not1_b32 vcc_lo, exec_lo, s9
	s_cbranch_vccnz .LBB138_5
; %bb.4:
	s_wait_xcnt 0x0
	s_load_b32 s35, s[34:35], 0x4
.LBB138_5:
	s_clause 0x4
	s_load_b128 s[44:47], s[0:1], 0x80
	s_load_b256 s[20:27], s[0:1], 0x58
	s_load_b128 s[48:51], s[0:1], 0x40
	s_load_b64 s[6:7], s[0:1], 0x10
	s_load_b256 s[36:43], s[0:1], 0x20
	s_bitcmp1_b32 s8, 8
	s_mov_b32 s58, 0
	s_wait_xcnt 0x0
	s_cselect_b32 s34, -1, 0
	s_bfe_u32 s8, s8, 0x10008
	s_mov_b32 s59, 0
	s_cmp_eq_u32 s8, 0
	s_cbranch_scc1 .LBB138_11
; %bb.6:
	v_cndmask_b32_e64 v1, 0, 1, s9
	s_and_not1_b32 vcc_lo, exec_lo, s9
	s_mov_b32 s58, s4
	s_cbranch_vccnz .LBB138_8
; %bb.7:
	s_load_b32 s58, s[4:5], 0x0
.LBB138_8:
	s_delay_alu instid0(VALU_DEP_1)
	v_cmp_ne_u32_e32 vcc_lo, 1, v1
	s_cbranch_vccnz .LBB138_10
; %bb.9:
	s_wait_xcnt 0x0
	s_load_b32 s5, s[4:5], 0x4
.LBB138_10:
	s_wait_kmcnt 0x0
	s_mov_b32 s59, s5
.LBB138_11:
	s_load_b64 s[2:3], s[2:3], 0x0
	s_bfe_u32 s4, ttmp6, 0x4000c
	s_and_b32 s5, ttmp6, 15
	s_add_co_i32 s4, s4, 1
	s_getreg_b32 s8, hwreg(HW_REG_IB_STS2, 6, 4)
	s_mul_i32 s4, ttmp9, s4
	s_mov_b64 s[52:53], 0
	s_add_co_i32 s5, s5, s4
	s_wait_kmcnt 0x0
	s_lshl_b64 s[2:3], s[2:3], 3
	s_cmp_eq_u32 s8, 0
	s_add_nc_u64 s[2:3], s[6:7], s[2:3]
	s_cselect_b32 s4, ttmp9, s5
	s_mov_b32 s7, 0
	s_load_b64 s[4:5], s[2:3], s4 offset:0x0 scale_offset
	s_and_not1_b32 vcc_lo, exec_lo, s18
	s_wait_xcnt 0x0
	s_mov_b64 s[2:3], 0
	s_cbranch_vccz .LBB138_14
; %bb.12:
	s_and_not1_b32 vcc_lo, exec_lo, s18
	s_cbranch_vccz .LBB138_15
.LBB138_13:
	s_load_b64 s[36:37], s[0:1], 0x0
	s_wait_kmcnt 0x0
	v_cmp_lt_i64_e64 s0, s[36:37], 1
	s_and_b32 vcc_lo, exec_lo, s0
	s_cbranch_vccz .LBB138_16
	s_branch .LBB138_69
.LBB138_14:
	s_wait_kmcnt 0x0
	s_lshl_b64 s[2:3], s[4:5], 3
	s_mov_b32 s6, s28
	s_add_nc_u64 s[2:3], s[36:37], s[2:3]
	s_load_b64 s[2:3], s[2:3], 0x0
	s_wait_kmcnt 0x0
	s_sub_nc_u64 s[2:3], s[2:3], s[6:7]
	s_and_not1_b32 vcc_lo, exec_lo, s18
	s_cbranch_vccnz .LBB138_13
.LBB138_15:
	s_wait_kmcnt 0x0
	s_lshl_b64 s[6:7], s[4:5], 3
	s_mov_b32 s9, 0
	s_add_nc_u64 s[6:7], s[36:37], s[6:7]
	s_mov_b32 s8, s28
	s_load_b64 s[6:7], s[6:7], 0x8
	s_wait_kmcnt 0x0
	s_sub_nc_u64 s[52:53], s[6:7], s[8:9]
	s_load_b64 s[36:37], s[0:1], 0x0
	s_wait_kmcnt 0x0
	v_cmp_lt_i64_e64 s0, s[36:37], 1
	s_and_b32 vcc_lo, exec_lo, s0
	s_cbranch_vccnz .LBB138_69
.LBB138_16:
	s_lshl_b64 s[4:5], s[4:5], 3
	v_mbcnt_lo_u32_b32 v8, -1, 0
	s_add_nc_u64 s[0:1], s[26:27], s[4:5]
	v_dual_lshrrev_b32 v2, 4, v0 :: v_dual_bitop2_b32 v1, 15, v0 bitop3:0x40
	s_load_b64 s[6:7], s[0:1], 0x0
	s_delay_alu instid0(VALU_DEP_2) | instskip(SKIP_1) | instid1(VALU_DEP_2)
	v_dual_mov_b32 v3, 0 :: v_dual_bitop2_b32 v6, 8, v8 bitop3:0x14
	s_wait_xcnt 0x0
	v_cmp_eq_u32_e64 s1, 15, v1
	s_mov_b32 s55, 0
	s_mov_b32 s54, s30
	v_add_nc_u64_e32 v[4:5], s[2:3], v[2:3]
	v_dual_mov_b32 v2, v1 :: v_dual_mov_b32 v1, v3
	v_cmp_gt_i32_e32 vcc_lo, 32, v6
	v_xor_b32_e32 v10, 4, v8
	s_add_nc_u64 s[56:57], s[20:21], s[4:5]
	v_cmp_eq_u32_e64 s0, 0, v0
	v_cmp_gt_u32_e64 s3, 32, v0
	v_dual_cndmask_b32 v9, v8, v6, vcc_lo :: v_dual_bitop2_b32 v11, 2, v8 bitop3:0x14
	v_cmp_gt_i32_e64 s2, 32, v10
	v_cmp_gt_i64_e32 vcc_lo, s[52:53], v[4:5]
	v_cmp_gt_u32_e64 s4, 64, v0
	s_delay_alu instid0(VALU_DEP_4)
	v_lshlrev_b32_e32 v9, 2, v9
	s_wait_kmcnt 0x0
	s_sub_nc_u64 s[20:21], s[6:7], s[54:55]
	s_mov_b32 s54, s31
	v_cndmask_b32_e64 v10, v8, v10, s2
	v_sub_nc_u64_e64 v[6:7], v[0:1], s[54:55]
	v_xor_b32_e32 v1, 1, v8
	v_cmp_gt_i32_e64 s2, 32, v11
	v_cmp_gt_u32_e64 s5, 0x60, v0
	v_cmp_gt_u32_e64 s6, 0x80, v0
	;; [unrolled: 1-line block ×4, first 2 shown]
	v_cndmask_b32_e64 v11, v8, v11, s2
	v_cmp_gt_i32_e64 s2, 32, v1
	v_lshlrev_b32_e32 v36, 2, v10
	v_cmp_gt_u32_e64 s9, 0xe0, v0
	v_cmp_gt_u32_e64 s10, 0x100, v0
	;; [unrolled: 1-line block ×3, first 2 shown]
	v_dual_cndmask_b32 v1, v8, v1, s2 :: v_dual_lshrrev_b32 v12, 3, v0
	v_dual_lshlrev_b32 v37, 2, v11 :: v_dual_bitop2_b32 v8, 31, v8 bitop3:0x14
	v_cmp_eq_u32_e64 s2, 0x1ff, v0
	s_delay_alu instid0(VALU_DEP_3)
	v_dual_lshlrev_b32 v38, 2, v1 :: v_dual_bitop2_b32 v39, 60, v12 bitop3:0x40
	v_cmp_gt_u32_e64 s12, 0x140, v0
	v_cmp_gt_u32_e64 s13, 0x160, v0
	;; [unrolled: 1-line block ×6, first 2 shown]
	v_or_b32_e32 v40, 0xfffffe00, v0
	v_dual_mov_b32 v42, 1 :: v_dual_lshlrev_b32 v41, 3, v0
	v_mov_b64_e32 v[12:13], 0
	v_mov_b64_e32 v[14:15], 0x800
	;; [unrolled: 1-line block ×4, first 2 shown]
	v_lshrrev_b32_e64 v8, v8, -1
	s_mov_b32 s26, s29
	s_mov_b32 s29, s55
	;; [unrolled: 1-line block ×3, first 2 shown]
	s_and_b32 s60, s18, vcc_lo
	s_add_nc_u64 s[30:31], s[50:51], 4
	s_add_nc_u64 s[24:25], s[24:25], 4
	s_branch .LBB138_18
.LBB138_17:                             ;   in Loop: Header=BB138_18 Depth=1
	s_or_b32 exec_lo, exec_lo, s18
	ds_load_b64 v[12:13], v3 offset:18432
	s_wait_dscnt 0x0
	s_barrier_signal -1
	s_barrier_wait -1
	v_cmp_le_i64_e32 vcc_lo, s[36:37], v[12:13]
	v_add_nc_u64_e32 v[14:15], 0x800, v[12:13]
	s_cbranch_vccnz .LBB138_69
.LBB138_18:                             ; =>This Loop Header: Depth=1
                                        ;     Child Loop BB138_19 Depth 2
                                        ;     Child Loop BB138_25 Depth 2
                                        ;       Child Loop BB138_31 Depth 3
                                        ;     Child Loop BB138_48 Depth 2
                                        ;     Child Loop BB138_60 Depth 2
	;; [unrolled: 1-line block ×3, first 2 shown]
	v_dual_mov_b32 v16, v41 :: v_dual_mov_b32 v17, v40
	s_mov_b32 s18, 0
.LBB138_19:                             ;   Parent Loop BB138_18 Depth=1
                                        ; =>  This Inner Loop Header: Depth=2
	ds_store_b8 v17, v3 offset:16896
	v_add_nc_u32_e32 v17, 0x200, v17
	ds_store_b64 v16, v[10:11]
	v_add_nc_u32_e32 v16, 0x1000, v16
	v_cmp_lt_u32_e32 vcc_lo, 0x5ff, v17
	s_or_b32 s18, vcc_lo, s18
	s_delay_alu instid0(SALU_CYCLE_1)
	s_and_not1_b32 exec_lo, exec_lo, s18
	s_cbranch_execnz .LBB138_19
; %bb.20:                               ;   in Loop: Header=BB138_18 Depth=1
	s_or_b32 exec_lo, exec_lo, s18
	s_and_saveexec_b32 s18, s0
; %bb.21:                               ;   in Loop: Header=BB138_18 Depth=1
	v_mov_b64_e32 v[16:17], s[36:37]
	ds_store_b64 v3, v[16:17] offset:18432
; %bb.22:                               ;   in Loop: Header=BB138_18 Depth=1
	s_or_b32 exec_lo, exec_lo, s18
	v_mov_b64_e32 v[16:17], s[36:37]
	s_wait_dscnt 0x0
	s_barrier_signal -1
	s_barrier_wait -1
	s_and_saveexec_b32 s21, s60
	s_cbranch_execz .LBB138_44
; %bb.23:                               ;   in Loop: Header=BB138_18 Depth=1
	v_cmp_ne_u64_e64 s18, 0, v[12:13]
	v_mov_b64_e32 v[16:17], s[36:37]
	v_mov_b64_e32 v[18:19], v[4:5]
	s_mov_b32 s50, 0
	s_branch .LBB138_25
.LBB138_24:                             ;   in Loop: Header=BB138_25 Depth=2
	s_wait_xcnt 0x0
	s_or_b32 exec_lo, exec_lo, s19
	v_add_nc_u64_e32 v[18:19], 32, v[18:19]
	s_delay_alu instid0(VALU_DEP_1) | instskip(SKIP_1) | instid1(SALU_CYCLE_1)
	v_cmp_le_i64_e32 vcc_lo, s[52:53], v[18:19]
	s_or_b32 s50, vcc_lo, s50
	s_and_not1_b32 exec_lo, exec_lo, s50
	s_cbranch_execz .LBB138_43
.LBB138_25:                             ;   Parent Loop BB138_18 Depth=1
                                        ; =>  This Loop Header: Depth=2
                                        ;       Child Loop BB138_31 Depth 3
	s_delay_alu instid0(VALU_DEP_1) | instskip(SKIP_1) | instid1(VALU_DEP_1)
	v_lshlrev_b64_e32 v[20:21], 3, v[18:19]
	s_and_b32 vcc_lo, exec_lo, s18
	v_add_nc_u64_e32 v[22:23], s[38:39], v[20:21]
	v_add_nc_u64_e32 v[20:21], s[40:41], v[20:21]
	s_wait_dscnt 0x0
	global_load_b64 v[24:25], v[22:23], off
	global_load_b64 v[30:31], v[20:21], off
	s_wait_xcnt 0x0
	v_lshl_add_u64 v[20:21], v[18:19], 3, s[46:47]
	s_cbranch_vccz .LBB138_42
; %bb.26:                               ;   in Loop: Header=BB138_25 Depth=2
	global_load_b64 v[22:23], v[20:21], off
	s_wait_loadcnt 0x2
	v_sub_nc_u64_e64 v[24:25], v[24:25], s[28:29]
	s_delay_alu instid0(VALU_DEP_1)
	v_lshl_add_u64 v[24:25], v[24:25], 3, s[42:43]
	s_cbranch_execnz .LBB138_28
.LBB138_27:                             ;   in Loop: Header=BB138_25 Depth=2
	s_wait_loadcnt 0x0
	global_load_b64 v[22:23], v[24:25], off
	s_wait_loadcnt 0x0
	v_sub_nc_u64_e64 v[22:23], v[22:23], s[26:27]
.LBB138_28:                             ;   in Loop: Header=BB138_25 Depth=2
	global_load_b64 v[24:25], v[24:25], off offset:8
	s_wait_loadcnt 0x1
	v_add_nc_u64_e32 v[22:23], v[22:23], v[2:3]
	s_mov_b32 s51, exec_lo
	s_wait_loadcnt 0x0
	s_wait_xcnt 0x0
	v_sub_nc_u64_e64 v[24:25], v[24:25], s[26:27]
	s_delay_alu instid0(VALU_DEP_1)
	v_cmpx_lt_i64_e64 v[22:23], v[24:25]
	s_cbranch_execz .LBB138_40
; %bb.29:                               ;   in Loop: Header=BB138_25 Depth=2
	v_lshlrev_b64_e32 v[28:29], 3, v[22:23]
	v_mul_f32_e64 v43, v31, -s35
	v_mul_f32_e32 v44, s33, v31
	v_mov_b64_e32 v[34:35], v[22:23]
	s_mov_b32 s62, 0
                                        ; implicit-def: $sgpr61
                                        ; implicit-def: $sgpr63
	s_delay_alu instid0(VALU_DEP_3)
	v_fmac_f32_e32 v43, s33, v30
	v_add_nc_u64_e32 v[26:27], s[48:49], v[28:29]
	v_add_nc_u64_e32 v[28:29], s[30:31], v[28:29]
	v_fmac_f32_e32 v44, s35, v30
	s_branch .LBB138_31
.LBB138_30:                             ;   in Loop: Header=BB138_31 Depth=3
	s_or_b32 exec_lo, exec_lo, s64
	s_delay_alu instid0(SALU_CYCLE_1) | instskip(NEXT) | instid1(SALU_CYCLE_1)
	s_and_b32 s19, exec_lo, s20
	s_or_b32 s62, s19, s62
	s_and_not1_b32 s19, s61, exec_lo
	s_and_b32 s20, s63, exec_lo
	s_delay_alu instid0(SALU_CYCLE_1)
	s_or_b32 s61, s19, s20
	s_and_not1_b32 exec_lo, exec_lo, s62
	s_cbranch_execz .LBB138_37
.LBB138_31:                             ;   Parent Loop BB138_18 Depth=1
                                        ;     Parent Loop BB138_25 Depth=2
                                        ; =>    This Inner Loop Header: Depth=3
	global_load_b64 v[30:31], v[26:27], off
	v_mov_b64_e32 v[32:33], v[34:35]
	s_wait_loadcnt 0x0
	v_sub_nc_u64_e64 v[30:31], v[30:31], s[26:27]
	s_delay_alu instid0(VALU_DEP_1)
	v_cmp_lt_i64_e64 s19, v[30:31], v[12:13]
	v_cmp_ge_i64_e64 s20, v[30:31], v[14:15]
	v_cmp_lt_i64_e32 vcc_lo, v[30:31], v[14:15]
	s_or_b32 s20, s19, s20
	s_mov_b32 s19, 0
	s_wait_xcnt 0x0
	s_and_saveexec_b32 s64, s20
	s_delay_alu instid0(SALU_CYCLE_1)
	s_xor_b32 s20, exec_lo, s64
; %bb.32:                               ;   in Loop: Header=BB138_31 Depth=3
	s_and_b32 s19, vcc_lo, exec_lo
; %bb.33:                               ;   in Loop: Header=BB138_31 Depth=3
	s_and_not1_saveexec_b32 s20, s20
	s_cbranch_execz .LBB138_35
; %bb.34:                               ;   in Loop: Header=BB138_31 Depth=3
	global_load_b64 v[34:35], v[28:29], off offset:-4
	v_sub_nc_u32_e32 v45, v30, v12
	s_or_b32 s19, s19, exec_lo
	s_wait_loadcnt 0x0
	v_mul_f32_e64 v46, v35, -v44
	s_delay_alu instid0(VALU_DEP_2)
	v_dual_mul_f32 v35, v43, v35 :: v_dual_lshlrev_b32 v47, 3, v45
	ds_store_b8 v45, v42 offset:16384
	v_dual_fmac_f32 v46, v43, v34 :: v_dual_fmac_f32 v35, v44, v34
	ds_add_f32 v47, v46
	ds_add_f32 v47, v35 offset:4
.LBB138_35:                             ;   in Loop: Header=BB138_31 Depth=3
	s_wait_xcnt 0x0
	s_or_b32 exec_lo, exec_lo, s20
	s_mov_b32 s20, -1
	s_or_b32 s63, s63, exec_lo
                                        ; implicit-def: $vgpr34_vgpr35
	s_and_saveexec_b32 s64, s19
	s_cbranch_execz .LBB138_30
; %bb.36:                               ;   in Loop: Header=BB138_31 Depth=3
	v_add_nc_u64_e32 v[34:35], 16, v[32:33]
	v_add_nc_u64_e32 v[26:27], 0x80, v[26:27]
	;; [unrolled: 1-line block ×3, first 2 shown]
	s_and_not1_b32 s63, s63, exec_lo
	s_delay_alu instid0(VALU_DEP_3)
	v_cmp_ge_i64_e32 vcc_lo, v[34:35], v[24:25]
	s_or_not1_b32 s20, vcc_lo, exec_lo
	s_branch .LBB138_30
.LBB138_37:                             ;   in Loop: Header=BB138_25 Depth=2
	s_or_b32 exec_lo, exec_lo, s62
	s_and_saveexec_b32 s19, s61
	s_delay_alu instid0(SALU_CYCLE_1)
	s_xor_b32 s19, exec_lo, s19
	s_cbranch_execz .LBB138_39
; %bb.38:                               ;   in Loop: Header=BB138_25 Depth=2
	v_min_i64 v[16:17], v[30:31], v[16:17]
	v_mov_b64_e32 v[22:23], v[32:33]
.LBB138_39:                             ;   in Loop: Header=BB138_25 Depth=2
	s_or_b32 exec_lo, exec_lo, s19
.LBB138_40:                             ;   in Loop: Header=BB138_25 Depth=2
	s_delay_alu instid0(SALU_CYCLE_1)
	s_or_b32 exec_lo, exec_lo, s51
	ds_bpermute_b32 v24, v9, v22
	ds_bpermute_b32 v25, v9, v23
	s_wait_dscnt 0x0
	v_min_i64 v[22:23], v[24:25], v[22:23]
	ds_bpermute_b32 v24, v36, v22
	ds_bpermute_b32 v25, v36, v23
	s_wait_dscnt 0x0
	v_min_i64 v[22:23], v[24:25], v[22:23]
	;; [unrolled: 4-line block ×3, first 2 shown]
	ds_bpermute_b32 v24, v38, v22
	ds_bpermute_b32 v25, v38, v23
	s_and_saveexec_b32 s19, s1
	s_cbranch_execz .LBB138_24
; %bb.41:                               ;   in Loop: Header=BB138_25 Depth=2
	s_wait_dscnt 0x0
	v_min_i64 v[22:23], v[24:25], v[22:23]
	global_store_b64 v[20:21], v[22:23], off
	s_branch .LBB138_24
.LBB138_42:                             ;   in Loop: Header=BB138_25 Depth=2
                                        ; implicit-def: $vgpr22_vgpr23
	s_wait_loadcnt 0x1
	v_sub_nc_u64_e64 v[24:25], v[24:25], s[28:29]
	s_delay_alu instid0(VALU_DEP_1)
	v_lshl_add_u64 v[24:25], v[24:25], 3, s[42:43]
	s_branch .LBB138_27
.LBB138_43:                             ;   in Loop: Header=BB138_18 Depth=1
	s_or_b32 exec_lo, exec_lo, s50
.LBB138_44:                             ;   in Loop: Header=BB138_18 Depth=1
	s_delay_alu instid0(SALU_CYCLE_1) | instskip(NEXT) | instid1(SALU_CYCLE_1)
	s_or_b32 exec_lo, exec_lo, s21
	s_and_not1_b32 vcc_lo, exec_lo, s34
	s_cbranch_vccnz .LBB138_58
; %bb.45:                               ;   in Loop: Header=BB138_18 Depth=1
	s_load_b128 s[64:67], s[56:57], 0x0
	s_mov_b32 s50, exec_lo
	s_wait_kmcnt 0x0
	v_add_nc_u64_e32 v[18:19], s[64:65], v[6:7]
	s_sub_nc_u64 s[20:21], s[66:67], s[54:55]
	s_delay_alu instid0(VALU_DEP_1) | instid1(SALU_CYCLE_1)
	v_cmpx_gt_i64_e64 s[20:21], v[18:19]
	s_cbranch_execz .LBB138_57
; %bb.46:                               ;   in Loop: Header=BB138_18 Depth=1
	v_lshlrev_b64_e32 v[22:23], 3, v[18:19]
	s_mov_b32 s51, 0
                                        ; implicit-def: $sgpr61
                                        ; implicit-def: $sgpr62
	s_delay_alu instid0(VALU_DEP_1)
	v_add_nc_u64_e32 v[20:21], s[22:23], v[22:23]
	v_add_nc_u64_e32 v[22:23], s[24:25], v[22:23]
	s_branch .LBB138_48
.LBB138_47:                             ;   in Loop: Header=BB138_48 Depth=2
	s_or_b32 exec_lo, exec_lo, s63
	s_delay_alu instid0(SALU_CYCLE_1) | instskip(NEXT) | instid1(SALU_CYCLE_1)
	s_and_b32 s18, exec_lo, s19
	s_or_b32 s51, s18, s51
	s_and_not1_b32 s18, s61, exec_lo
	s_and_b32 s19, s62, exec_lo
	s_delay_alu instid0(SALU_CYCLE_1)
	s_or_b32 s61, s18, s19
	s_and_not1_b32 exec_lo, exec_lo, s51
	s_cbranch_execz .LBB138_54
.LBB138_48:                             ;   Parent Loop BB138_18 Depth=1
                                        ; =>  This Inner Loop Header: Depth=2
	s_wait_dscnt 0x0
	global_load_b64 v[24:25], v[20:21], off
	s_wait_loadcnt 0x0
	v_sub_nc_u64_e64 v[24:25], v[24:25], s[54:55]
	s_delay_alu instid0(VALU_DEP_1)
	v_cmp_lt_i64_e64 s18, v[24:25], v[12:13]
	v_cmp_ge_i64_e64 s19, v[24:25], v[14:15]
	v_cmp_lt_i64_e32 vcc_lo, v[24:25], v[14:15]
	s_or_b32 s19, s18, s19
	s_mov_b32 s18, 0
	s_wait_xcnt 0x0
	s_and_saveexec_b32 s63, s19
	s_delay_alu instid0(SALU_CYCLE_1)
	s_xor_b32 s19, exec_lo, s63
; %bb.49:                               ;   in Loop: Header=BB138_48 Depth=2
	s_and_b32 s18, vcc_lo, exec_lo
; %bb.50:                               ;   in Loop: Header=BB138_48 Depth=2
	s_and_not1_saveexec_b32 s19, s19
	s_cbranch_execz .LBB138_52
; %bb.51:                               ;   in Loop: Header=BB138_48 Depth=2
	global_load_b64 v[26:27], v[22:23], off offset:-4
	v_sub_nc_u32_e32 v28, v24, v12
	s_or_b32 s18, s18, exec_lo
	s_wait_loadcnt 0x0
	v_mul_f32_e64 v29, v27, -s59
	s_delay_alu instid0(VALU_DEP_2)
	v_dual_mul_f32 v27, s58, v27 :: v_dual_lshlrev_b32 v30, 3, v28
	ds_store_b8 v28, v42 offset:16384
	v_dual_fmac_f32 v29, s58, v26 :: v_dual_fmac_f32 v27, s59, v26
	ds_add_f32 v30, v29
	ds_add_f32 v30, v27 offset:4
.LBB138_52:                             ;   in Loop: Header=BB138_48 Depth=2
	s_wait_xcnt 0x0
	s_or_b32 exec_lo, exec_lo, s19
	s_mov_b32 s19, -1
	s_or_b32 s62, s62, exec_lo
	s_and_saveexec_b32 s63, s18
	s_cbranch_execz .LBB138_47
; %bb.53:                               ;   in Loop: Header=BB138_48 Depth=2
	v_add_nc_u64_e32 v[18:19], 0x200, v[18:19]
	v_add_nc_u64_e32 v[20:21], 0x1000, v[20:21]
	;; [unrolled: 1-line block ×3, first 2 shown]
	s_and_not1_b32 s62, s62, exec_lo
	s_delay_alu instid0(VALU_DEP_3)
	v_cmp_le_i64_e32 vcc_lo, s[20:21], v[18:19]
	s_or_not1_b32 s19, vcc_lo, exec_lo
	s_branch .LBB138_47
.LBB138_54:                             ;   in Loop: Header=BB138_18 Depth=1
	s_or_b32 exec_lo, exec_lo, s51
	s_and_saveexec_b32 s18, s61
	s_delay_alu instid0(SALU_CYCLE_1)
	s_xor_b32 s18, exec_lo, s18
; %bb.55:                               ;   in Loop: Header=BB138_18 Depth=1
	v_min_i64 v[16:17], v[24:25], v[16:17]
; %bb.56:                               ;   in Loop: Header=BB138_18 Depth=1
	s_or_b32 exec_lo, exec_lo, s18
.LBB138_57:                             ;   in Loop: Header=BB138_18 Depth=1
	s_delay_alu instid0(SALU_CYCLE_1)
	s_or_b32 exec_lo, exec_lo, s50
.LBB138_58:                             ;   in Loop: Header=BB138_18 Depth=1
	ds_bpermute_b32 v12, v9, v16
	ds_bpermute_b32 v13, v9, v17
	s_wait_dscnt 0x0
	v_min_i64 v[12:13], v[12:13], v[16:17]
	ds_bpermute_b32 v14, v36, v12
	ds_bpermute_b32 v15, v36, v13
	s_wait_dscnt 0x0
	v_min_i64 v[12:13], v[14:15], v[12:13]
	ds_bpermute_b32 v14, v37, v12
	ds_bpermute_b32 v15, v37, v13
	s_wait_dscnt 0x0
	v_min_i64 v[12:13], v[14:15], v[12:13]
	ds_bpermute_b32 v14, v38, v12
	ds_bpermute_b32 v15, v38, v13
	s_and_saveexec_b32 s18, s1
	s_cbranch_execz .LBB138_63
; %bb.59:                               ;   in Loop: Header=BB138_18 Depth=1
	s_wait_dscnt 0x0
	v_min_i64 v[14:15], v[14:15], v[12:13]
	v_mov_b64_e32 v[12:13], -1
	s_mov_b32 s19, exec_lo
.LBB138_60:                             ;   Parent Loop BB138_18 Depth=1
                                        ; =>  This Inner Loop Header: Depth=2
	s_delay_alu instid0(SALU_CYCLE_1)
	s_ctz_i32_b32 s50, s19
	s_delay_alu instid0(VALU_DEP_2) | instid1(SALU_CYCLE_1)
	v_readlane_b32 s21, v15, s50
	s_delay_alu instid0(VALU_DEP_3) | instskip(NEXT) | instid1(VALU_DEP_1)
	v_readlane_b32 s20, v14, s50
	v_min_u64 v[12:13], v[12:13], s[20:21]
	s_lshl_b32 s20, 1, s50
	s_delay_alu instid0(SALU_CYCLE_1) | instskip(NEXT) | instid1(SALU_CYCLE_1)
	s_and_not1_b32 s19, s19, s20
	s_cmp_lg_u32 s19, 0
	s_cbranch_scc1 .LBB138_60
; %bb.61:                               ;   in Loop: Header=BB138_18 Depth=1
	v_mbcnt_lo_u32_b32 v14, exec_lo, 0
	s_mov_b32 s19, exec_lo
	s_delay_alu instid0(VALU_DEP_1)
	v_cmpx_eq_u32_e32 0, v14
	s_xor_b32 s19, exec_lo, s19
; %bb.62:                               ;   in Loop: Header=BB138_18 Depth=1
	ds_min_u64 v3, v[12:13] offset:18432
.LBB138_63:                             ;   in Loop: Header=BB138_18 Depth=1
	s_or_b32 exec_lo, exec_lo, s18
	v_dual_mov_b32 v16, v41 :: v_dual_mov_b32 v17, v40
	s_mov_b32 s18, 0
	s_wait_storecnt_dscnt 0x0
	s_barrier_signal -1
	s_barrier_wait -1
	s_branch .LBB138_65
.LBB138_64:                             ;   in Loop: Header=BB138_65 Depth=2
	s_or_b32 exec_lo, exec_lo, s19
	s_wait_storecnt_dscnt 0x0
	s_barrier_signal -1
	s_barrier_wait -1
	ds_load_b32 v12, v3 offset:60
	v_add_nc_u32_e32 v17, 0x200, v17
	v_add_nc_u32_e32 v16, 0x1000, v16
	s_delay_alu instid0(VALU_DEP_2) | instskip(SKIP_3) | instid1(VALU_DEP_1)
	v_cmp_lt_u32_e32 vcc_lo, 0x5ff, v17
	s_or_b32 s18, vcc_lo, s18
	s_wait_dscnt 0x0
	v_ashrrev_i32_e32 v13, 31, v12
	v_add_nc_u64_e32 v[0:1], v[0:1], v[12:13]
	s_and_not1_b32 exec_lo, exec_lo, s18
	s_cbranch_execz .LBB138_17
.LBB138_65:                             ;   Parent Loop BB138_18 Depth=1
                                        ; =>  This Inner Loop Header: Depth=2
	ds_load_u8 v14, v17 offset:16896
	ds_load_b64 v[12:13], v16
	s_wait_dscnt 0x0
	s_barrier_signal -1
	s_barrier_wait -1
	v_cmp_ne_u16_e32 vcc_lo, 0, v14
	s_bcnt1_i32_b32 s19, vcc_lo
	s_delay_alu instid0(SALU_CYCLE_1)
	v_mov_b32_e32 v15, s19
	s_mov_b32 s19, exec_lo
	ds_store_b32 v39, v15
	s_wait_dscnt 0x0
	s_barrier_signal -1
	s_barrier_wait -1
	ds_load_b128 v[18:21], v3
	ds_load_b128 v[22:25], v3 offset:16
	v_and_b32_e32 v15, vcc_lo, v8
	ds_load_b128 v[26:29], v3 offset:32
	s_wait_dscnt 0x2
	v_cndmask_b32_e64 v18, v18, 0, s3
	v_cndmask_b32_e64 v30, v19, 0, s4
	;; [unrolled: 1-line block ×4, first 2 shown]
	s_wait_dscnt 0x1
	v_cndmask_b32_e64 v22, v22, 0, s7
	v_bcnt_u32_b32 v15, v15, v18
	ds_load_b96 v[18:20], v3 offset:48
	v_cndmask_b32_e64 v23, v23, 0, s8
	v_cndmask_b32_e64 v24, v24, 0, s9
	v_add3_u32 v15, v15, v30, v31
	s_delay_alu instid0(VALU_DEP_1) | instskip(SKIP_3) | instid1(VALU_DEP_3)
	v_add3_u32 v15, v15, v21, v22
	v_cndmask_b32_e64 v21, v25, 0, s10
	s_wait_dscnt 0x1
	v_cndmask_b32_e64 v22, v26, 0, s11
	v_add3_u32 v15, v15, v23, v24
	v_cndmask_b32_e64 v23, v27, 0, s12
	v_cndmask_b32_e64 v24, v28, 0, s13
	s_delay_alu instid0(VALU_DEP_3)
	v_add3_u32 v15, v15, v21, v22
	v_cndmask_b32_e64 v21, v29, 0, s14
	s_wait_dscnt 0x0
	v_cndmask_b32_e64 v18, v18, 0, s15
	v_cndmask_b32_e64 v19, v19, 0, s16
	;; [unrolled: 1-line block ×3, first 2 shown]
	v_add3_u32 v15, v15, v23, v24
	s_delay_alu instid0(VALU_DEP_1) | instskip(SKIP_1) | instid1(VALU_DEP_2)
	v_add3_u32 v15, v15, v21, v18
	v_and_b32_e32 v18, 1, v14
	v_add3_u32 v14, v15, v19, v20
	s_delay_alu instid0(VALU_DEP_2)
	v_cmpx_eq_u32_e32 1, v18
	s_cbranch_execz .LBB138_67
; %bb.66:                               ;   in Loop: Header=BB138_65 Depth=2
	v_lshl_add_u64 v[18:19], v[0:1], 3, s[44:45]
	s_delay_alu instid0(VALU_DEP_3) | instskip(NEXT) | instid1(VALU_DEP_1)
	v_ashrrev_i32_e32 v15, 31, v14
	v_lshl_add_u64 v[18:19], v[14:15], 3, v[18:19]
	global_store_b64 v[18:19], v[12:13], off offset:-8
.LBB138_67:                             ;   in Loop: Header=BB138_65 Depth=2
	s_wait_xcnt 0x0
	s_or_b32 exec_lo, exec_lo, s19
	s_and_saveexec_b32 s19, s2
	s_cbranch_execz .LBB138_64
; %bb.68:                               ;   in Loop: Header=BB138_65 Depth=2
	ds_store_b32 v3, v14 offset:60
	s_branch .LBB138_64
.LBB138_69:
	s_endpgm
	.section	.rodata,"a",@progbits
	.p2align	6, 0x0
	.amdhsa_kernel _ZN9rocsparseL51csrgemm_numeric_fill_block_per_row_multipass_kernelILj512ELj16ELj2048ELj32Ell21rocsparse_complex_numIfEEEvT4_PKS3_S5_NS_24const_host_device_scalarIT5_EEPKT3_S5_PKS7_SB_S5_SD_S8_SB_S5_SD_SB_S5_PS7_PS9_21rocsparse_index_base_SG_SG_SG_bbb
		.amdhsa_group_segment_fixed_size 18440
		.amdhsa_private_segment_fixed_size 0
		.amdhsa_kernarg_size 164
		.amdhsa_user_sgpr_count 2
		.amdhsa_user_sgpr_dispatch_ptr 0
		.amdhsa_user_sgpr_queue_ptr 0
		.amdhsa_user_sgpr_kernarg_segment_ptr 1
		.amdhsa_user_sgpr_dispatch_id 0
		.amdhsa_user_sgpr_kernarg_preload_length 0
		.amdhsa_user_sgpr_kernarg_preload_offset 0
		.amdhsa_user_sgpr_private_segment_size 0
		.amdhsa_wavefront_size32 1
		.amdhsa_uses_dynamic_stack 0
		.amdhsa_enable_private_segment 0
		.amdhsa_system_sgpr_workgroup_id_x 1
		.amdhsa_system_sgpr_workgroup_id_y 0
		.amdhsa_system_sgpr_workgroup_id_z 0
		.amdhsa_system_sgpr_workgroup_info 0
		.amdhsa_system_vgpr_workitem_id 0
		.amdhsa_next_free_vgpr 48
		.amdhsa_next_free_sgpr 68
		.amdhsa_named_barrier_count 0
		.amdhsa_reserve_vcc 1
		.amdhsa_float_round_mode_32 0
		.amdhsa_float_round_mode_16_64 0
		.amdhsa_float_denorm_mode_32 3
		.amdhsa_float_denorm_mode_16_64 3
		.amdhsa_fp16_overflow 0
		.amdhsa_memory_ordered 1
		.amdhsa_forward_progress 1
		.amdhsa_inst_pref_size 24
		.amdhsa_round_robin_scheduling 0
		.amdhsa_exception_fp_ieee_invalid_op 0
		.amdhsa_exception_fp_denorm_src 0
		.amdhsa_exception_fp_ieee_div_zero 0
		.amdhsa_exception_fp_ieee_overflow 0
		.amdhsa_exception_fp_ieee_underflow 0
		.amdhsa_exception_fp_ieee_inexact 0
		.amdhsa_exception_int_div_zero 0
	.end_amdhsa_kernel
	.section	.text._ZN9rocsparseL51csrgemm_numeric_fill_block_per_row_multipass_kernelILj512ELj16ELj2048ELj32Ell21rocsparse_complex_numIfEEEvT4_PKS3_S5_NS_24const_host_device_scalarIT5_EEPKT3_S5_PKS7_SB_S5_SD_S8_SB_S5_SD_SB_S5_PS7_PS9_21rocsparse_index_base_SG_SG_SG_bbb,"axG",@progbits,_ZN9rocsparseL51csrgemm_numeric_fill_block_per_row_multipass_kernelILj512ELj16ELj2048ELj32Ell21rocsparse_complex_numIfEEEvT4_PKS3_S5_NS_24const_host_device_scalarIT5_EEPKT3_S5_PKS7_SB_S5_SD_S8_SB_S5_SD_SB_S5_PS7_PS9_21rocsparse_index_base_SG_SG_SG_bbb,comdat
.Lfunc_end138:
	.size	_ZN9rocsparseL51csrgemm_numeric_fill_block_per_row_multipass_kernelILj512ELj16ELj2048ELj32Ell21rocsparse_complex_numIfEEEvT4_PKS3_S5_NS_24const_host_device_scalarIT5_EEPKT3_S5_PKS7_SB_S5_SD_S8_SB_S5_SD_SB_S5_PS7_PS9_21rocsparse_index_base_SG_SG_SG_bbb, .Lfunc_end138-_ZN9rocsparseL51csrgemm_numeric_fill_block_per_row_multipass_kernelILj512ELj16ELj2048ELj32Ell21rocsparse_complex_numIfEEEvT4_PKS3_S5_NS_24const_host_device_scalarIT5_EEPKT3_S5_PKS7_SB_S5_SD_S8_SB_S5_SD_SB_S5_PS7_PS9_21rocsparse_index_base_SG_SG_SG_bbb
                                        ; -- End function
	.set _ZN9rocsparseL51csrgemm_numeric_fill_block_per_row_multipass_kernelILj512ELj16ELj2048ELj32Ell21rocsparse_complex_numIfEEEvT4_PKS3_S5_NS_24const_host_device_scalarIT5_EEPKT3_S5_PKS7_SB_S5_SD_S8_SB_S5_SD_SB_S5_PS7_PS9_21rocsparse_index_base_SG_SG_SG_bbb.num_vgpr, 48
	.set _ZN9rocsparseL51csrgemm_numeric_fill_block_per_row_multipass_kernelILj512ELj16ELj2048ELj32Ell21rocsparse_complex_numIfEEEvT4_PKS3_S5_NS_24const_host_device_scalarIT5_EEPKT3_S5_PKS7_SB_S5_SD_S8_SB_S5_SD_SB_S5_PS7_PS9_21rocsparse_index_base_SG_SG_SG_bbb.num_agpr, 0
	.set _ZN9rocsparseL51csrgemm_numeric_fill_block_per_row_multipass_kernelILj512ELj16ELj2048ELj32Ell21rocsparse_complex_numIfEEEvT4_PKS3_S5_NS_24const_host_device_scalarIT5_EEPKT3_S5_PKS7_SB_S5_SD_S8_SB_S5_SD_SB_S5_PS7_PS9_21rocsparse_index_base_SG_SG_SG_bbb.numbered_sgpr, 68
	.set _ZN9rocsparseL51csrgemm_numeric_fill_block_per_row_multipass_kernelILj512ELj16ELj2048ELj32Ell21rocsparse_complex_numIfEEEvT4_PKS3_S5_NS_24const_host_device_scalarIT5_EEPKT3_S5_PKS7_SB_S5_SD_S8_SB_S5_SD_SB_S5_PS7_PS9_21rocsparse_index_base_SG_SG_SG_bbb.num_named_barrier, 0
	.set _ZN9rocsparseL51csrgemm_numeric_fill_block_per_row_multipass_kernelILj512ELj16ELj2048ELj32Ell21rocsparse_complex_numIfEEEvT4_PKS3_S5_NS_24const_host_device_scalarIT5_EEPKT3_S5_PKS7_SB_S5_SD_S8_SB_S5_SD_SB_S5_PS7_PS9_21rocsparse_index_base_SG_SG_SG_bbb.private_seg_size, 0
	.set _ZN9rocsparseL51csrgemm_numeric_fill_block_per_row_multipass_kernelILj512ELj16ELj2048ELj32Ell21rocsparse_complex_numIfEEEvT4_PKS3_S5_NS_24const_host_device_scalarIT5_EEPKT3_S5_PKS7_SB_S5_SD_S8_SB_S5_SD_SB_S5_PS7_PS9_21rocsparse_index_base_SG_SG_SG_bbb.uses_vcc, 1
	.set _ZN9rocsparseL51csrgemm_numeric_fill_block_per_row_multipass_kernelILj512ELj16ELj2048ELj32Ell21rocsparse_complex_numIfEEEvT4_PKS3_S5_NS_24const_host_device_scalarIT5_EEPKT3_S5_PKS7_SB_S5_SD_S8_SB_S5_SD_SB_S5_PS7_PS9_21rocsparse_index_base_SG_SG_SG_bbb.uses_flat_scratch, 0
	.set _ZN9rocsparseL51csrgemm_numeric_fill_block_per_row_multipass_kernelILj512ELj16ELj2048ELj32Ell21rocsparse_complex_numIfEEEvT4_PKS3_S5_NS_24const_host_device_scalarIT5_EEPKT3_S5_PKS7_SB_S5_SD_S8_SB_S5_SD_SB_S5_PS7_PS9_21rocsparse_index_base_SG_SG_SG_bbb.has_dyn_sized_stack, 0
	.set _ZN9rocsparseL51csrgemm_numeric_fill_block_per_row_multipass_kernelILj512ELj16ELj2048ELj32Ell21rocsparse_complex_numIfEEEvT4_PKS3_S5_NS_24const_host_device_scalarIT5_EEPKT3_S5_PKS7_SB_S5_SD_S8_SB_S5_SD_SB_S5_PS7_PS9_21rocsparse_index_base_SG_SG_SG_bbb.has_recursion, 0
	.set _ZN9rocsparseL51csrgemm_numeric_fill_block_per_row_multipass_kernelILj512ELj16ELj2048ELj32Ell21rocsparse_complex_numIfEEEvT4_PKS3_S5_NS_24const_host_device_scalarIT5_EEPKT3_S5_PKS7_SB_S5_SD_S8_SB_S5_SD_SB_S5_PS7_PS9_21rocsparse_index_base_SG_SG_SG_bbb.has_indirect_call, 0
	.section	.AMDGPU.csdata,"",@progbits
; Kernel info:
; codeLenInByte = 3048
; TotalNumSgprs: 70
; NumVgprs: 48
; ScratchSize: 0
; MemoryBound: 0
; FloatMode: 240
; IeeeMode: 1
; LDSByteSize: 18440 bytes/workgroup (compile time only)
; SGPRBlocks: 0
; VGPRBlocks: 2
; NumSGPRsForWavesPerEU: 70
; NumVGPRsForWavesPerEU: 48
; NamedBarCnt: 0
; Occupancy: 16
; WaveLimiterHint : 1
; COMPUTE_PGM_RSRC2:SCRATCH_EN: 0
; COMPUTE_PGM_RSRC2:USER_SGPR: 2
; COMPUTE_PGM_RSRC2:TRAP_HANDLER: 0
; COMPUTE_PGM_RSRC2:TGID_X_EN: 1
; COMPUTE_PGM_RSRC2:TGID_Y_EN: 0
; COMPUTE_PGM_RSRC2:TGID_Z_EN: 0
; COMPUTE_PGM_RSRC2:TIDIG_COMP_CNT: 0
	.section	.text._ZN9rocsparseL51csrgemm_numeric_fill_block_per_row_multipass_kernelILj512ELj16ELj2048ELj64Ell21rocsparse_complex_numIfEEEvT4_PKS3_S5_NS_24const_host_device_scalarIT5_EEPKT3_S5_PKS7_SB_S5_SD_S8_SB_S5_SD_SB_S5_PS7_PS9_21rocsparse_index_base_SG_SG_SG_bbb,"axG",@progbits,_ZN9rocsparseL51csrgemm_numeric_fill_block_per_row_multipass_kernelILj512ELj16ELj2048ELj64Ell21rocsparse_complex_numIfEEEvT4_PKS3_S5_NS_24const_host_device_scalarIT5_EEPKT3_S5_PKS7_SB_S5_SD_S8_SB_S5_SD_SB_S5_PS7_PS9_21rocsparse_index_base_SG_SG_SG_bbb,comdat
	.globl	_ZN9rocsparseL51csrgemm_numeric_fill_block_per_row_multipass_kernelILj512ELj16ELj2048ELj64Ell21rocsparse_complex_numIfEEEvT4_PKS3_S5_NS_24const_host_device_scalarIT5_EEPKT3_S5_PKS7_SB_S5_SD_S8_SB_S5_SD_SB_S5_PS7_PS9_21rocsparse_index_base_SG_SG_SG_bbb ; -- Begin function _ZN9rocsparseL51csrgemm_numeric_fill_block_per_row_multipass_kernelILj512ELj16ELj2048ELj64Ell21rocsparse_complex_numIfEEEvT4_PKS3_S5_NS_24const_host_device_scalarIT5_EEPKT3_S5_PKS7_SB_S5_SD_S8_SB_S5_SD_SB_S5_PS7_PS9_21rocsparse_index_base_SG_SG_SG_bbb
	.p2align	8
	.type	_ZN9rocsparseL51csrgemm_numeric_fill_block_per_row_multipass_kernelILj512ELj16ELj2048ELj64Ell21rocsparse_complex_numIfEEEvT4_PKS3_S5_NS_24const_host_device_scalarIT5_EEPKT3_S5_PKS7_SB_S5_SD_S8_SB_S5_SD_SB_S5_PS7_PS9_21rocsparse_index_base_SG_SG_SG_bbb,@function
_ZN9rocsparseL51csrgemm_numeric_fill_block_per_row_multipass_kernelILj512ELj16ELj2048ELj64Ell21rocsparse_complex_numIfEEEvT4_PKS3_S5_NS_24const_host_device_scalarIT5_EEPKT3_S5_PKS7_SB_S5_SD_S8_SB_S5_SD_SB_S5_PS7_PS9_21rocsparse_index_base_SG_SG_SG_bbb: ; @_ZN9rocsparseL51csrgemm_numeric_fill_block_per_row_multipass_kernelILj512ELj16ELj2048ELj64Ell21rocsparse_complex_numIfEEEvT4_PKS3_S5_NS_24const_host_device_scalarIT5_EEPKT3_S5_PKS7_SB_S5_SD_S8_SB_S5_SD_SB_S5_PS7_PS9_21rocsparse_index_base_SG_SG_SG_bbb
; %bb.0:
	s_clause 0x3
	s_load_b32 s8, s[0:1], 0xa0
	s_load_b128 s[28:31], s[0:1], 0x90
	s_load_b64 s[2:3], s[0:1], 0x8
	s_load_b64 s[4:5], s[0:1], 0x50
	s_mov_b32 s35, 0
	s_mov_b32 s33, 0
	s_wait_kmcnt 0x0
	s_bitcmp1_b32 s8, 0
	s_cselect_b32 s10, -1, 0
	s_bitcmp1_b32 s8, 16
	s_cselect_b32 s6, -1, 0
	s_delay_alu instid0(SALU_CYCLE_1)
	s_xor_b32 s9, s6, -1
	s_bitcmp0_b32 s8, 0
	s_cbranch_scc1 .LBB139_5
; %bb.1:
	s_load_b64 s[34:35], s[0:1], 0x18
	s_and_not1_b32 vcc_lo, exec_lo, s9
	s_wait_kmcnt 0x0
	s_mov_b32 s33, s34
	s_cbranch_vccnz .LBB139_3
; %bb.2:
	s_load_b32 s33, s[34:35], 0x0
.LBB139_3:
	s_and_not1_b32 vcc_lo, exec_lo, s9
	s_cbranch_vccnz .LBB139_5
; %bb.4:
	s_wait_xcnt 0x0
	s_load_b32 s35, s[34:35], 0x4
.LBB139_5:
	s_clause 0x4
	s_load_b128 s[36:39], s[0:1], 0x80
	s_load_b256 s[12:19], s[0:1], 0x58
	s_load_b128 s[40:43], s[0:1], 0x40
	s_load_b64 s[6:7], s[0:1], 0x10
	s_load_b256 s[20:27], s[0:1], 0x20
	s_bitcmp1_b32 s8, 8
	s_mov_b32 s50, 0
	s_wait_xcnt 0x0
	s_cselect_b32 s34, -1, 0
	s_bfe_u32 s8, s8, 0x10008
	s_mov_b32 s51, 0
	s_cmp_eq_u32 s8, 0
	s_cbranch_scc1 .LBB139_11
; %bb.6:
	v_cndmask_b32_e64 v1, 0, 1, s9
	s_and_not1_b32 vcc_lo, exec_lo, s9
	s_mov_b32 s50, s4
	s_cbranch_vccnz .LBB139_8
; %bb.7:
	s_load_b32 s50, s[4:5], 0x0
.LBB139_8:
	s_delay_alu instid0(VALU_DEP_1)
	v_cmp_ne_u32_e32 vcc_lo, 1, v1
	s_cbranch_vccnz .LBB139_10
; %bb.9:
	s_wait_xcnt 0x0
	s_load_b32 s5, s[4:5], 0x4
.LBB139_10:
	s_wait_kmcnt 0x0
	s_mov_b32 s51, s5
.LBB139_11:
	s_load_b64 s[2:3], s[2:3], 0x0
	s_bfe_u32 s4, ttmp6, 0x4000c
	s_and_b32 s5, ttmp6, 15
	s_add_co_i32 s4, s4, 1
	s_getreg_b32 s8, hwreg(HW_REG_IB_STS2, 6, 4)
	s_mul_i32 s4, ttmp9, s4
	s_mov_b64 s[44:45], 0
	s_add_co_i32 s5, s5, s4
	s_wait_kmcnt 0x0
	s_lshl_b64 s[2:3], s[2:3], 3
	s_cmp_eq_u32 s8, 0
	s_add_nc_u64 s[2:3], s[6:7], s[2:3]
	s_cselect_b32 s4, ttmp9, s5
	s_mov_b32 s7, 0
	s_load_b64 s[4:5], s[2:3], s4 offset:0x0 scale_offset
	s_and_not1_b32 vcc_lo, exec_lo, s10
	s_wait_xcnt 0x0
	s_mov_b64 s[2:3], 0
	s_cbranch_vccz .LBB139_14
; %bb.12:
	s_and_not1_b32 vcc_lo, exec_lo, s10
	s_cbranch_vccz .LBB139_15
.LBB139_13:
	s_load_b64 s[20:21], s[0:1], 0x0
	s_wait_kmcnt 0x0
	v_cmp_lt_i64_e64 s0, s[20:21], 1
	s_and_b32 vcc_lo, exec_lo, s0
	s_cbranch_vccz .LBB139_16
	s_branch .LBB139_69
.LBB139_14:
	s_wait_kmcnt 0x0
	s_lshl_b64 s[2:3], s[4:5], 3
	s_mov_b32 s6, s28
	s_add_nc_u64 s[2:3], s[20:21], s[2:3]
	s_load_b64 s[2:3], s[2:3], 0x0
	s_wait_kmcnt 0x0
	s_sub_nc_u64 s[2:3], s[2:3], s[6:7]
	s_and_not1_b32 vcc_lo, exec_lo, s10
	s_cbranch_vccnz .LBB139_13
.LBB139_15:
	s_wait_kmcnt 0x0
	s_lshl_b64 s[6:7], s[4:5], 3
	s_mov_b32 s9, 0
	s_add_nc_u64 s[6:7], s[20:21], s[6:7]
	s_mov_b32 s8, s28
	s_load_b64 s[6:7], s[6:7], 0x8
	s_wait_kmcnt 0x0
	s_sub_nc_u64 s[44:45], s[6:7], s[8:9]
	s_load_b64 s[20:21], s[0:1], 0x0
	s_wait_kmcnt 0x0
	v_cmp_lt_i64_e64 s0, s[20:21], 1
	s_and_b32 vcc_lo, exec_lo, s0
	s_cbranch_vccnz .LBB139_69
.LBB139_16:
	s_lshl_b64 s[4:5], s[4:5], 3
	v_mbcnt_lo_u32_b32 v8, -1, 0
	s_add_nc_u64 s[0:1], s[18:19], s[4:5]
	v_mov_b32_e32 v3, 0
	s_load_b64 s[6:7], s[0:1], 0x0
	v_dual_lshrrev_b32 v10, 4, v0 :: v_dual_bitop2_b32 v2, 15, v0 bitop3:0x40
	s_delay_alu instid0(VALU_DEP_2) | instskip(SKIP_3) | instid1(VALU_DEP_2)
	v_dual_mov_b32 v11, v3 :: v_dual_bitop2_b32 v6, 8, v8 bitop3:0x14
	v_mov_b32_e32 v1, v3
	s_mov_b32 s47, 0
	s_mov_b32 s46, s30
	v_cmp_gt_i32_e32 vcc_lo, 32, v6
	v_xor_b32_e32 v9, 4, v8
	v_add_nc_u64_e32 v[4:5], s[2:3], v[10:11]
	s_add_nc_u64 s[48:49], s[12:13], s[4:5]
	s_wait_xcnt 0x0
	v_cmp_eq_u32_e64 s0, 0, v0
	v_cndmask_b32_e32 v12, v8, v6, vcc_lo
	v_cmp_gt_i32_e64 s2, 32, v9
	v_xor_b32_e32 v11, 2, v8
	v_dual_lshlrev_b32 v41, 3, v0 :: v_dual_bitop2_b32 v39, 28, v10 bitop3:0x40
	v_cmp_gt_i64_e32 vcc_lo, s[44:45], v[4:5]
	s_delay_alu instid0(VALU_DEP_4)
	v_cndmask_b32_e64 v13, v8, v9, s2
	s_wait_kmcnt 0x0
	s_sub_nc_u64 s[12:13], s[6:7], s[46:47]
	s_mov_b32 s46, s31
	v_cmp_gt_i32_e64 s2, 32, v11
	v_sub_nc_u64_e64 v[6:7], v[0:1], s[46:47]
	v_xor_b32_e32 v1, 1, v8
	v_dual_lshlrev_b32 v9, 2, v12 :: v_dual_lshlrev_b32 v36, 2, v13
	s_delay_alu instid0(VALU_DEP_4) | instskip(SKIP_1) | instid1(VALU_DEP_4)
	v_cndmask_b32_e64 v11, v8, v11, s2
	v_cmp_gt_u32_e64 s3, 64, v0
	v_cmp_gt_i32_e64 s2, 32, v1
	v_cmp_gt_u32_e64 s4, 0x80, v0
	v_cmp_gt_u32_e64 s5, 0xc0, v0
	;; [unrolled: 1-line block ×4, first 2 shown]
	v_dual_cndmask_b32 v1, v8, v1, s2 :: v_dual_bitop2_b32 v8, 31, v8 bitop3:0x14
	v_lshlrev_b32_e32 v37, 2, v11
	v_cmp_eq_u32_e64 s2, 0x1ff, v0
	v_cmp_gt_u32_e64 s8, 0x180, v0
	s_delay_alu instid0(VALU_DEP_4)
	v_lshlrev_b32_e32 v38, 2, v1
	v_cmp_gt_u32_e64 s9, 0x1c0, v0
	v_or_b32_e32 v40, 0xfffffe00, v0
	v_mov_b64_e32 v[12:13], 0
	v_mov_b64_e32 v[14:15], 0x800
	;; [unrolled: 1-line block ×4, first 2 shown]
	v_cmp_eq_u32_e64 s1, 15, v2
	v_lshrrev_b32_e64 v8, v8, -1
	v_mov_b32_e32 v42, 1
	s_mov_b32 s18, s29
	s_mov_b32 s29, s47
	;; [unrolled: 1-line block ×3, first 2 shown]
	s_and_b32 s52, s10, vcc_lo
	s_add_nc_u64 s[30:31], s[42:43], 4
	s_add_nc_u64 s[16:17], s[16:17], 4
	s_branch .LBB139_18
.LBB139_17:                             ;   in Loop: Header=BB139_18 Depth=1
	s_or_b32 exec_lo, exec_lo, s10
	ds_load_b64 v[12:13], v3 offset:18432
	s_wait_dscnt 0x0
	s_barrier_signal -1
	s_barrier_wait -1
	v_cmp_le_i64_e32 vcc_lo, s[20:21], v[12:13]
	v_add_nc_u64_e32 v[14:15], 0x800, v[12:13]
	s_cbranch_vccnz .LBB139_69
.LBB139_18:                             ; =>This Loop Header: Depth=1
                                        ;     Child Loop BB139_19 Depth 2
                                        ;     Child Loop BB139_25 Depth 2
                                        ;       Child Loop BB139_31 Depth 3
                                        ;     Child Loop BB139_48 Depth 2
                                        ;     Child Loop BB139_60 Depth 2
	;; [unrolled: 1-line block ×3, first 2 shown]
	v_dual_mov_b32 v16, v41 :: v_dual_mov_b32 v17, v40
	s_mov_b32 s10, 0
.LBB139_19:                             ;   Parent Loop BB139_18 Depth=1
                                        ; =>  This Inner Loop Header: Depth=2
	ds_store_b8 v17, v3 offset:16896
	v_add_nc_u32_e32 v17, 0x200, v17
	ds_store_b64 v16, v[10:11]
	v_add_nc_u32_e32 v16, 0x1000, v16
	v_cmp_lt_u32_e32 vcc_lo, 0x5ff, v17
	s_or_b32 s10, vcc_lo, s10
	s_delay_alu instid0(SALU_CYCLE_1)
	s_and_not1_b32 exec_lo, exec_lo, s10
	s_cbranch_execnz .LBB139_19
; %bb.20:                               ;   in Loop: Header=BB139_18 Depth=1
	s_or_b32 exec_lo, exec_lo, s10
	s_and_saveexec_b32 s10, s0
; %bb.21:                               ;   in Loop: Header=BB139_18 Depth=1
	v_mov_b64_e32 v[16:17], s[20:21]
	ds_store_b64 v3, v[16:17] offset:18432
; %bb.22:                               ;   in Loop: Header=BB139_18 Depth=1
	s_or_b32 exec_lo, exec_lo, s10
	v_mov_b64_e32 v[16:17], s[20:21]
	s_wait_dscnt 0x0
	s_barrier_signal -1
	s_barrier_wait -1
	s_and_saveexec_b32 s13, s52
	s_cbranch_execz .LBB139_44
; %bb.23:                               ;   in Loop: Header=BB139_18 Depth=1
	v_cmp_ne_u64_e64 s10, 0, v[12:13]
	v_mov_b64_e32 v[16:17], s[20:21]
	v_mov_b64_e32 v[18:19], v[4:5]
	s_mov_b32 s42, 0
	s_branch .LBB139_25
.LBB139_24:                             ;   in Loop: Header=BB139_25 Depth=2
	s_wait_xcnt 0x0
	s_or_b32 exec_lo, exec_lo, s11
	v_add_nc_u64_e32 v[18:19], 32, v[18:19]
	s_delay_alu instid0(VALU_DEP_1) | instskip(SKIP_1) | instid1(SALU_CYCLE_1)
	v_cmp_le_i64_e32 vcc_lo, s[44:45], v[18:19]
	s_or_b32 s42, vcc_lo, s42
	s_and_not1_b32 exec_lo, exec_lo, s42
	s_cbranch_execz .LBB139_43
.LBB139_25:                             ;   Parent Loop BB139_18 Depth=1
                                        ; =>  This Loop Header: Depth=2
                                        ;       Child Loop BB139_31 Depth 3
	s_delay_alu instid0(VALU_DEP_1) | instskip(SKIP_1) | instid1(VALU_DEP_1)
	v_lshlrev_b64_e32 v[20:21], 3, v[18:19]
	s_and_b32 vcc_lo, exec_lo, s10
	v_add_nc_u64_e32 v[22:23], s[22:23], v[20:21]
	v_add_nc_u64_e32 v[20:21], s[24:25], v[20:21]
	s_wait_dscnt 0x0
	global_load_b64 v[24:25], v[22:23], off
	global_load_b64 v[30:31], v[20:21], off
	s_wait_xcnt 0x0
	v_lshl_add_u64 v[20:21], v[18:19], 3, s[38:39]
	s_cbranch_vccz .LBB139_42
; %bb.26:                               ;   in Loop: Header=BB139_25 Depth=2
	global_load_b64 v[22:23], v[20:21], off
	s_wait_loadcnt 0x2
	v_sub_nc_u64_e64 v[24:25], v[24:25], s[28:29]
	s_delay_alu instid0(VALU_DEP_1)
	v_lshl_add_u64 v[24:25], v[24:25], 3, s[26:27]
	s_cbranch_execnz .LBB139_28
.LBB139_27:                             ;   in Loop: Header=BB139_25 Depth=2
	s_wait_loadcnt 0x0
	global_load_b64 v[22:23], v[24:25], off
	s_wait_loadcnt 0x0
	v_sub_nc_u64_e64 v[22:23], v[22:23], s[18:19]
.LBB139_28:                             ;   in Loop: Header=BB139_25 Depth=2
	global_load_b64 v[24:25], v[24:25], off offset:8
	s_wait_loadcnt 0x1
	v_add_nc_u64_e32 v[22:23], v[22:23], v[2:3]
	s_mov_b32 s43, exec_lo
	s_wait_loadcnt 0x0
	s_wait_xcnt 0x0
	v_sub_nc_u64_e64 v[24:25], v[24:25], s[18:19]
	s_delay_alu instid0(VALU_DEP_1)
	v_cmpx_lt_i64_e64 v[22:23], v[24:25]
	s_cbranch_execz .LBB139_40
; %bb.29:                               ;   in Loop: Header=BB139_25 Depth=2
	v_lshlrev_b64_e32 v[28:29], 3, v[22:23]
	v_mul_f32_e64 v43, v31, -s35
	v_mul_f32_e32 v44, s33, v31
	v_mov_b64_e32 v[34:35], v[22:23]
	s_mov_b32 s54, 0
                                        ; implicit-def: $sgpr53
                                        ; implicit-def: $sgpr55
	s_delay_alu instid0(VALU_DEP_3)
	v_fmac_f32_e32 v43, s33, v30
	v_add_nc_u64_e32 v[26:27], s[40:41], v[28:29]
	v_add_nc_u64_e32 v[28:29], s[30:31], v[28:29]
	v_fmac_f32_e32 v44, s35, v30
	s_branch .LBB139_31
.LBB139_30:                             ;   in Loop: Header=BB139_31 Depth=3
	s_or_b32 exec_lo, exec_lo, s56
	s_delay_alu instid0(SALU_CYCLE_1) | instskip(NEXT) | instid1(SALU_CYCLE_1)
	s_and_b32 s11, exec_lo, s12
	s_or_b32 s54, s11, s54
	s_and_not1_b32 s11, s53, exec_lo
	s_and_b32 s12, s55, exec_lo
	s_delay_alu instid0(SALU_CYCLE_1)
	s_or_b32 s53, s11, s12
	s_and_not1_b32 exec_lo, exec_lo, s54
	s_cbranch_execz .LBB139_37
.LBB139_31:                             ;   Parent Loop BB139_18 Depth=1
                                        ;     Parent Loop BB139_25 Depth=2
                                        ; =>    This Inner Loop Header: Depth=3
	global_load_b64 v[30:31], v[26:27], off
	v_mov_b64_e32 v[32:33], v[34:35]
	s_wait_loadcnt 0x0
	v_sub_nc_u64_e64 v[30:31], v[30:31], s[18:19]
	s_delay_alu instid0(VALU_DEP_1)
	v_cmp_lt_i64_e64 s11, v[30:31], v[12:13]
	v_cmp_ge_i64_e64 s12, v[30:31], v[14:15]
	v_cmp_lt_i64_e32 vcc_lo, v[30:31], v[14:15]
	s_or_b32 s12, s11, s12
	s_mov_b32 s11, 0
	s_wait_xcnt 0x0
	s_and_saveexec_b32 s56, s12
	s_delay_alu instid0(SALU_CYCLE_1)
	s_xor_b32 s12, exec_lo, s56
; %bb.32:                               ;   in Loop: Header=BB139_31 Depth=3
	s_and_b32 s11, vcc_lo, exec_lo
; %bb.33:                               ;   in Loop: Header=BB139_31 Depth=3
	s_and_not1_saveexec_b32 s12, s12
	s_cbranch_execz .LBB139_35
; %bb.34:                               ;   in Loop: Header=BB139_31 Depth=3
	global_load_b64 v[34:35], v[28:29], off offset:-4
	v_sub_nc_u32_e32 v45, v30, v12
	s_or_b32 s11, s11, exec_lo
	s_wait_loadcnt 0x0
	v_mul_f32_e64 v46, v35, -v44
	s_delay_alu instid0(VALU_DEP_2)
	v_dual_mul_f32 v35, v43, v35 :: v_dual_lshlrev_b32 v47, 3, v45
	ds_store_b8 v45, v42 offset:16384
	v_dual_fmac_f32 v46, v43, v34 :: v_dual_fmac_f32 v35, v44, v34
	ds_add_f32 v47, v46
	ds_add_f32 v47, v35 offset:4
.LBB139_35:                             ;   in Loop: Header=BB139_31 Depth=3
	s_wait_xcnt 0x0
	s_or_b32 exec_lo, exec_lo, s12
	s_mov_b32 s12, -1
	s_or_b32 s55, s55, exec_lo
                                        ; implicit-def: $vgpr34_vgpr35
	s_and_saveexec_b32 s56, s11
	s_cbranch_execz .LBB139_30
; %bb.36:                               ;   in Loop: Header=BB139_31 Depth=3
	v_add_nc_u64_e32 v[34:35], 16, v[32:33]
	v_add_nc_u64_e32 v[26:27], 0x80, v[26:27]
	;; [unrolled: 1-line block ×3, first 2 shown]
	s_and_not1_b32 s55, s55, exec_lo
	s_delay_alu instid0(VALU_DEP_3)
	v_cmp_ge_i64_e32 vcc_lo, v[34:35], v[24:25]
	s_or_not1_b32 s12, vcc_lo, exec_lo
	s_branch .LBB139_30
.LBB139_37:                             ;   in Loop: Header=BB139_25 Depth=2
	s_or_b32 exec_lo, exec_lo, s54
	s_and_saveexec_b32 s11, s53
	s_delay_alu instid0(SALU_CYCLE_1)
	s_xor_b32 s11, exec_lo, s11
	s_cbranch_execz .LBB139_39
; %bb.38:                               ;   in Loop: Header=BB139_25 Depth=2
	v_min_i64 v[16:17], v[30:31], v[16:17]
	v_mov_b64_e32 v[22:23], v[32:33]
.LBB139_39:                             ;   in Loop: Header=BB139_25 Depth=2
	s_or_b32 exec_lo, exec_lo, s11
.LBB139_40:                             ;   in Loop: Header=BB139_25 Depth=2
	s_delay_alu instid0(SALU_CYCLE_1)
	s_or_b32 exec_lo, exec_lo, s43
	ds_bpermute_b32 v24, v9, v22
	ds_bpermute_b32 v25, v9, v23
	s_wait_dscnt 0x0
	v_min_i64 v[22:23], v[24:25], v[22:23]
	ds_bpermute_b32 v24, v36, v22
	ds_bpermute_b32 v25, v36, v23
	s_wait_dscnt 0x0
	v_min_i64 v[22:23], v[24:25], v[22:23]
	ds_bpermute_b32 v24, v37, v22
	ds_bpermute_b32 v25, v37, v23
	s_wait_dscnt 0x0
	v_min_i64 v[22:23], v[24:25], v[22:23]
	ds_bpermute_b32 v24, v38, v22
	ds_bpermute_b32 v25, v38, v23
	s_and_saveexec_b32 s11, s1
	s_cbranch_execz .LBB139_24
; %bb.41:                               ;   in Loop: Header=BB139_25 Depth=2
	s_wait_dscnt 0x0
	v_min_i64 v[22:23], v[24:25], v[22:23]
	global_store_b64 v[20:21], v[22:23], off
	s_branch .LBB139_24
.LBB139_42:                             ;   in Loop: Header=BB139_25 Depth=2
                                        ; implicit-def: $vgpr22_vgpr23
	s_wait_loadcnt 0x1
	v_sub_nc_u64_e64 v[24:25], v[24:25], s[28:29]
	s_delay_alu instid0(VALU_DEP_1)
	v_lshl_add_u64 v[24:25], v[24:25], 3, s[26:27]
	s_branch .LBB139_27
.LBB139_43:                             ;   in Loop: Header=BB139_18 Depth=1
	s_or_b32 exec_lo, exec_lo, s42
.LBB139_44:                             ;   in Loop: Header=BB139_18 Depth=1
	s_delay_alu instid0(SALU_CYCLE_1) | instskip(NEXT) | instid1(SALU_CYCLE_1)
	s_or_b32 exec_lo, exec_lo, s13
	s_and_not1_b32 vcc_lo, exec_lo, s34
	s_cbranch_vccnz .LBB139_58
; %bb.45:                               ;   in Loop: Header=BB139_18 Depth=1
	s_load_b128 s[56:59], s[48:49], 0x0
	s_mov_b32 s42, exec_lo
	s_wait_kmcnt 0x0
	v_add_nc_u64_e32 v[18:19], s[56:57], v[6:7]
	s_sub_nc_u64 s[12:13], s[58:59], s[46:47]
	s_delay_alu instid0(VALU_DEP_1) | instid1(SALU_CYCLE_1)
	v_cmpx_gt_i64_e64 s[12:13], v[18:19]
	s_cbranch_execz .LBB139_57
; %bb.46:                               ;   in Loop: Header=BB139_18 Depth=1
	v_lshlrev_b64_e32 v[22:23], 3, v[18:19]
	s_mov_b32 s43, 0
                                        ; implicit-def: $sgpr53
                                        ; implicit-def: $sgpr54
	s_delay_alu instid0(VALU_DEP_1)
	v_add_nc_u64_e32 v[20:21], s[14:15], v[22:23]
	v_add_nc_u64_e32 v[22:23], s[16:17], v[22:23]
	s_branch .LBB139_48
.LBB139_47:                             ;   in Loop: Header=BB139_48 Depth=2
	s_or_b32 exec_lo, exec_lo, s55
	s_delay_alu instid0(SALU_CYCLE_1) | instskip(NEXT) | instid1(SALU_CYCLE_1)
	s_and_b32 s10, exec_lo, s11
	s_or_b32 s43, s10, s43
	s_and_not1_b32 s10, s53, exec_lo
	s_and_b32 s11, s54, exec_lo
	s_delay_alu instid0(SALU_CYCLE_1)
	s_or_b32 s53, s10, s11
	s_and_not1_b32 exec_lo, exec_lo, s43
	s_cbranch_execz .LBB139_54
.LBB139_48:                             ;   Parent Loop BB139_18 Depth=1
                                        ; =>  This Inner Loop Header: Depth=2
	s_wait_dscnt 0x0
	global_load_b64 v[24:25], v[20:21], off
	s_wait_loadcnt 0x0
	v_sub_nc_u64_e64 v[24:25], v[24:25], s[46:47]
	s_delay_alu instid0(VALU_DEP_1)
	v_cmp_lt_i64_e64 s10, v[24:25], v[12:13]
	v_cmp_ge_i64_e64 s11, v[24:25], v[14:15]
	v_cmp_lt_i64_e32 vcc_lo, v[24:25], v[14:15]
	s_or_b32 s11, s10, s11
	s_mov_b32 s10, 0
	s_wait_xcnt 0x0
	s_and_saveexec_b32 s55, s11
	s_delay_alu instid0(SALU_CYCLE_1)
	s_xor_b32 s11, exec_lo, s55
; %bb.49:                               ;   in Loop: Header=BB139_48 Depth=2
	s_and_b32 s10, vcc_lo, exec_lo
; %bb.50:                               ;   in Loop: Header=BB139_48 Depth=2
	s_and_not1_saveexec_b32 s11, s11
	s_cbranch_execz .LBB139_52
; %bb.51:                               ;   in Loop: Header=BB139_48 Depth=2
	global_load_b64 v[26:27], v[22:23], off offset:-4
	v_sub_nc_u32_e32 v28, v24, v12
	s_or_b32 s10, s10, exec_lo
	s_wait_loadcnt 0x0
	v_mul_f32_e64 v29, v27, -s51
	s_delay_alu instid0(VALU_DEP_2)
	v_dual_mul_f32 v27, s50, v27 :: v_dual_lshlrev_b32 v30, 3, v28
	ds_store_b8 v28, v42 offset:16384
	v_dual_fmac_f32 v29, s50, v26 :: v_dual_fmac_f32 v27, s51, v26
	ds_add_f32 v30, v29
	ds_add_f32 v30, v27 offset:4
.LBB139_52:                             ;   in Loop: Header=BB139_48 Depth=2
	s_wait_xcnt 0x0
	s_or_b32 exec_lo, exec_lo, s11
	s_mov_b32 s11, -1
	s_or_b32 s54, s54, exec_lo
	s_and_saveexec_b32 s55, s10
	s_cbranch_execz .LBB139_47
; %bb.53:                               ;   in Loop: Header=BB139_48 Depth=2
	v_add_nc_u64_e32 v[18:19], 0x200, v[18:19]
	v_add_nc_u64_e32 v[20:21], 0x1000, v[20:21]
	;; [unrolled: 1-line block ×3, first 2 shown]
	s_and_not1_b32 s54, s54, exec_lo
	s_delay_alu instid0(VALU_DEP_3)
	v_cmp_le_i64_e32 vcc_lo, s[12:13], v[18:19]
	s_or_not1_b32 s11, vcc_lo, exec_lo
	s_branch .LBB139_47
.LBB139_54:                             ;   in Loop: Header=BB139_18 Depth=1
	s_or_b32 exec_lo, exec_lo, s43
	s_and_saveexec_b32 s10, s53
	s_delay_alu instid0(SALU_CYCLE_1)
	s_xor_b32 s10, exec_lo, s10
; %bb.55:                               ;   in Loop: Header=BB139_18 Depth=1
	v_min_i64 v[16:17], v[24:25], v[16:17]
; %bb.56:                               ;   in Loop: Header=BB139_18 Depth=1
	s_or_b32 exec_lo, exec_lo, s10
.LBB139_57:                             ;   in Loop: Header=BB139_18 Depth=1
	s_delay_alu instid0(SALU_CYCLE_1)
	s_or_b32 exec_lo, exec_lo, s42
.LBB139_58:                             ;   in Loop: Header=BB139_18 Depth=1
	ds_bpermute_b32 v12, v9, v16
	ds_bpermute_b32 v13, v9, v17
	s_wait_dscnt 0x0
	v_min_i64 v[12:13], v[12:13], v[16:17]
	ds_bpermute_b32 v14, v36, v12
	ds_bpermute_b32 v15, v36, v13
	s_wait_dscnt 0x0
	v_min_i64 v[12:13], v[14:15], v[12:13]
	;; [unrolled: 4-line block ×3, first 2 shown]
	ds_bpermute_b32 v14, v38, v12
	ds_bpermute_b32 v15, v38, v13
	s_and_saveexec_b32 s10, s1
	s_cbranch_execz .LBB139_63
; %bb.59:                               ;   in Loop: Header=BB139_18 Depth=1
	s_wait_dscnt 0x0
	v_min_i64 v[14:15], v[14:15], v[12:13]
	v_mov_b64_e32 v[12:13], -1
	s_mov_b32 s11, exec_lo
.LBB139_60:                             ;   Parent Loop BB139_18 Depth=1
                                        ; =>  This Inner Loop Header: Depth=2
	s_delay_alu instid0(SALU_CYCLE_1)
	s_ctz_i32_b32 s42, s11
	s_delay_alu instid0(VALU_DEP_2) | instid1(SALU_CYCLE_1)
	v_readlane_b32 s13, v15, s42
	s_delay_alu instid0(VALU_DEP_3) | instskip(NEXT) | instid1(VALU_DEP_1)
	v_readlane_b32 s12, v14, s42
	v_min_u64 v[12:13], v[12:13], s[12:13]
	s_lshl_b32 s12, 1, s42
	s_delay_alu instid0(SALU_CYCLE_1) | instskip(NEXT) | instid1(SALU_CYCLE_1)
	s_and_not1_b32 s11, s11, s12
	s_cmp_lg_u32 s11, 0
	s_cbranch_scc1 .LBB139_60
; %bb.61:                               ;   in Loop: Header=BB139_18 Depth=1
	v_mbcnt_lo_u32_b32 v14, exec_lo, 0
	s_mov_b32 s11, exec_lo
	s_delay_alu instid0(VALU_DEP_1)
	v_cmpx_eq_u32_e32 0, v14
	s_xor_b32 s11, exec_lo, s11
; %bb.62:                               ;   in Loop: Header=BB139_18 Depth=1
	ds_min_u64 v3, v[12:13] offset:18432
.LBB139_63:                             ;   in Loop: Header=BB139_18 Depth=1
	s_or_b32 exec_lo, exec_lo, s10
	v_dual_mov_b32 v16, v41 :: v_dual_mov_b32 v17, v40
	s_mov_b32 s10, 0
	s_wait_storecnt_dscnt 0x0
	s_barrier_signal -1
	s_barrier_wait -1
	s_branch .LBB139_65
.LBB139_64:                             ;   in Loop: Header=BB139_65 Depth=2
	s_or_b32 exec_lo, exec_lo, s11
	s_wait_storecnt_dscnt 0x0
	s_barrier_signal -1
	s_barrier_wait -1
	ds_load_b32 v12, v3 offset:28
	v_add_nc_u32_e32 v17, 0x200, v17
	v_add_nc_u32_e32 v16, 0x1000, v16
	s_delay_alu instid0(VALU_DEP_2) | instskip(SKIP_3) | instid1(VALU_DEP_1)
	v_cmp_lt_u32_e32 vcc_lo, 0x5ff, v17
	s_or_b32 s10, vcc_lo, s10
	s_wait_dscnt 0x0
	v_ashrrev_i32_e32 v13, 31, v12
	v_add_nc_u64_e32 v[0:1], v[0:1], v[12:13]
	s_and_not1_b32 exec_lo, exec_lo, s10
	s_cbranch_execz .LBB139_17
.LBB139_65:                             ;   Parent Loop BB139_18 Depth=1
                                        ; =>  This Inner Loop Header: Depth=2
	ds_load_u8 v14, v17 offset:16896
	ds_load_b64 v[12:13], v16
	s_wait_dscnt 0x0
	s_barrier_signal -1
	s_barrier_wait -1
	v_cmp_ne_u16_e32 vcc_lo, 0, v14
	s_bcnt1_i32_b32 s11, vcc_lo
	s_delay_alu instid0(SALU_CYCLE_1)
	v_mov_b32_e32 v15, s11
	s_mov_b32 s11, exec_lo
	ds_store_b32 v39, v15
	s_wait_dscnt 0x0
	s_barrier_signal -1
	s_barrier_wait -1
	ds_load_b128 v[18:21], v3
	ds_load_b96 v[22:24], v3 offset:16
	v_and_b32_e32 v15, vcc_lo, v8
	s_wait_dscnt 0x1
	v_cndmask_b32_e64 v18, v18, 0, s3
	v_cndmask_b32_e64 v19, v19, 0, s4
	;; [unrolled: 1-line block ×3, first 2 shown]
	s_delay_alu instid0(VALU_DEP_3) | instskip(SKIP_3) | instid1(VALU_DEP_3)
	v_bcnt_u32_b32 v15, v15, v18
	v_cndmask_b32_e64 v18, v21, 0, s6
	s_wait_dscnt 0x0
	v_cndmask_b32_e64 v21, v22, 0, s7
	v_add3_u32 v15, v15, v19, v20
	v_cndmask_b32_e64 v19, v23, 0, s8
	v_cndmask_b32_e64 v20, v24, 0, s9
	s_delay_alu instid0(VALU_DEP_3) | instskip(SKIP_1) | instid1(VALU_DEP_2)
	v_add3_u32 v15, v15, v18, v21
	v_and_b32_e32 v18, 1, v14
	v_add3_u32 v14, v15, v19, v20
	s_delay_alu instid0(VALU_DEP_2)
	v_cmpx_eq_u32_e32 1, v18
	s_cbranch_execz .LBB139_67
; %bb.66:                               ;   in Loop: Header=BB139_65 Depth=2
	v_lshl_add_u64 v[18:19], v[0:1], 3, s[36:37]
	s_delay_alu instid0(VALU_DEP_3) | instskip(NEXT) | instid1(VALU_DEP_1)
	v_ashrrev_i32_e32 v15, 31, v14
	v_lshl_add_u64 v[18:19], v[14:15], 3, v[18:19]
	global_store_b64 v[18:19], v[12:13], off offset:-8
.LBB139_67:                             ;   in Loop: Header=BB139_65 Depth=2
	s_wait_xcnt 0x0
	s_or_b32 exec_lo, exec_lo, s11
	s_and_saveexec_b32 s11, s2
	s_cbranch_execz .LBB139_64
; %bb.68:                               ;   in Loop: Header=BB139_65 Depth=2
	ds_store_b32 v3, v14 offset:28
	s_branch .LBB139_64
.LBB139_69:
	s_endpgm
	.section	.rodata,"a",@progbits
	.p2align	6, 0x0
	.amdhsa_kernel _ZN9rocsparseL51csrgemm_numeric_fill_block_per_row_multipass_kernelILj512ELj16ELj2048ELj64Ell21rocsparse_complex_numIfEEEvT4_PKS3_S5_NS_24const_host_device_scalarIT5_EEPKT3_S5_PKS7_SB_S5_SD_S8_SB_S5_SD_SB_S5_PS7_PS9_21rocsparse_index_base_SG_SG_SG_bbb
		.amdhsa_group_segment_fixed_size 18440
		.amdhsa_private_segment_fixed_size 0
		.amdhsa_kernarg_size 164
		.amdhsa_user_sgpr_count 2
		.amdhsa_user_sgpr_dispatch_ptr 0
		.amdhsa_user_sgpr_queue_ptr 0
		.amdhsa_user_sgpr_kernarg_segment_ptr 1
		.amdhsa_user_sgpr_dispatch_id 0
		.amdhsa_user_sgpr_kernarg_preload_length 0
		.amdhsa_user_sgpr_kernarg_preload_offset 0
		.amdhsa_user_sgpr_private_segment_size 0
		.amdhsa_wavefront_size32 1
		.amdhsa_uses_dynamic_stack 0
		.amdhsa_enable_private_segment 0
		.amdhsa_system_sgpr_workgroup_id_x 1
		.amdhsa_system_sgpr_workgroup_id_y 0
		.amdhsa_system_sgpr_workgroup_id_z 0
		.amdhsa_system_sgpr_workgroup_info 0
		.amdhsa_system_vgpr_workitem_id 0
		.amdhsa_next_free_vgpr 48
		.amdhsa_next_free_sgpr 60
		.amdhsa_named_barrier_count 0
		.amdhsa_reserve_vcc 1
		.amdhsa_float_round_mode_32 0
		.amdhsa_float_round_mode_16_64 0
		.amdhsa_float_denorm_mode_32 3
		.amdhsa_float_denorm_mode_16_64 3
		.amdhsa_fp16_overflow 0
		.amdhsa_memory_ordered 1
		.amdhsa_forward_progress 1
		.amdhsa_inst_pref_size 23
		.amdhsa_round_robin_scheduling 0
		.amdhsa_exception_fp_ieee_invalid_op 0
		.amdhsa_exception_fp_denorm_src 0
		.amdhsa_exception_fp_ieee_div_zero 0
		.amdhsa_exception_fp_ieee_overflow 0
		.amdhsa_exception_fp_ieee_underflow 0
		.amdhsa_exception_fp_ieee_inexact 0
		.amdhsa_exception_int_div_zero 0
	.end_amdhsa_kernel
	.section	.text._ZN9rocsparseL51csrgemm_numeric_fill_block_per_row_multipass_kernelILj512ELj16ELj2048ELj64Ell21rocsparse_complex_numIfEEEvT4_PKS3_S5_NS_24const_host_device_scalarIT5_EEPKT3_S5_PKS7_SB_S5_SD_S8_SB_S5_SD_SB_S5_PS7_PS9_21rocsparse_index_base_SG_SG_SG_bbb,"axG",@progbits,_ZN9rocsparseL51csrgemm_numeric_fill_block_per_row_multipass_kernelILj512ELj16ELj2048ELj64Ell21rocsparse_complex_numIfEEEvT4_PKS3_S5_NS_24const_host_device_scalarIT5_EEPKT3_S5_PKS7_SB_S5_SD_S8_SB_S5_SD_SB_S5_PS7_PS9_21rocsparse_index_base_SG_SG_SG_bbb,comdat
.Lfunc_end139:
	.size	_ZN9rocsparseL51csrgemm_numeric_fill_block_per_row_multipass_kernelILj512ELj16ELj2048ELj64Ell21rocsparse_complex_numIfEEEvT4_PKS3_S5_NS_24const_host_device_scalarIT5_EEPKT3_S5_PKS7_SB_S5_SD_S8_SB_S5_SD_SB_S5_PS7_PS9_21rocsparse_index_base_SG_SG_SG_bbb, .Lfunc_end139-_ZN9rocsparseL51csrgemm_numeric_fill_block_per_row_multipass_kernelILj512ELj16ELj2048ELj64Ell21rocsparse_complex_numIfEEEvT4_PKS3_S5_NS_24const_host_device_scalarIT5_EEPKT3_S5_PKS7_SB_S5_SD_S8_SB_S5_SD_SB_S5_PS7_PS9_21rocsparse_index_base_SG_SG_SG_bbb
                                        ; -- End function
	.set _ZN9rocsparseL51csrgemm_numeric_fill_block_per_row_multipass_kernelILj512ELj16ELj2048ELj64Ell21rocsparse_complex_numIfEEEvT4_PKS3_S5_NS_24const_host_device_scalarIT5_EEPKT3_S5_PKS7_SB_S5_SD_S8_SB_S5_SD_SB_S5_PS7_PS9_21rocsparse_index_base_SG_SG_SG_bbb.num_vgpr, 48
	.set _ZN9rocsparseL51csrgemm_numeric_fill_block_per_row_multipass_kernelILj512ELj16ELj2048ELj64Ell21rocsparse_complex_numIfEEEvT4_PKS3_S5_NS_24const_host_device_scalarIT5_EEPKT3_S5_PKS7_SB_S5_SD_S8_SB_S5_SD_SB_S5_PS7_PS9_21rocsparse_index_base_SG_SG_SG_bbb.num_agpr, 0
	.set _ZN9rocsparseL51csrgemm_numeric_fill_block_per_row_multipass_kernelILj512ELj16ELj2048ELj64Ell21rocsparse_complex_numIfEEEvT4_PKS3_S5_NS_24const_host_device_scalarIT5_EEPKT3_S5_PKS7_SB_S5_SD_S8_SB_S5_SD_SB_S5_PS7_PS9_21rocsparse_index_base_SG_SG_SG_bbb.numbered_sgpr, 60
	.set _ZN9rocsparseL51csrgemm_numeric_fill_block_per_row_multipass_kernelILj512ELj16ELj2048ELj64Ell21rocsparse_complex_numIfEEEvT4_PKS3_S5_NS_24const_host_device_scalarIT5_EEPKT3_S5_PKS7_SB_S5_SD_S8_SB_S5_SD_SB_S5_PS7_PS9_21rocsparse_index_base_SG_SG_SG_bbb.num_named_barrier, 0
	.set _ZN9rocsparseL51csrgemm_numeric_fill_block_per_row_multipass_kernelILj512ELj16ELj2048ELj64Ell21rocsparse_complex_numIfEEEvT4_PKS3_S5_NS_24const_host_device_scalarIT5_EEPKT3_S5_PKS7_SB_S5_SD_S8_SB_S5_SD_SB_S5_PS7_PS9_21rocsparse_index_base_SG_SG_SG_bbb.private_seg_size, 0
	.set _ZN9rocsparseL51csrgemm_numeric_fill_block_per_row_multipass_kernelILj512ELj16ELj2048ELj64Ell21rocsparse_complex_numIfEEEvT4_PKS3_S5_NS_24const_host_device_scalarIT5_EEPKT3_S5_PKS7_SB_S5_SD_S8_SB_S5_SD_SB_S5_PS7_PS9_21rocsparse_index_base_SG_SG_SG_bbb.uses_vcc, 1
	.set _ZN9rocsparseL51csrgemm_numeric_fill_block_per_row_multipass_kernelILj512ELj16ELj2048ELj64Ell21rocsparse_complex_numIfEEEvT4_PKS3_S5_NS_24const_host_device_scalarIT5_EEPKT3_S5_PKS7_SB_S5_SD_S8_SB_S5_SD_SB_S5_PS7_PS9_21rocsparse_index_base_SG_SG_SG_bbb.uses_flat_scratch, 0
	.set _ZN9rocsparseL51csrgemm_numeric_fill_block_per_row_multipass_kernelILj512ELj16ELj2048ELj64Ell21rocsparse_complex_numIfEEEvT4_PKS3_S5_NS_24const_host_device_scalarIT5_EEPKT3_S5_PKS7_SB_S5_SD_S8_SB_S5_SD_SB_S5_PS7_PS9_21rocsparse_index_base_SG_SG_SG_bbb.has_dyn_sized_stack, 0
	.set _ZN9rocsparseL51csrgemm_numeric_fill_block_per_row_multipass_kernelILj512ELj16ELj2048ELj64Ell21rocsparse_complex_numIfEEEvT4_PKS3_S5_NS_24const_host_device_scalarIT5_EEPKT3_S5_PKS7_SB_S5_SD_S8_SB_S5_SD_SB_S5_PS7_PS9_21rocsparse_index_base_SG_SG_SG_bbb.has_recursion, 0
	.set _ZN9rocsparseL51csrgemm_numeric_fill_block_per_row_multipass_kernelILj512ELj16ELj2048ELj64Ell21rocsparse_complex_numIfEEEvT4_PKS3_S5_NS_24const_host_device_scalarIT5_EEPKT3_S5_PKS7_SB_S5_SD_S8_SB_S5_SD_SB_S5_PS7_PS9_21rocsparse_index_base_SG_SG_SG_bbb.has_indirect_call, 0
	.section	.AMDGPU.csdata,"",@progbits
; Kernel info:
; codeLenInByte = 2828
; TotalNumSgprs: 62
; NumVgprs: 48
; ScratchSize: 0
; MemoryBound: 0
; FloatMode: 240
; IeeeMode: 1
; LDSByteSize: 18440 bytes/workgroup (compile time only)
; SGPRBlocks: 0
; VGPRBlocks: 2
; NumSGPRsForWavesPerEU: 62
; NumVGPRsForWavesPerEU: 48
; NamedBarCnt: 0
; Occupancy: 16
; WaveLimiterHint : 1
; COMPUTE_PGM_RSRC2:SCRATCH_EN: 0
; COMPUTE_PGM_RSRC2:USER_SGPR: 2
; COMPUTE_PGM_RSRC2:TRAP_HANDLER: 0
; COMPUTE_PGM_RSRC2:TGID_X_EN: 1
; COMPUTE_PGM_RSRC2:TGID_Y_EN: 0
; COMPUTE_PGM_RSRC2:TGID_Z_EN: 0
; COMPUTE_PGM_RSRC2:TIDIG_COMP_CNT: 0
	.section	.text._ZN9rocsparseL38csrgemm_numeric_fill_wf_per_row_kernelILj256ELj8ELj16ELj137Ell21rocsparse_complex_numIdEEEvT4_S3_PKS3_S5_NS_24const_host_device_scalarIT5_EEPKT3_S5_PKS7_SB_S5_SD_S8_SB_S5_SD_SB_S5_PS7_21rocsparse_index_base_SF_SF_SF_bbb,"axG",@progbits,_ZN9rocsparseL38csrgemm_numeric_fill_wf_per_row_kernelILj256ELj8ELj16ELj137Ell21rocsparse_complex_numIdEEEvT4_S3_PKS3_S5_NS_24const_host_device_scalarIT5_EEPKT3_S5_PKS7_SB_S5_SD_S8_SB_S5_SD_SB_S5_PS7_21rocsparse_index_base_SF_SF_SF_bbb,comdat
	.globl	_ZN9rocsparseL38csrgemm_numeric_fill_wf_per_row_kernelILj256ELj8ELj16ELj137Ell21rocsparse_complex_numIdEEEvT4_S3_PKS3_S5_NS_24const_host_device_scalarIT5_EEPKT3_S5_PKS7_SB_S5_SD_S8_SB_S5_SD_SB_S5_PS7_21rocsparse_index_base_SF_SF_SF_bbb ; -- Begin function _ZN9rocsparseL38csrgemm_numeric_fill_wf_per_row_kernelILj256ELj8ELj16ELj137Ell21rocsparse_complex_numIdEEEvT4_S3_PKS3_S5_NS_24const_host_device_scalarIT5_EEPKT3_S5_PKS7_SB_S5_SD_S8_SB_S5_SD_SB_S5_PS7_21rocsparse_index_base_SF_SF_SF_bbb
	.p2align	8
	.type	_ZN9rocsparseL38csrgemm_numeric_fill_wf_per_row_kernelILj256ELj8ELj16ELj137Ell21rocsparse_complex_numIdEEEvT4_S3_PKS3_S5_NS_24const_host_device_scalarIT5_EEPKT3_S5_PKS7_SB_S5_SD_S8_SB_S5_SD_SB_S5_PS7_21rocsparse_index_base_SF_SF_SF_bbb,@function
_ZN9rocsparseL38csrgemm_numeric_fill_wf_per_row_kernelILj256ELj8ELj16ELj137Ell21rocsparse_complex_numIdEEEvT4_S3_PKS3_S5_NS_24const_host_device_scalarIT5_EEPKT3_S5_PKS7_SB_S5_SD_S8_SB_S5_SD_SB_S5_PS7_21rocsparse_index_base_SF_SF_SF_bbb: ; @_ZN9rocsparseL38csrgemm_numeric_fill_wf_per_row_kernelILj256ELj8ELj16ELj137Ell21rocsparse_complex_numIdEEEvT4_S3_PKS3_S5_NS_24const_host_device_scalarIT5_EEPKT3_S5_PKS7_SB_S5_SD_S8_SB_S5_SD_SB_S5_PS7_21rocsparse_index_base_SF_SF_SF_bbb
; %bb.0:
	s_clause 0x3
	s_load_b32 s3, s[0:1], 0xb0
	s_load_b128 s[8:11], s[0:1], 0x20
	s_load_b128 s[4:7], s[0:1], 0x60
	;; [unrolled: 1-line block ×3, first 2 shown]
	v_mov_b64_e32 v[4:5], 0
	v_mov_b64_e32 v[10:11], 0
	;; [unrolled: 1-line block ×3, first 2 shown]
	v_mbcnt_lo_u32_b32 v1, -1, 0
	s_wait_kmcnt 0x0
	s_bitcmp1_b32 s3, 0
	v_mov_b64_e32 v[2:3], s[8:9]
	s_cselect_b32 s38, -1, 0
	s_bitcmp1_b32 s3, 16
	v_mov_b64_e32 v[6:7], s[4:5]
	s_cselect_b32 s2, -1, 0
	s_clause 0x1
	scratch_store_b64 off, v[2:3], off
	scratch_store_b64 off, v[6:7], off offset:8
	s_xor_b32 s12, s2, -1
	s_bitcmp0_b32 s3, 0
	v_cndmask_b32_e64 v8, 0, 1, s12
	s_delay_alu instid0(VALU_DEP_1)
	v_cmp_ne_u32_e32 vcc_lo, 1, v8
	s_cbranch_scc1 .LBB140_3
; %bb.1:
	s_wait_xcnt 0x1
	v_dual_mov_b32 v2, 0 :: v_dual_lshlrev_b32 v3, 20, v1
	v_mov_b64_e32 v[12:13], s[10:11]
	s_and_b32 vcc_lo, exec_lo, vcc_lo
	s_delay_alu instid0(VALU_DEP_2) | instskip(NEXT) | instid1(VALU_DEP_1)
	v_add_nc_u64_e32 v[2:3], src_flat_scratch_base_lo, v[2:3]
	v_cndmask_b32_e64 v3, s9, v3, s2
	s_delay_alu instid0(VALU_DEP_2)
	v_cndmask_b32_e64 v2, s8, v2, s2
	flat_load_b64 v[10:11], v[2:3]
	s_cbranch_vccnz .LBB140_3
; %bb.2:
	s_wait_xcnt 0x0
	v_mov_b32_e32 v2, 0
	flat_load_b64 v[12:13], v2, s[8:9] offset:8
.LBB140_3:
	s_load_b64 s[34:35], s[0:1], 0x10
	v_mov_b64_e32 v[6:7], 0
	s_bitcmp1_b32 s3, 8
	s_cselect_b32 s33, -1, 0
	s_bfe_u32 s3, s3, 0x10008
	s_delay_alu instid0(SALU_CYCLE_1)
	s_cmp_eq_u32 s3, 0
	s_cbranch_scc1 .LBB140_6
; %bb.4:
	v_dual_mov_b32 v2, 8 :: v_dual_lshlrev_b32 v3, 20, v1
	v_mov_b64_e32 v[4:5], s[6:7]
	s_and_not1_b32 vcc_lo, exec_lo, s12
	s_delay_alu instid0(VALU_DEP_2) | instskip(NEXT) | instid1(VALU_DEP_1)
	v_add_nc_u64_e32 v[2:3], src_flat_scratch_base_lo, v[2:3]
	v_cndmask_b32_e64 v3, s5, v3, s2
	s_delay_alu instid0(VALU_DEP_2)
	v_cndmask_b32_e64 v2, s4, v2, s2
	flat_load_b64 v[6:7], v[2:3]
	s_cbranch_vccnz .LBB140_6
; %bb.5:
	v_mov_b32_e32 v1, 0
	flat_load_b64 v[4:5], v1, s[4:5] offset:8
.LBB140_6:
	s_clause 0x5
	s_load_b64 s[36:37], s[0:1], 0x18
	s_load_b128 s[24:27], s[0:1], 0x0
	s_load_b64 s[2:3], s[0:1], 0x98
	s_load_b256 s[4:11], s[0:1], 0x70
	s_load_b128 s[28:31], s[0:1], 0x50
	s_load_b256 s[12:19], s[0:1], 0x30
	v_dual_lshrrev_b32 v15, 3, v0 :: v_dual_bitop2_b32 v14, 7, v0 bitop3:0x40
	s_wait_xcnt 0x0
	s_mov_b32 s0, 0
	s_delay_alu instid0(VALU_DEP_1) | instskip(NEXT) | instid1(VALU_DEP_2)
	v_dual_mov_b32 v0, 0 :: v_dual_lshlrev_b32 v1, 7, v15
	v_dual_lshlrev_b32 v2, 3, v14 :: v_dual_lshlrev_b32 v3, 4, v14
	v_or_b32_e32 v36, -8, v14
	s_delay_alu instid0(VALU_DEP_2) | instskip(NEXT) | instid1(VALU_DEP_3)
	v_or3_b32 v37, v1, v2, 0x2000
	v_lshl_or_b32 v38, v15, 8, v3
	v_dual_mov_b32 v1, v0 :: v_dual_mov_b32 v2, v0
	s_delay_alu instid0(VALU_DEP_3) | instskip(NEXT) | instid1(VALU_DEP_3)
	v_dual_mov_b32 v3, v0 :: v_dual_mov_b32 v16, v37
	v_mov_b32_e32 v17, v38
	s_wait_kmcnt 0x0
	v_mov_b64_e32 v[8:9], s[26:27]
	v_mov_b32_e32 v18, v36
.LBB140_7:                              ; =>This Inner Loop Header: Depth=1
	s_delay_alu instid0(VALU_DEP_1)
	v_add_co_u32 v18, s1, v18, 8
	s_xor_b32 s1, s1, -1
	ds_store_b64 v16, v[8:9]
	ds_store_b128 v17, v[0:3]
	v_add_nc_u32_e32 v17, 0x80, v17
	v_add_nc_u32_e32 v16, 64, v16
	s_and_b32 s1, exec_lo, s1
	s_delay_alu instid0(SALU_CYCLE_1) | instskip(NEXT) | instid1(SALU_CYCLE_1)
	s_or_b32 s0, s1, s0
	s_and_not1_b32 exec_lo, exec_lo, s0
	s_cbranch_execnz .LBB140_7
; %bb.8:
	s_or_b32 exec_lo, exec_lo, s0
	s_bfe_u32 s0, ttmp6, 0x4000c
	s_and_b32 s1, ttmp6, 15
	s_add_co_i32 s0, s0, 1
	s_getreg_b32 s39, hwreg(HW_REG_IB_STS2, 6, 4)
	s_mul_i32 s0, ttmp9, s0
	v_mov_b32_e32 v9, 0
	s_add_co_i32 s1, s1, s0
	s_cmp_eq_u32 s39, 0
	s_wait_storecnt 0x0
	s_wait_loadcnt_dscnt 0x0
	s_cselect_b32 s0, ttmp9, s1
	s_delay_alu instid0(SALU_CYCLE_1) | instskip(NEXT) | instid1(SALU_CYCLE_1)
	s_lshl_b32 s0, s0, 5
	v_and_or_b32 v8, 0x1fffffe0, s0, v15
	s_mov_b32 s0, exec_lo
	s_delay_alu instid0(VALU_DEP_1)
	v_cmpx_gt_i64_e64 s[24:25], v[8:9]
	s_cbranch_execz .LBB140_52
; %bb.9:
	s_cmp_eq_u64 s[36:37], 0
	s_cbranch_scc1 .LBB140_11
; %bb.10:
	s_load_b64 s[0:1], s[34:35], 0x0
	s_wait_kmcnt 0x0
	s_lshl_b64 s[0:1], s[0:1], 3
	s_delay_alu instid0(SALU_CYCLE_1)
	s_add_nc_u64 s[0:1], s[36:37], s[0:1]
	global_load_b64 v[8:9], v8, s[0:1] scale_offset
.LBB140_11:
	v_lshl_or_b32 v39, v15, 7, 0x2000
	v_lshlrev_b32_e32 v40, 8, v15
	s_and_not1_b32 vcc_lo, exec_lo, s38
	s_cbranch_vccnz .LBB140_31
; %bb.12:
	s_wait_loadcnt 0x0
	v_lshl_add_u64 v[0:1], v[8:9], 3, s[12:13]
	v_mov_b32_e32 v15, 0
	s_mov_b32 s1, 0
	s_mov_b32 s0, s20
	s_mov_b32 s20, exec_lo
	global_load_b128 v[0:3], v[0:1], off
	v_sub_nc_u64_e64 v[18:19], v[14:15], s[0:1]
	s_wait_loadcnt 0x0
	v_sub_nc_u64_e64 v[16:17], v[2:3], s[0:1]
	s_delay_alu instid0(VALU_DEP_2) | instskip(NEXT) | instid1(VALU_DEP_1)
	v_add_nc_u64_e32 v[18:19], v[0:1], v[18:19]
	v_cmpx_lt_i64_e64 v[18:19], v[16:17]
	s_cbranch_execz .LBB140_30
; %bb.13:
	s_mov_b32 s12, s21
	s_mov_b32 s13, s1
	;; [unrolled: 1-line block ×3, first 2 shown]
	s_branch .LBB140_15
.LBB140_14:                             ;   in Loop: Header=BB140_15 Depth=1
	s_or_b32 exec_lo, exec_lo, s24
	v_add_nc_u64_e32 v[18:19], 8, v[18:19]
	s_delay_alu instid0(VALU_DEP_1) | instskip(SKIP_1) | instid1(SALU_CYCLE_1)
	v_cmp_ge_i64_e32 vcc_lo, v[18:19], v[16:17]
	s_or_b32 s21, vcc_lo, s21
	s_and_not1_b32 exec_lo, exec_lo, s21
	s_cbranch_execz .LBB140_30
.LBB140_15:                             ; =>This Loop Header: Depth=1
                                        ;     Child Loop BB140_19 Depth 2
                                        ;       Child Loop BB140_22 Depth 3
	v_lshl_add_u64 v[0:1], v[18:19], 3, s[14:15]
	s_mov_b32 s24, exec_lo
	global_load_b64 v[0:1], v[0:1], off
	s_wait_loadcnt 0x0
	s_wait_xcnt 0x0
	v_sub_nc_u64_e64 v[0:1], v[0:1], s[0:1]
	s_delay_alu instid0(VALU_DEP_1)
	v_lshl_add_u64 v[0:1], v[0:1], 3, s[18:19]
	global_load_b128 v[0:3], v[0:1], off
	s_wait_loadcnt 0x0
	s_wait_xcnt 0x0
	v_cmpx_lt_i64_e64 v[0:1], v[2:3]
	s_cbranch_execz .LBB140_14
; %bb.16:                               ;   in Loop: Header=BB140_15 Depth=1
	v_lshl_add_u64 v[20:21], v[18:19], 4, s[16:17]
	s_mov_b32 s25, 0
	global_load_b128 v[24:27], v[20:21], off
	s_wait_loadcnt 0x0
	s_wait_xcnt 0x0
	v_mul_f64_e64 v[20:21], v[26:27], -v[12:13]
	v_mul_f64_e32 v[22:23], v[10:11], v[26:27]
	v_sub_nc_u64_e64 v[26:27], v[0:1], s[12:13]
	s_delay_alu instid0(VALU_DEP_3) | instskip(NEXT) | instid1(VALU_DEP_3)
	v_fmac_f64_e32 v[20:21], v[10:11], v[24:25]
	v_fmac_f64_e32 v[22:23], v[12:13], v[24:25]
	v_sub_nc_u64_e64 v[24:25], v[2:3], s[12:13]
	s_branch .LBB140_19
.LBB140_17:                             ;   in Loop: Header=BB140_19 Depth=2
	s_or_b32 exec_lo, exec_lo, s35
.LBB140_18:                             ;   in Loop: Header=BB140_19 Depth=2
	s_delay_alu instid0(SALU_CYCLE_1) | instskip(SKIP_4) | instid1(VALU_DEP_1)
	s_or_b32 exec_lo, exec_lo, s34
	s_wait_loadcnt 0x0
	v_mul_f64_e64 v[30:31], v[2:3], -v[22:23]
	v_mul_f64_e32 v[2:3], v[20:21], v[2:3]
	v_add_nc_u64_e32 v[26:27], 1, v[26:27]
	v_cmp_ge_i64_e32 vcc_lo, v[26:27], v[24:25]
	s_or_b32 s25, vcc_lo, s25
	s_delay_alu instid0(VALU_DEP_4) | instskip(NEXT) | instid1(VALU_DEP_4)
	v_fmac_f64_e32 v[30:31], v[20:21], v[0:1]
	v_fmac_f64_e32 v[2:3], v[22:23], v[0:1]
	v_lshl_add_u32 v0, v28, 4, v40
	ds_add_f64 v0, v[30:31]
	ds_add_f64 v0, v[2:3] offset:8
	s_and_not1_b32 exec_lo, exec_lo, s25
	s_cbranch_execz .LBB140_14
.LBB140_19:                             ;   Parent Loop BB140_15 Depth=1
                                        ; =>  This Loop Header: Depth=2
                                        ;       Child Loop BB140_22 Depth 3
	s_delay_alu instid0(VALU_DEP_4)
	v_lshl_add_u64 v[0:1], v[26:27], 3, s[28:29]
	s_mov_b32 s34, exec_lo
	global_load_b64 v[28:29], v[0:1], off
	s_wait_xcnt 0x0
	v_lshl_add_u64 v[0:1], v[26:27], 4, s[30:31]
	global_load_b128 v[0:3], v[0:1], off
	s_wait_loadcnt 0x1
	v_sub_nc_u64_e64 v[30:31], v[28:29], s[12:13]
	s_delay_alu instid0(VALU_DEP_1) | instskip(NEXT) | instid1(VALU_DEP_1)
	v_lshl_add_u32 v15, v30, 3, v30
	v_and_b32_e32 v28, 15, v15
	s_delay_alu instid0(VALU_DEP_1)
	v_lshl_add_u32 v15, v28, 3, v39
	ds_load_b64 v[34:35], v15
	s_wait_dscnt 0x0
	s_wait_xcnt 0x0
	v_cmpx_ne_u64_e64 v[34:35], v[30:31]
	s_cbranch_execz .LBB140_18
; %bb.20:                               ;   in Loop: Header=BB140_19 Depth=2
	s_mov_b32 s35, 0
                                        ; implicit-def: $sgpr36
                                        ; implicit-def: $sgpr37
	s_branch .LBB140_22
.LBB140_21:                             ;   in Loop: Header=BB140_22 Depth=3
	s_or_b32 exec_lo, exec_lo, s40
	s_delay_alu instid0(SALU_CYCLE_1) | instskip(NEXT) | instid1(SALU_CYCLE_1)
	s_and_b32 s38, exec_lo, s39
	s_or_b32 s35, s38, s35
	s_and_not1_b32 s36, s36, exec_lo
	s_and_b32 s38, s37, exec_lo
	s_delay_alu instid0(SALU_CYCLE_1)
	s_or_b32 s36, s36, s38
	s_and_not1_b32 exec_lo, exec_lo, s35
	s_cbranch_execz .LBB140_28
.LBB140_22:                             ;   Parent Loop BB140_15 Depth=1
                                        ;     Parent Loop BB140_19 Depth=2
                                        ; =>    This Inner Loop Header: Depth=3
	v_mov_b64_e32 v[32:33], v[28:29]
	s_mov_b32 s38, 0
	s_mov_b32 s39, exec_lo
                                        ; implicit-def: $vgpr28_vgpr29
	v_cmpx_ne_u64_e64 s[26:27], v[34:35]
	s_xor_b32 s39, exec_lo, s39
; %bb.23:                               ;   in Loop: Header=BB140_22 Depth=3
	s_delay_alu instid0(VALU_DEP_2) | instskip(SKIP_1) | instid1(VALU_DEP_1)
	v_add_nc_u32_e32 v15, 1, v32
	s_mov_b32 s38, exec_lo
	v_and_b32_e32 v28, 15, v15
                                        ; implicit-def: $vgpr15
; %bb.24:                               ;   in Loop: Header=BB140_22 Depth=3
	s_and_not1_saveexec_b32 s39, s39
	s_cbranch_execz .LBB140_26
; %bb.25:                               ;   in Loop: Header=BB140_22 Depth=3
	v_mov_b64_e32 v[28:29], s[26:27]
	s_and_not1_b32 s38, s38, exec_lo
	ds_cmpstore_rtn_b64 v[28:29], v15, v[30:31], v[28:29]
	s_wait_dscnt 0x0
	v_cmp_ne_u64_e32 vcc_lo, s[26:27], v[28:29]
	v_mov_b64_e32 v[28:29], v[32:33]
	s_and_b32 s40, vcc_lo, exec_lo
	s_delay_alu instid0(SALU_CYCLE_1)
	s_or_b32 s38, s38, s40
.LBB140_26:                             ;   in Loop: Header=BB140_22 Depth=3
	s_or_b32 exec_lo, exec_lo, s39
	s_mov_b32 s39, -1
	s_or_b32 s37, s37, exec_lo
                                        ; implicit-def: $vgpr15
                                        ; implicit-def: $vgpr34_vgpr35
	s_and_saveexec_b32 s40, s38
	s_cbranch_execz .LBB140_21
; %bb.27:                               ;   in Loop: Header=BB140_22 Depth=3
	v_lshl_add_u32 v15, v28, 3, v39
	s_and_not1_b32 s37, s37, exec_lo
	ds_load_b64 v[34:35], v15
	s_wait_dscnt 0x0
	v_cmp_eq_u64_e32 vcc_lo, v[34:35], v[30:31]
	s_or_not1_b32 s39, vcc_lo, exec_lo
	s_branch .LBB140_21
.LBB140_28:                             ;   in Loop: Header=BB140_19 Depth=2
	s_or_b32 exec_lo, exec_lo, s35
	s_and_saveexec_b32 s35, s36
	s_delay_alu instid0(SALU_CYCLE_1)
	s_xor_b32 s35, exec_lo, s35
	s_cbranch_execz .LBB140_17
; %bb.29:                               ;   in Loop: Header=BB140_19 Depth=2
	v_mov_b32_e32 v28, v32
	s_branch .LBB140_17
.LBB140_30:
	s_or_b32 exec_lo, exec_lo, s20
.LBB140_31:
	s_delay_alu instid0(SALU_CYCLE_1)
	s_and_not1_b32 vcc_lo, exec_lo, s33
	s_cbranch_vccnz .LBB140_48
; %bb.32:
	s_wait_loadcnt 0x0
	v_lshl_add_u64 v[0:1], v[8:9], 3, s[4:5]
	v_mov_b32_e32 v15, 0
	s_mov_b32 s1, 0
	s_mov_b32 s0, s23
	s_mov_b32 s4, exec_lo
	global_load_b128 v[0:3], v[0:1], off
	v_sub_nc_u64_e64 v[12:13], v[14:15], s[0:1]
	s_wait_loadcnt 0x0
	v_sub_nc_u64_e64 v[10:11], v[2:3], s[0:1]
	s_delay_alu instid0(VALU_DEP_2) | instskip(NEXT) | instid1(VALU_DEP_1)
	v_add_nc_u64_e32 v[12:13], v[0:1], v[12:13]
	v_cmpx_lt_i64_e64 v[12:13], v[10:11]
	s_cbranch_execz .LBB140_47
; %bb.33:
	s_mov_b32 s5, s1
	s_branch .LBB140_36
.LBB140_34:                             ;   in Loop: Header=BB140_36 Depth=1
	s_or_b32 exec_lo, exec_lo, s13
.LBB140_35:                             ;   in Loop: Header=BB140_36 Depth=1
	s_delay_alu instid0(SALU_CYCLE_1) | instskip(SKIP_4) | instid1(VALU_DEP_1)
	s_or_b32 exec_lo, exec_lo, s12
	s_wait_loadcnt 0x0
	v_mul_f64_e64 v[16:17], v[2:3], -v[4:5]
	v_mul_f64_e32 v[2:3], v[6:7], v[2:3]
	v_add_nc_u64_e32 v[12:13], 8, v[12:13]
	v_cmp_ge_i64_e32 vcc_lo, v[12:13], v[10:11]
	s_or_b32 s5, vcc_lo, s5
	s_delay_alu instid0(VALU_DEP_4) | instskip(NEXT) | instid1(VALU_DEP_4)
	v_fmac_f64_e32 v[16:17], v[6:7], v[0:1]
	v_fmac_f64_e32 v[2:3], v[4:5], v[0:1]
	v_lshl_add_u32 v0, v14, 4, v40
	ds_add_f64 v0, v[16:17]
	ds_add_f64 v0, v[2:3] offset:8
	s_and_not1_b32 exec_lo, exec_lo, s5
	s_cbranch_execz .LBB140_47
.LBB140_36:                             ; =>This Loop Header: Depth=1
                                        ;     Child Loop BB140_39 Depth 2
	v_lshl_add_u64 v[0:1], v[12:13], 3, s[6:7]
	s_mov_b32 s12, exec_lo
	global_load_b64 v[14:15], v[0:1], off
	s_wait_xcnt 0x0
	v_lshl_add_u64 v[0:1], v[12:13], 4, s[8:9]
	global_load_b128 v[0:3], v[0:1], off
	s_wait_loadcnt 0x1
	v_sub_nc_u64_e64 v[16:17], v[14:15], s[0:1]
	s_delay_alu instid0(VALU_DEP_1) | instskip(NEXT) | instid1(VALU_DEP_1)
	v_lshl_add_u32 v14, v16, 3, v16
	v_and_b32_e32 v14, 15, v14
	s_delay_alu instid0(VALU_DEP_1)
	v_lshl_add_u32 v22, v14, 3, v39
	ds_load_b64 v[20:21], v22
	s_wait_dscnt 0x0
	s_wait_xcnt 0x0
	v_cmpx_ne_u64_e64 v[20:21], v[16:17]
	s_cbranch_execz .LBB140_35
; %bb.37:                               ;   in Loop: Header=BB140_36 Depth=1
	s_mov_b32 s13, 0
                                        ; implicit-def: $sgpr14
                                        ; implicit-def: $sgpr15
	s_branch .LBB140_39
.LBB140_38:                             ;   in Loop: Header=BB140_39 Depth=2
	s_or_b32 exec_lo, exec_lo, s18
	s_delay_alu instid0(SALU_CYCLE_1) | instskip(NEXT) | instid1(SALU_CYCLE_1)
	s_and_b32 s16, exec_lo, s17
	s_or_b32 s13, s16, s13
	s_and_not1_b32 s14, s14, exec_lo
	s_and_b32 s16, s15, exec_lo
	s_delay_alu instid0(SALU_CYCLE_1)
	s_or_b32 s14, s14, s16
	s_and_not1_b32 exec_lo, exec_lo, s13
	s_cbranch_execz .LBB140_45
.LBB140_39:                             ;   Parent Loop BB140_36 Depth=1
                                        ; =>  This Inner Loop Header: Depth=2
	v_mov_b64_e32 v[18:19], v[14:15]
	s_mov_b32 s16, 0
	s_mov_b32 s17, exec_lo
                                        ; implicit-def: $vgpr14_vgpr15
	v_cmpx_ne_u64_e64 s[26:27], v[20:21]
	s_xor_b32 s17, exec_lo, s17
; %bb.40:                               ;   in Loop: Header=BB140_39 Depth=2
	s_delay_alu instid0(VALU_DEP_2) | instskip(SKIP_1) | instid1(VALU_DEP_1)
	v_add_nc_u32_e32 v14, 1, v18
	s_mov_b32 s16, exec_lo
                                        ; implicit-def: $vgpr22
	v_and_b32_e32 v14, 15, v14
; %bb.41:                               ;   in Loop: Header=BB140_39 Depth=2
	s_and_not1_saveexec_b32 s17, s17
	s_cbranch_execz .LBB140_43
; %bb.42:                               ;   in Loop: Header=BB140_39 Depth=2
	v_mov_b64_e32 v[14:15], s[26:27]
	s_and_not1_b32 s16, s16, exec_lo
	ds_cmpstore_rtn_b64 v[14:15], v22, v[16:17], v[14:15]
	s_wait_dscnt 0x0
	v_cmp_ne_u64_e32 vcc_lo, s[26:27], v[14:15]
	v_mov_b64_e32 v[14:15], v[18:19]
	s_and_b32 s18, vcc_lo, exec_lo
	s_delay_alu instid0(SALU_CYCLE_1)
	s_or_b32 s16, s16, s18
.LBB140_43:                             ;   in Loop: Header=BB140_39 Depth=2
	s_or_b32 exec_lo, exec_lo, s17
	s_mov_b32 s17, -1
	s_or_b32 s15, s15, exec_lo
                                        ; implicit-def: $vgpr22
                                        ; implicit-def: $vgpr20_vgpr21
	s_and_saveexec_b32 s18, s16
	s_cbranch_execz .LBB140_38
; %bb.44:                               ;   in Loop: Header=BB140_39 Depth=2
	v_lshl_add_u32 v22, v14, 3, v39
	s_and_not1_b32 s15, s15, exec_lo
	ds_load_b64 v[20:21], v22
	s_wait_dscnt 0x0
	v_cmp_eq_u64_e32 vcc_lo, v[20:21], v[16:17]
	s_or_not1_b32 s17, vcc_lo, exec_lo
	s_branch .LBB140_38
.LBB140_45:                             ;   in Loop: Header=BB140_36 Depth=1
	s_or_b32 exec_lo, exec_lo, s13
	s_and_saveexec_b32 s13, s14
	s_delay_alu instid0(SALU_CYCLE_1)
	s_xor_b32 s13, exec_lo, s13
	s_cbranch_execz .LBB140_34
; %bb.46:                               ;   in Loop: Header=BB140_36 Depth=1
	v_mov_b32_e32 v14, v18
	s_branch .LBB140_34
.LBB140_47:
	s_or_b32 exec_lo, exec_lo, s4
.LBB140_48:
	s_wait_loadcnt 0x0
	v_lshl_add_u64 v[0:1], v[8:9], 3, s[10:11]
	s_wait_dscnt 0x0
	s_mov_b32 s23, 0
	v_mov_b32_e32 v3, 0
	global_load_b64 v[0:1], v[0:1], off
	s_wait_loadcnt 0x0
	v_sub_nc_u64_e64 v[0:1], v[0:1], s[22:23]
	s_delay_alu instid0(VALU_DEP_1)
	v_lshl_add_u64 v[0:1], v[0:1], 4, s[2:3]
	s_branch .LBB140_50
.LBB140_49:                             ;   in Loop: Header=BB140_50 Depth=1
	s_wait_xcnt 0x0
	s_or_b32 exec_lo, exec_lo, s0
	v_add_co_u32 v36, s0, v36, 8
	s_xor_b32 s0, s0, -1
	v_add_nc_u32_e32 v38, 0x80, v38
	v_add_nc_u32_e32 v37, 64, v37
	s_and_b32 s0, exec_lo, s0
	s_delay_alu instid0(SALU_CYCLE_1) | instskip(NEXT) | instid1(SALU_CYCLE_1)
	s_or_b32 s23, s0, s23
	s_and_not1_b32 exec_lo, exec_lo, s23
	s_cbranch_execz .LBB140_52
.LBB140_50:                             ; =>This Inner Loop Header: Depth=1
	ds_load_b64 v[4:5], v37
	s_mov_b32 s0, exec_lo
	s_wait_dscnt 0x0
	v_cmpx_gt_i64_e64 s[26:27], v[4:5]
	s_cbranch_execz .LBB140_49
; %bb.51:                               ;   in Loop: Header=BB140_50 Depth=1
	ds_load_b128 v[6:9], v39
	ds_load_b128 v[10:13], v39 offset:16
	ds_load_b128 v[14:17], v39 offset:32
	s_wait_dscnt 0x2
	v_cmp_gt_i64_e32 vcc_lo, v[4:5], v[6:7]
	v_cndmask_b32_e64 v2, 0, 1, vcc_lo
	v_cmp_gt_i64_e32 vcc_lo, v[4:5], v[8:9]
	s_delay_alu instid0(VALU_DEP_2) | instskip(SKIP_3) | instid1(VALU_DEP_3)
	v_lshlrev_b32_e32 v2, 4, v2
	v_cndmask_b32_e64 v8, 0, 1, vcc_lo
	s_wait_dscnt 0x1
	v_cmp_gt_i64_e32 vcc_lo, v[4:5], v[10:11]
	v_add_nc_u64_e32 v[6:7], v[0:1], v[2:3]
	s_delay_alu instid0(VALU_DEP_3) | instskip(SKIP_2) | instid1(VALU_DEP_3)
	v_lshlrev_b32_e32 v2, 4, v8
	v_cndmask_b32_e64 v18, 0, 1, vcc_lo
	v_cmp_gt_i64_e32 vcc_lo, v[4:5], v[12:13]
	v_add_nc_u64_e32 v[10:11], v[6:7], v[2:3]
	ds_load_b128 v[6:9], v39 offset:48
	v_lshlrev_b32_e32 v2, 4, v18
	v_cndmask_b32_e64 v12, 0, 1, vcc_lo
	s_wait_dscnt 0x1
	v_cmp_gt_i64_e32 vcc_lo, v[4:5], v[14:15]
	s_delay_alu instid0(VALU_DEP_3) | instskip(NEXT) | instid1(VALU_DEP_3)
	v_add_nc_u64_e32 v[10:11], v[10:11], v[2:3]
	v_lshlrev_b32_e32 v2, 4, v12
	v_cndmask_b32_e64 v18, 0, 1, vcc_lo
	v_cmp_gt_i64_e32 vcc_lo, v[4:5], v[16:17]
	s_delay_alu instid0(VALU_DEP_3)
	v_add_nc_u64_e32 v[14:15], v[10:11], v[2:3]
	ds_load_b128 v[10:13], v39 offset:64
	v_lshlrev_b32_e32 v2, 4, v18
	v_cndmask_b32_e64 v16, 0, 1, vcc_lo
	s_wait_dscnt 0x1
	v_cmp_gt_i64_e32 vcc_lo, v[4:5], v[6:7]
	s_delay_alu instid0(VALU_DEP_3) | instskip(NEXT) | instid1(VALU_DEP_3)
	v_add_nc_u64_e32 v[14:15], v[14:15], v[2:3]
	v_lshlrev_b32_e32 v2, 4, v16
	v_cndmask_b32_e64 v18, 0, 1, vcc_lo
	v_cmp_gt_i64_e32 vcc_lo, v[4:5], v[8:9]
	s_delay_alu instid0(VALU_DEP_3)
	;; [unrolled: 12-line block ×4, first 2 shown]
	v_add_nc_u64_e32 v[14:15], v[10:11], v[2:3]
	ds_load_b128 v[10:13], v39 offset:112
	v_lshlrev_b32_e32 v2, 4, v18
	v_cndmask_b32_e64 v16, 0, 1, vcc_lo
	s_wait_dscnt 0x1
	v_cmp_gt_i64_e32 vcc_lo, v[4:5], v[6:7]
	s_delay_alu instid0(VALU_DEP_3) | instskip(NEXT) | instid1(VALU_DEP_3)
	v_add_nc_u64_e32 v[14:15], v[14:15], v[2:3]
	v_lshlrev_b32_e32 v2, 4, v16
	v_cndmask_b32_e64 v16, 0, 1, vcc_lo
	v_cmp_gt_i64_e32 vcc_lo, v[4:5], v[8:9]
	s_delay_alu instid0(VALU_DEP_3) | instskip(NEXT) | instid1(VALU_DEP_3)
	v_add_nc_u64_e32 v[6:7], v[14:15], v[2:3]
	v_lshlrev_b32_e32 v2, 4, v16
	v_cndmask_b32_e64 v8, 0, 1, vcc_lo
	s_wait_dscnt 0x0
	v_cmp_gt_i64_e32 vcc_lo, v[4:5], v[10:11]
	s_delay_alu instid0(VALU_DEP_3) | instskip(NEXT) | instid1(VALU_DEP_3)
	v_add_nc_u64_e32 v[6:7], v[6:7], v[2:3]
	v_lshlrev_b32_e32 v2, 4, v8
	v_cndmask_b32_e64 v14, 0, 1, vcc_lo
	v_cmp_gt_i64_e32 vcc_lo, v[4:5], v[12:13]
	s_delay_alu instid0(VALU_DEP_3) | instskip(SKIP_3) | instid1(VALU_DEP_2)
	v_add_nc_u64_e32 v[10:11], v[6:7], v[2:3]
	ds_load_2addr_b64 v[6:9], v38 offset1:1
	v_lshlrev_b32_e32 v2, 4, v14
	v_cndmask_b32_e64 v12, 0, 1, vcc_lo
	v_add_nc_u64_e32 v[4:5], v[10:11], v[2:3]
	s_delay_alu instid0(VALU_DEP_2) | instskip(NEXT) | instid1(VALU_DEP_1)
	v_lshlrev_b32_e32 v2, 4, v12
	v_add_nc_u64_e32 v[4:5], v[4:5], v[2:3]
	s_wait_dscnt 0x0
	global_store_b128 v[4:5], v[6:9], off
	s_branch .LBB140_49
.LBB140_52:
	s_endpgm
	.section	.rodata,"a",@progbits
	.p2align	6, 0x0
	.amdhsa_kernel _ZN9rocsparseL38csrgemm_numeric_fill_wf_per_row_kernelILj256ELj8ELj16ELj137Ell21rocsparse_complex_numIdEEEvT4_S3_PKS3_S5_NS_24const_host_device_scalarIT5_EEPKT3_S5_PKS7_SB_S5_SD_S8_SB_S5_SD_SB_S5_PS7_21rocsparse_index_base_SF_SF_SF_bbb
		.amdhsa_group_segment_fixed_size 12288
		.amdhsa_private_segment_fixed_size 24
		.amdhsa_kernarg_size 180
		.amdhsa_user_sgpr_count 2
		.amdhsa_user_sgpr_dispatch_ptr 0
		.amdhsa_user_sgpr_queue_ptr 0
		.amdhsa_user_sgpr_kernarg_segment_ptr 1
		.amdhsa_user_sgpr_dispatch_id 0
		.amdhsa_user_sgpr_kernarg_preload_length 0
		.amdhsa_user_sgpr_kernarg_preload_offset 0
		.amdhsa_user_sgpr_private_segment_size 0
		.amdhsa_wavefront_size32 1
		.amdhsa_uses_dynamic_stack 0
		.amdhsa_enable_private_segment 1
		.amdhsa_system_sgpr_workgroup_id_x 1
		.amdhsa_system_sgpr_workgroup_id_y 0
		.amdhsa_system_sgpr_workgroup_id_z 0
		.amdhsa_system_sgpr_workgroup_info 0
		.amdhsa_system_vgpr_workitem_id 0
		.amdhsa_next_free_vgpr 41
		.amdhsa_next_free_sgpr 41
		.amdhsa_named_barrier_count 0
		.amdhsa_reserve_vcc 1
		.amdhsa_float_round_mode_32 0
		.amdhsa_float_round_mode_16_64 0
		.amdhsa_float_denorm_mode_32 3
		.amdhsa_float_denorm_mode_16_64 3
		.amdhsa_fp16_overflow 0
		.amdhsa_memory_ordered 1
		.amdhsa_forward_progress 1
		.amdhsa_inst_pref_size 21
		.amdhsa_round_robin_scheduling 0
		.amdhsa_exception_fp_ieee_invalid_op 0
		.amdhsa_exception_fp_denorm_src 0
		.amdhsa_exception_fp_ieee_div_zero 0
		.amdhsa_exception_fp_ieee_overflow 0
		.amdhsa_exception_fp_ieee_underflow 0
		.amdhsa_exception_fp_ieee_inexact 0
		.amdhsa_exception_int_div_zero 0
	.end_amdhsa_kernel
	.section	.text._ZN9rocsparseL38csrgemm_numeric_fill_wf_per_row_kernelILj256ELj8ELj16ELj137Ell21rocsparse_complex_numIdEEEvT4_S3_PKS3_S5_NS_24const_host_device_scalarIT5_EEPKT3_S5_PKS7_SB_S5_SD_S8_SB_S5_SD_SB_S5_PS7_21rocsparse_index_base_SF_SF_SF_bbb,"axG",@progbits,_ZN9rocsparseL38csrgemm_numeric_fill_wf_per_row_kernelILj256ELj8ELj16ELj137Ell21rocsparse_complex_numIdEEEvT4_S3_PKS3_S5_NS_24const_host_device_scalarIT5_EEPKT3_S5_PKS7_SB_S5_SD_S8_SB_S5_SD_SB_S5_PS7_21rocsparse_index_base_SF_SF_SF_bbb,comdat
.Lfunc_end140:
	.size	_ZN9rocsparseL38csrgemm_numeric_fill_wf_per_row_kernelILj256ELj8ELj16ELj137Ell21rocsparse_complex_numIdEEEvT4_S3_PKS3_S5_NS_24const_host_device_scalarIT5_EEPKT3_S5_PKS7_SB_S5_SD_S8_SB_S5_SD_SB_S5_PS7_21rocsparse_index_base_SF_SF_SF_bbb, .Lfunc_end140-_ZN9rocsparseL38csrgemm_numeric_fill_wf_per_row_kernelILj256ELj8ELj16ELj137Ell21rocsparse_complex_numIdEEEvT4_S3_PKS3_S5_NS_24const_host_device_scalarIT5_EEPKT3_S5_PKS7_SB_S5_SD_S8_SB_S5_SD_SB_S5_PS7_21rocsparse_index_base_SF_SF_SF_bbb
                                        ; -- End function
	.set _ZN9rocsparseL38csrgemm_numeric_fill_wf_per_row_kernelILj256ELj8ELj16ELj137Ell21rocsparse_complex_numIdEEEvT4_S3_PKS3_S5_NS_24const_host_device_scalarIT5_EEPKT3_S5_PKS7_SB_S5_SD_S8_SB_S5_SD_SB_S5_PS7_21rocsparse_index_base_SF_SF_SF_bbb.num_vgpr, 41
	.set _ZN9rocsparseL38csrgemm_numeric_fill_wf_per_row_kernelILj256ELj8ELj16ELj137Ell21rocsparse_complex_numIdEEEvT4_S3_PKS3_S5_NS_24const_host_device_scalarIT5_EEPKT3_S5_PKS7_SB_S5_SD_S8_SB_S5_SD_SB_S5_PS7_21rocsparse_index_base_SF_SF_SF_bbb.num_agpr, 0
	.set _ZN9rocsparseL38csrgemm_numeric_fill_wf_per_row_kernelILj256ELj8ELj16ELj137Ell21rocsparse_complex_numIdEEEvT4_S3_PKS3_S5_NS_24const_host_device_scalarIT5_EEPKT3_S5_PKS7_SB_S5_SD_S8_SB_S5_SD_SB_S5_PS7_21rocsparse_index_base_SF_SF_SF_bbb.numbered_sgpr, 41
	.set _ZN9rocsparseL38csrgemm_numeric_fill_wf_per_row_kernelILj256ELj8ELj16ELj137Ell21rocsparse_complex_numIdEEEvT4_S3_PKS3_S5_NS_24const_host_device_scalarIT5_EEPKT3_S5_PKS7_SB_S5_SD_S8_SB_S5_SD_SB_S5_PS7_21rocsparse_index_base_SF_SF_SF_bbb.num_named_barrier, 0
	.set _ZN9rocsparseL38csrgemm_numeric_fill_wf_per_row_kernelILj256ELj8ELj16ELj137Ell21rocsparse_complex_numIdEEEvT4_S3_PKS3_S5_NS_24const_host_device_scalarIT5_EEPKT3_S5_PKS7_SB_S5_SD_S8_SB_S5_SD_SB_S5_PS7_21rocsparse_index_base_SF_SF_SF_bbb.private_seg_size, 24
	.set _ZN9rocsparseL38csrgemm_numeric_fill_wf_per_row_kernelILj256ELj8ELj16ELj137Ell21rocsparse_complex_numIdEEEvT4_S3_PKS3_S5_NS_24const_host_device_scalarIT5_EEPKT3_S5_PKS7_SB_S5_SD_S8_SB_S5_SD_SB_S5_PS7_21rocsparse_index_base_SF_SF_SF_bbb.uses_vcc, 1
	.set _ZN9rocsparseL38csrgemm_numeric_fill_wf_per_row_kernelILj256ELj8ELj16ELj137Ell21rocsparse_complex_numIdEEEvT4_S3_PKS3_S5_NS_24const_host_device_scalarIT5_EEPKT3_S5_PKS7_SB_S5_SD_S8_SB_S5_SD_SB_S5_PS7_21rocsparse_index_base_SF_SF_SF_bbb.uses_flat_scratch, 1
	.set _ZN9rocsparseL38csrgemm_numeric_fill_wf_per_row_kernelILj256ELj8ELj16ELj137Ell21rocsparse_complex_numIdEEEvT4_S3_PKS3_S5_NS_24const_host_device_scalarIT5_EEPKT3_S5_PKS7_SB_S5_SD_S8_SB_S5_SD_SB_S5_PS7_21rocsparse_index_base_SF_SF_SF_bbb.has_dyn_sized_stack, 0
	.set _ZN9rocsparseL38csrgemm_numeric_fill_wf_per_row_kernelILj256ELj8ELj16ELj137Ell21rocsparse_complex_numIdEEEvT4_S3_PKS3_S5_NS_24const_host_device_scalarIT5_EEPKT3_S5_PKS7_SB_S5_SD_S8_SB_S5_SD_SB_S5_PS7_21rocsparse_index_base_SF_SF_SF_bbb.has_recursion, 0
	.set _ZN9rocsparseL38csrgemm_numeric_fill_wf_per_row_kernelILj256ELj8ELj16ELj137Ell21rocsparse_complex_numIdEEEvT4_S3_PKS3_S5_NS_24const_host_device_scalarIT5_EEPKT3_S5_PKS7_SB_S5_SD_S8_SB_S5_SD_SB_S5_PS7_21rocsparse_index_base_SF_SF_SF_bbb.has_indirect_call, 0
	.section	.AMDGPU.csdata,"",@progbits
; Kernel info:
; codeLenInByte = 2612
; TotalNumSgprs: 43
; NumVgprs: 41
; ScratchSize: 24
; MemoryBound: 0
; FloatMode: 240
; IeeeMode: 1
; LDSByteSize: 12288 bytes/workgroup (compile time only)
; SGPRBlocks: 0
; VGPRBlocks: 2
; NumSGPRsForWavesPerEU: 43
; NumVGPRsForWavesPerEU: 41
; NamedBarCnt: 0
; Occupancy: 16
; WaveLimiterHint : 1
; COMPUTE_PGM_RSRC2:SCRATCH_EN: 1
; COMPUTE_PGM_RSRC2:USER_SGPR: 2
; COMPUTE_PGM_RSRC2:TRAP_HANDLER: 0
; COMPUTE_PGM_RSRC2:TGID_X_EN: 1
; COMPUTE_PGM_RSRC2:TGID_Y_EN: 0
; COMPUTE_PGM_RSRC2:TGID_Z_EN: 0
; COMPUTE_PGM_RSRC2:TIDIG_COMP_CNT: 0
	.section	.text._ZN9rocsparseL38csrgemm_numeric_fill_wf_per_row_kernelILj256ELj16ELj32ELj137Ell21rocsparse_complex_numIdEEEvT4_S3_PKS3_S5_NS_24const_host_device_scalarIT5_EEPKT3_S5_PKS7_SB_S5_SD_S8_SB_S5_SD_SB_S5_PS7_21rocsparse_index_base_SF_SF_SF_bbb,"axG",@progbits,_ZN9rocsparseL38csrgemm_numeric_fill_wf_per_row_kernelILj256ELj16ELj32ELj137Ell21rocsparse_complex_numIdEEEvT4_S3_PKS3_S5_NS_24const_host_device_scalarIT5_EEPKT3_S5_PKS7_SB_S5_SD_S8_SB_S5_SD_SB_S5_PS7_21rocsparse_index_base_SF_SF_SF_bbb,comdat
	.globl	_ZN9rocsparseL38csrgemm_numeric_fill_wf_per_row_kernelILj256ELj16ELj32ELj137Ell21rocsparse_complex_numIdEEEvT4_S3_PKS3_S5_NS_24const_host_device_scalarIT5_EEPKT3_S5_PKS7_SB_S5_SD_S8_SB_S5_SD_SB_S5_PS7_21rocsparse_index_base_SF_SF_SF_bbb ; -- Begin function _ZN9rocsparseL38csrgemm_numeric_fill_wf_per_row_kernelILj256ELj16ELj32ELj137Ell21rocsparse_complex_numIdEEEvT4_S3_PKS3_S5_NS_24const_host_device_scalarIT5_EEPKT3_S5_PKS7_SB_S5_SD_S8_SB_S5_SD_SB_S5_PS7_21rocsparse_index_base_SF_SF_SF_bbb
	.p2align	8
	.type	_ZN9rocsparseL38csrgemm_numeric_fill_wf_per_row_kernelILj256ELj16ELj32ELj137Ell21rocsparse_complex_numIdEEEvT4_S3_PKS3_S5_NS_24const_host_device_scalarIT5_EEPKT3_S5_PKS7_SB_S5_SD_S8_SB_S5_SD_SB_S5_PS7_21rocsparse_index_base_SF_SF_SF_bbb,@function
_ZN9rocsparseL38csrgemm_numeric_fill_wf_per_row_kernelILj256ELj16ELj32ELj137Ell21rocsparse_complex_numIdEEEvT4_S3_PKS3_S5_NS_24const_host_device_scalarIT5_EEPKT3_S5_PKS7_SB_S5_SD_S8_SB_S5_SD_SB_S5_PS7_21rocsparse_index_base_SF_SF_SF_bbb: ; @_ZN9rocsparseL38csrgemm_numeric_fill_wf_per_row_kernelILj256ELj16ELj32ELj137Ell21rocsparse_complex_numIdEEEvT4_S3_PKS3_S5_NS_24const_host_device_scalarIT5_EEPKT3_S5_PKS7_SB_S5_SD_S8_SB_S5_SD_SB_S5_PS7_21rocsparse_index_base_SF_SF_SF_bbb
; %bb.0:
	s_clause 0x3
	s_load_b32 s3, s[0:1], 0xb0
	s_load_b128 s[8:11], s[0:1], 0x20
	s_load_b128 s[4:7], s[0:1], 0x60
	;; [unrolled: 1-line block ×3, first 2 shown]
	v_mov_b64_e32 v[4:5], 0
	v_mov_b64_e32 v[10:11], 0
	;; [unrolled: 1-line block ×3, first 2 shown]
	v_mbcnt_lo_u32_b32 v1, -1, 0
	s_wait_kmcnt 0x0
	s_bitcmp1_b32 s3, 0
	v_mov_b64_e32 v[2:3], s[8:9]
	s_cselect_b32 s38, -1, 0
	s_bitcmp1_b32 s3, 16
	v_mov_b64_e32 v[6:7], s[4:5]
	s_cselect_b32 s2, -1, 0
	s_clause 0x1
	scratch_store_b64 off, v[2:3], off
	scratch_store_b64 off, v[6:7], off offset:8
	s_xor_b32 s12, s2, -1
	s_bitcmp0_b32 s3, 0
	v_cndmask_b32_e64 v8, 0, 1, s12
	s_delay_alu instid0(VALU_DEP_1)
	v_cmp_ne_u32_e32 vcc_lo, 1, v8
	s_cbranch_scc1 .LBB141_3
; %bb.1:
	s_wait_xcnt 0x1
	v_dual_mov_b32 v2, 0 :: v_dual_lshlrev_b32 v3, 20, v1
	v_mov_b64_e32 v[12:13], s[10:11]
	s_and_b32 vcc_lo, exec_lo, vcc_lo
	s_delay_alu instid0(VALU_DEP_2) | instskip(NEXT) | instid1(VALU_DEP_1)
	v_add_nc_u64_e32 v[2:3], src_flat_scratch_base_lo, v[2:3]
	v_cndmask_b32_e64 v3, s9, v3, s2
	s_delay_alu instid0(VALU_DEP_2)
	v_cndmask_b32_e64 v2, s8, v2, s2
	flat_load_b64 v[10:11], v[2:3]
	s_cbranch_vccnz .LBB141_3
; %bb.2:
	s_wait_xcnt 0x0
	v_mov_b32_e32 v2, 0
	flat_load_b64 v[12:13], v2, s[8:9] offset:8
.LBB141_3:
	s_load_b64 s[34:35], s[0:1], 0x10
	v_mov_b64_e32 v[6:7], 0
	s_bitcmp1_b32 s3, 8
	s_cselect_b32 s33, -1, 0
	s_bfe_u32 s3, s3, 0x10008
	s_delay_alu instid0(SALU_CYCLE_1)
	s_cmp_eq_u32 s3, 0
	s_cbranch_scc1 .LBB141_6
; %bb.4:
	v_dual_mov_b32 v2, 8 :: v_dual_lshlrev_b32 v3, 20, v1
	v_mov_b64_e32 v[4:5], s[6:7]
	s_and_not1_b32 vcc_lo, exec_lo, s12
	s_delay_alu instid0(VALU_DEP_2) | instskip(NEXT) | instid1(VALU_DEP_1)
	v_add_nc_u64_e32 v[2:3], src_flat_scratch_base_lo, v[2:3]
	v_cndmask_b32_e64 v3, s5, v3, s2
	s_delay_alu instid0(VALU_DEP_2)
	v_cndmask_b32_e64 v2, s4, v2, s2
	flat_load_b64 v[6:7], v[2:3]
	s_cbranch_vccnz .LBB141_6
; %bb.5:
	v_mov_b32_e32 v1, 0
	flat_load_b64 v[4:5], v1, s[4:5] offset:8
.LBB141_6:
	s_clause 0x5
	s_load_b64 s[36:37], s[0:1], 0x18
	s_load_b128 s[24:27], s[0:1], 0x0
	s_load_b64 s[2:3], s[0:1], 0x98
	s_load_b256 s[4:11], s[0:1], 0x70
	s_load_b128 s[28:31], s[0:1], 0x50
	s_load_b256 s[12:19], s[0:1], 0x30
	v_dual_lshrrev_b32 v15, 4, v0 :: v_dual_bitop2_b32 v14, 15, v0 bitop3:0x40
	s_wait_xcnt 0x0
	s_mov_b32 s0, 0
	s_delay_alu instid0(VALU_DEP_1) | instskip(NEXT) | instid1(VALU_DEP_2)
	v_dual_mov_b32 v0, 0 :: v_dual_lshlrev_b32 v1, 8, v15
	v_dual_lshlrev_b32 v2, 3, v14 :: v_dual_lshlrev_b32 v3, 4, v14
	v_or_b32_e32 v36, -16, v14
	s_delay_alu instid0(VALU_DEP_2) | instskip(NEXT) | instid1(VALU_DEP_3)
	v_or3_b32 v37, v1, v2, 0x2000
	v_lshl_or_b32 v38, v15, 9, v3
	v_dual_mov_b32 v1, v0 :: v_dual_mov_b32 v2, v0
	s_delay_alu instid0(VALU_DEP_3) | instskip(NEXT) | instid1(VALU_DEP_3)
	v_dual_mov_b32 v3, v0 :: v_dual_mov_b32 v16, v37
	v_mov_b32_e32 v17, v38
	s_wait_kmcnt 0x0
	v_mov_b64_e32 v[8:9], s[26:27]
	v_mov_b32_e32 v18, v36
.LBB141_7:                              ; =>This Inner Loop Header: Depth=1
	s_delay_alu instid0(VALU_DEP_1)
	v_add_co_u32 v18, s1, v18, 16
	s_xor_b32 s1, s1, -1
	ds_store_b64 v16, v[8:9]
	ds_store_b128 v17, v[0:3]
	v_add_nc_u32_e32 v17, 0x100, v17
	v_add_nc_u32_e32 v16, 0x80, v16
	s_and_b32 s1, exec_lo, s1
	s_delay_alu instid0(SALU_CYCLE_1) | instskip(NEXT) | instid1(SALU_CYCLE_1)
	s_or_b32 s0, s1, s0
	s_and_not1_b32 exec_lo, exec_lo, s0
	s_cbranch_execnz .LBB141_7
; %bb.8:
	s_or_b32 exec_lo, exec_lo, s0
	s_bfe_u32 s0, ttmp6, 0x4000c
	s_and_b32 s1, ttmp6, 15
	s_add_co_i32 s0, s0, 1
	s_getreg_b32 s39, hwreg(HW_REG_IB_STS2, 6, 4)
	s_mul_i32 s0, ttmp9, s0
	v_mov_b32_e32 v9, 0
	s_add_co_i32 s1, s1, s0
	s_cmp_eq_u32 s39, 0
	s_wait_storecnt 0x0
	s_wait_loadcnt_dscnt 0x0
	s_cselect_b32 s0, ttmp9, s1
	s_delay_alu instid0(SALU_CYCLE_1) | instskip(NEXT) | instid1(SALU_CYCLE_1)
	s_lshl_b32 s0, s0, 4
	v_and_or_b32 v8, 0xffffff0, s0, v15
	s_mov_b32 s0, exec_lo
	s_delay_alu instid0(VALU_DEP_1)
	v_cmpx_gt_i64_e64 s[24:25], v[8:9]
	s_cbranch_execz .LBB141_52
; %bb.9:
	s_cmp_eq_u64 s[36:37], 0
	s_cbranch_scc1 .LBB141_11
; %bb.10:
	s_load_b64 s[0:1], s[34:35], 0x0
	s_wait_kmcnt 0x0
	s_lshl_b64 s[0:1], s[0:1], 3
	s_delay_alu instid0(SALU_CYCLE_1)
	s_add_nc_u64 s[0:1], s[36:37], s[0:1]
	global_load_b64 v[8:9], v8, s[0:1] scale_offset
.LBB141_11:
	v_lshl_or_b32 v39, v15, 8, 0x2000
	v_lshlrev_b32_e32 v40, 9, v15
	s_and_not1_b32 vcc_lo, exec_lo, s38
	s_cbranch_vccnz .LBB141_31
; %bb.12:
	s_wait_loadcnt 0x0
	v_lshl_add_u64 v[0:1], v[8:9], 3, s[12:13]
	v_mov_b32_e32 v15, 0
	s_mov_b32 s1, 0
	s_mov_b32 s0, s20
	s_mov_b32 s20, exec_lo
	global_load_b128 v[0:3], v[0:1], off
	v_sub_nc_u64_e64 v[18:19], v[14:15], s[0:1]
	s_wait_loadcnt 0x0
	v_sub_nc_u64_e64 v[16:17], v[2:3], s[0:1]
	s_delay_alu instid0(VALU_DEP_2) | instskip(NEXT) | instid1(VALU_DEP_1)
	v_add_nc_u64_e32 v[18:19], v[0:1], v[18:19]
	v_cmpx_lt_i64_e64 v[18:19], v[16:17]
	s_cbranch_execz .LBB141_30
; %bb.13:
	s_mov_b32 s12, s21
	s_mov_b32 s13, s1
	;; [unrolled: 1-line block ×3, first 2 shown]
	s_branch .LBB141_15
.LBB141_14:                             ;   in Loop: Header=BB141_15 Depth=1
	s_or_b32 exec_lo, exec_lo, s24
	v_add_nc_u64_e32 v[18:19], 16, v[18:19]
	s_delay_alu instid0(VALU_DEP_1) | instskip(SKIP_1) | instid1(SALU_CYCLE_1)
	v_cmp_ge_i64_e32 vcc_lo, v[18:19], v[16:17]
	s_or_b32 s21, vcc_lo, s21
	s_and_not1_b32 exec_lo, exec_lo, s21
	s_cbranch_execz .LBB141_30
.LBB141_15:                             ; =>This Loop Header: Depth=1
                                        ;     Child Loop BB141_19 Depth 2
                                        ;       Child Loop BB141_22 Depth 3
	v_lshl_add_u64 v[0:1], v[18:19], 3, s[14:15]
	s_mov_b32 s24, exec_lo
	global_load_b64 v[0:1], v[0:1], off
	s_wait_loadcnt 0x0
	s_wait_xcnt 0x0
	v_sub_nc_u64_e64 v[0:1], v[0:1], s[0:1]
	s_delay_alu instid0(VALU_DEP_1)
	v_lshl_add_u64 v[0:1], v[0:1], 3, s[18:19]
	global_load_b128 v[0:3], v[0:1], off
	s_wait_loadcnt 0x0
	s_wait_xcnt 0x0
	v_cmpx_lt_i64_e64 v[0:1], v[2:3]
	s_cbranch_execz .LBB141_14
; %bb.16:                               ;   in Loop: Header=BB141_15 Depth=1
	v_lshl_add_u64 v[20:21], v[18:19], 4, s[16:17]
	s_mov_b32 s25, 0
	global_load_b128 v[24:27], v[20:21], off
	s_wait_loadcnt 0x0
	s_wait_xcnt 0x0
	v_mul_f64_e64 v[20:21], v[26:27], -v[12:13]
	v_mul_f64_e32 v[22:23], v[10:11], v[26:27]
	v_sub_nc_u64_e64 v[26:27], v[0:1], s[12:13]
	s_delay_alu instid0(VALU_DEP_3) | instskip(NEXT) | instid1(VALU_DEP_3)
	v_fmac_f64_e32 v[20:21], v[10:11], v[24:25]
	v_fmac_f64_e32 v[22:23], v[12:13], v[24:25]
	v_sub_nc_u64_e64 v[24:25], v[2:3], s[12:13]
	s_branch .LBB141_19
.LBB141_17:                             ;   in Loop: Header=BB141_19 Depth=2
	s_or_b32 exec_lo, exec_lo, s35
.LBB141_18:                             ;   in Loop: Header=BB141_19 Depth=2
	s_delay_alu instid0(SALU_CYCLE_1) | instskip(SKIP_4) | instid1(VALU_DEP_1)
	s_or_b32 exec_lo, exec_lo, s34
	s_wait_loadcnt 0x0
	v_mul_f64_e64 v[30:31], v[2:3], -v[22:23]
	v_mul_f64_e32 v[2:3], v[20:21], v[2:3]
	v_add_nc_u64_e32 v[26:27], 1, v[26:27]
	v_cmp_ge_i64_e32 vcc_lo, v[26:27], v[24:25]
	s_or_b32 s25, vcc_lo, s25
	s_delay_alu instid0(VALU_DEP_4) | instskip(NEXT) | instid1(VALU_DEP_4)
	v_fmac_f64_e32 v[30:31], v[20:21], v[0:1]
	v_fmac_f64_e32 v[2:3], v[22:23], v[0:1]
	v_lshl_add_u32 v0, v28, 4, v40
	ds_add_f64 v0, v[30:31]
	ds_add_f64 v0, v[2:3] offset:8
	s_and_not1_b32 exec_lo, exec_lo, s25
	s_cbranch_execz .LBB141_14
.LBB141_19:                             ;   Parent Loop BB141_15 Depth=1
                                        ; =>  This Loop Header: Depth=2
                                        ;       Child Loop BB141_22 Depth 3
	s_delay_alu instid0(VALU_DEP_4)
	v_lshl_add_u64 v[0:1], v[26:27], 3, s[28:29]
	s_mov_b32 s34, exec_lo
	global_load_b64 v[28:29], v[0:1], off
	s_wait_xcnt 0x0
	v_lshl_add_u64 v[0:1], v[26:27], 4, s[30:31]
	global_load_b128 v[0:3], v[0:1], off
	s_wait_loadcnt 0x1
	v_sub_nc_u64_e64 v[30:31], v[28:29], s[12:13]
	s_delay_alu instid0(VALU_DEP_1) | instskip(NEXT) | instid1(VALU_DEP_1)
	v_lshl_add_u32 v15, v30, 3, v30
	v_and_b32_e32 v28, 31, v15
	s_delay_alu instid0(VALU_DEP_1)
	v_lshl_add_u32 v15, v28, 3, v39
	ds_load_b64 v[34:35], v15
	s_wait_dscnt 0x0
	s_wait_xcnt 0x0
	v_cmpx_ne_u64_e64 v[34:35], v[30:31]
	s_cbranch_execz .LBB141_18
; %bb.20:                               ;   in Loop: Header=BB141_19 Depth=2
	s_mov_b32 s35, 0
                                        ; implicit-def: $sgpr36
                                        ; implicit-def: $sgpr37
	s_branch .LBB141_22
.LBB141_21:                             ;   in Loop: Header=BB141_22 Depth=3
	s_or_b32 exec_lo, exec_lo, s40
	s_delay_alu instid0(SALU_CYCLE_1) | instskip(NEXT) | instid1(SALU_CYCLE_1)
	s_and_b32 s38, exec_lo, s39
	s_or_b32 s35, s38, s35
	s_and_not1_b32 s36, s36, exec_lo
	s_and_b32 s38, s37, exec_lo
	s_delay_alu instid0(SALU_CYCLE_1)
	s_or_b32 s36, s36, s38
	s_and_not1_b32 exec_lo, exec_lo, s35
	s_cbranch_execz .LBB141_28
.LBB141_22:                             ;   Parent Loop BB141_15 Depth=1
                                        ;     Parent Loop BB141_19 Depth=2
                                        ; =>    This Inner Loop Header: Depth=3
	v_mov_b64_e32 v[32:33], v[28:29]
	s_mov_b32 s38, 0
	s_mov_b32 s39, exec_lo
                                        ; implicit-def: $vgpr28_vgpr29
	v_cmpx_ne_u64_e64 s[26:27], v[34:35]
	s_xor_b32 s39, exec_lo, s39
; %bb.23:                               ;   in Loop: Header=BB141_22 Depth=3
	s_delay_alu instid0(VALU_DEP_2) | instskip(SKIP_1) | instid1(VALU_DEP_1)
	v_add_nc_u32_e32 v15, 1, v32
	s_mov_b32 s38, exec_lo
	v_and_b32_e32 v28, 31, v15
                                        ; implicit-def: $vgpr15
; %bb.24:                               ;   in Loop: Header=BB141_22 Depth=3
	s_and_not1_saveexec_b32 s39, s39
	s_cbranch_execz .LBB141_26
; %bb.25:                               ;   in Loop: Header=BB141_22 Depth=3
	v_mov_b64_e32 v[28:29], s[26:27]
	s_and_not1_b32 s38, s38, exec_lo
	ds_cmpstore_rtn_b64 v[28:29], v15, v[30:31], v[28:29]
	s_wait_dscnt 0x0
	v_cmp_ne_u64_e32 vcc_lo, s[26:27], v[28:29]
	v_mov_b64_e32 v[28:29], v[32:33]
	s_and_b32 s40, vcc_lo, exec_lo
	s_delay_alu instid0(SALU_CYCLE_1)
	s_or_b32 s38, s38, s40
.LBB141_26:                             ;   in Loop: Header=BB141_22 Depth=3
	s_or_b32 exec_lo, exec_lo, s39
	s_mov_b32 s39, -1
	s_or_b32 s37, s37, exec_lo
                                        ; implicit-def: $vgpr15
                                        ; implicit-def: $vgpr34_vgpr35
	s_and_saveexec_b32 s40, s38
	s_cbranch_execz .LBB141_21
; %bb.27:                               ;   in Loop: Header=BB141_22 Depth=3
	v_lshl_add_u32 v15, v28, 3, v39
	s_and_not1_b32 s37, s37, exec_lo
	ds_load_b64 v[34:35], v15
	s_wait_dscnt 0x0
	v_cmp_eq_u64_e32 vcc_lo, v[34:35], v[30:31]
	s_or_not1_b32 s39, vcc_lo, exec_lo
	s_branch .LBB141_21
.LBB141_28:                             ;   in Loop: Header=BB141_19 Depth=2
	s_or_b32 exec_lo, exec_lo, s35
	s_and_saveexec_b32 s35, s36
	s_delay_alu instid0(SALU_CYCLE_1)
	s_xor_b32 s35, exec_lo, s35
	s_cbranch_execz .LBB141_17
; %bb.29:                               ;   in Loop: Header=BB141_19 Depth=2
	v_mov_b32_e32 v28, v32
	s_branch .LBB141_17
.LBB141_30:
	s_or_b32 exec_lo, exec_lo, s20
.LBB141_31:
	s_delay_alu instid0(SALU_CYCLE_1)
	s_and_not1_b32 vcc_lo, exec_lo, s33
	s_cbranch_vccnz .LBB141_48
; %bb.32:
	s_wait_loadcnt 0x0
	v_lshl_add_u64 v[0:1], v[8:9], 3, s[4:5]
	v_mov_b32_e32 v15, 0
	s_mov_b32 s1, 0
	s_mov_b32 s0, s23
	s_mov_b32 s4, exec_lo
	global_load_b128 v[0:3], v[0:1], off
	v_sub_nc_u64_e64 v[12:13], v[14:15], s[0:1]
	s_wait_loadcnt 0x0
	v_sub_nc_u64_e64 v[10:11], v[2:3], s[0:1]
	s_delay_alu instid0(VALU_DEP_2) | instskip(NEXT) | instid1(VALU_DEP_1)
	v_add_nc_u64_e32 v[12:13], v[0:1], v[12:13]
	v_cmpx_lt_i64_e64 v[12:13], v[10:11]
	s_cbranch_execz .LBB141_47
; %bb.33:
	s_mov_b32 s5, s1
	s_branch .LBB141_36
.LBB141_34:                             ;   in Loop: Header=BB141_36 Depth=1
	s_or_b32 exec_lo, exec_lo, s13
.LBB141_35:                             ;   in Loop: Header=BB141_36 Depth=1
	s_delay_alu instid0(SALU_CYCLE_1) | instskip(SKIP_4) | instid1(VALU_DEP_1)
	s_or_b32 exec_lo, exec_lo, s12
	s_wait_loadcnt 0x0
	v_mul_f64_e64 v[16:17], v[2:3], -v[4:5]
	v_mul_f64_e32 v[2:3], v[6:7], v[2:3]
	v_add_nc_u64_e32 v[12:13], 16, v[12:13]
	v_cmp_ge_i64_e32 vcc_lo, v[12:13], v[10:11]
	s_or_b32 s5, vcc_lo, s5
	s_delay_alu instid0(VALU_DEP_4) | instskip(NEXT) | instid1(VALU_DEP_4)
	v_fmac_f64_e32 v[16:17], v[6:7], v[0:1]
	v_fmac_f64_e32 v[2:3], v[4:5], v[0:1]
	v_lshl_add_u32 v0, v14, 4, v40
	ds_add_f64 v0, v[16:17]
	ds_add_f64 v0, v[2:3] offset:8
	s_and_not1_b32 exec_lo, exec_lo, s5
	s_cbranch_execz .LBB141_47
.LBB141_36:                             ; =>This Loop Header: Depth=1
                                        ;     Child Loop BB141_39 Depth 2
	v_lshl_add_u64 v[0:1], v[12:13], 3, s[6:7]
	s_mov_b32 s12, exec_lo
	global_load_b64 v[14:15], v[0:1], off
	s_wait_xcnt 0x0
	v_lshl_add_u64 v[0:1], v[12:13], 4, s[8:9]
	global_load_b128 v[0:3], v[0:1], off
	s_wait_loadcnt 0x1
	v_sub_nc_u64_e64 v[16:17], v[14:15], s[0:1]
	s_delay_alu instid0(VALU_DEP_1) | instskip(NEXT) | instid1(VALU_DEP_1)
	v_lshl_add_u32 v14, v16, 3, v16
	v_and_b32_e32 v14, 31, v14
	s_delay_alu instid0(VALU_DEP_1)
	v_lshl_add_u32 v22, v14, 3, v39
	ds_load_b64 v[20:21], v22
	s_wait_dscnt 0x0
	s_wait_xcnt 0x0
	v_cmpx_ne_u64_e64 v[20:21], v[16:17]
	s_cbranch_execz .LBB141_35
; %bb.37:                               ;   in Loop: Header=BB141_36 Depth=1
	s_mov_b32 s13, 0
                                        ; implicit-def: $sgpr14
                                        ; implicit-def: $sgpr15
	s_branch .LBB141_39
.LBB141_38:                             ;   in Loop: Header=BB141_39 Depth=2
	s_or_b32 exec_lo, exec_lo, s18
	s_delay_alu instid0(SALU_CYCLE_1) | instskip(NEXT) | instid1(SALU_CYCLE_1)
	s_and_b32 s16, exec_lo, s17
	s_or_b32 s13, s16, s13
	s_and_not1_b32 s14, s14, exec_lo
	s_and_b32 s16, s15, exec_lo
	s_delay_alu instid0(SALU_CYCLE_1)
	s_or_b32 s14, s14, s16
	s_and_not1_b32 exec_lo, exec_lo, s13
	s_cbranch_execz .LBB141_45
.LBB141_39:                             ;   Parent Loop BB141_36 Depth=1
                                        ; =>  This Inner Loop Header: Depth=2
	v_mov_b64_e32 v[18:19], v[14:15]
	s_mov_b32 s16, 0
	s_mov_b32 s17, exec_lo
                                        ; implicit-def: $vgpr14_vgpr15
	v_cmpx_ne_u64_e64 s[26:27], v[20:21]
	s_xor_b32 s17, exec_lo, s17
; %bb.40:                               ;   in Loop: Header=BB141_39 Depth=2
	s_delay_alu instid0(VALU_DEP_2) | instskip(SKIP_1) | instid1(VALU_DEP_1)
	v_add_nc_u32_e32 v14, 1, v18
	s_mov_b32 s16, exec_lo
                                        ; implicit-def: $vgpr22
	v_and_b32_e32 v14, 31, v14
; %bb.41:                               ;   in Loop: Header=BB141_39 Depth=2
	s_and_not1_saveexec_b32 s17, s17
	s_cbranch_execz .LBB141_43
; %bb.42:                               ;   in Loop: Header=BB141_39 Depth=2
	v_mov_b64_e32 v[14:15], s[26:27]
	s_and_not1_b32 s16, s16, exec_lo
	ds_cmpstore_rtn_b64 v[14:15], v22, v[16:17], v[14:15]
	s_wait_dscnt 0x0
	v_cmp_ne_u64_e32 vcc_lo, s[26:27], v[14:15]
	v_mov_b64_e32 v[14:15], v[18:19]
	s_and_b32 s18, vcc_lo, exec_lo
	s_delay_alu instid0(SALU_CYCLE_1)
	s_or_b32 s16, s16, s18
.LBB141_43:                             ;   in Loop: Header=BB141_39 Depth=2
	s_or_b32 exec_lo, exec_lo, s17
	s_mov_b32 s17, -1
	s_or_b32 s15, s15, exec_lo
                                        ; implicit-def: $vgpr22
                                        ; implicit-def: $vgpr20_vgpr21
	s_and_saveexec_b32 s18, s16
	s_cbranch_execz .LBB141_38
; %bb.44:                               ;   in Loop: Header=BB141_39 Depth=2
	v_lshl_add_u32 v22, v14, 3, v39
	s_and_not1_b32 s15, s15, exec_lo
	ds_load_b64 v[20:21], v22
	s_wait_dscnt 0x0
	v_cmp_eq_u64_e32 vcc_lo, v[20:21], v[16:17]
	s_or_not1_b32 s17, vcc_lo, exec_lo
	s_branch .LBB141_38
.LBB141_45:                             ;   in Loop: Header=BB141_36 Depth=1
	s_or_b32 exec_lo, exec_lo, s13
	s_and_saveexec_b32 s13, s14
	s_delay_alu instid0(SALU_CYCLE_1)
	s_xor_b32 s13, exec_lo, s13
	s_cbranch_execz .LBB141_34
; %bb.46:                               ;   in Loop: Header=BB141_36 Depth=1
	v_mov_b32_e32 v14, v18
	s_branch .LBB141_34
.LBB141_47:
	s_or_b32 exec_lo, exec_lo, s4
.LBB141_48:
	s_wait_loadcnt 0x0
	v_lshl_add_u64 v[0:1], v[8:9], 3, s[10:11]
	s_wait_dscnt 0x0
	s_mov_b32 s23, 0
	v_mov_b32_e32 v3, 0
	global_load_b64 v[0:1], v[0:1], off
	s_wait_loadcnt 0x0
	v_sub_nc_u64_e64 v[0:1], v[0:1], s[22:23]
	s_delay_alu instid0(VALU_DEP_1)
	v_lshl_add_u64 v[0:1], v[0:1], 4, s[2:3]
	s_branch .LBB141_50
.LBB141_49:                             ;   in Loop: Header=BB141_50 Depth=1
	s_wait_xcnt 0x0
	s_or_b32 exec_lo, exec_lo, s0
	v_add_co_u32 v36, s0, v36, 16
	s_xor_b32 s0, s0, -1
	v_add_nc_u32_e32 v38, 0x100, v38
	v_add_nc_u32_e32 v37, 0x80, v37
	s_and_b32 s0, exec_lo, s0
	s_delay_alu instid0(SALU_CYCLE_1) | instskip(NEXT) | instid1(SALU_CYCLE_1)
	s_or_b32 s23, s0, s23
	s_and_not1_b32 exec_lo, exec_lo, s23
	s_cbranch_execz .LBB141_52
.LBB141_50:                             ; =>This Inner Loop Header: Depth=1
	ds_load_b64 v[4:5], v37
	s_mov_b32 s0, exec_lo
	s_wait_dscnt 0x0
	v_cmpx_gt_i64_e64 s[26:27], v[4:5]
	s_cbranch_execz .LBB141_49
; %bb.51:                               ;   in Loop: Header=BB141_50 Depth=1
	ds_load_b128 v[6:9], v39
	ds_load_b128 v[10:13], v39 offset:16
	ds_load_b128 v[14:17], v39 offset:32
	s_wait_dscnt 0x2
	v_cmp_gt_i64_e32 vcc_lo, v[4:5], v[6:7]
	v_cndmask_b32_e64 v2, 0, 1, vcc_lo
	v_cmp_gt_i64_e32 vcc_lo, v[4:5], v[8:9]
	s_delay_alu instid0(VALU_DEP_2) | instskip(SKIP_3) | instid1(VALU_DEP_3)
	v_lshlrev_b32_e32 v2, 4, v2
	v_cndmask_b32_e64 v8, 0, 1, vcc_lo
	s_wait_dscnt 0x1
	v_cmp_gt_i64_e32 vcc_lo, v[4:5], v[10:11]
	v_add_nc_u64_e32 v[6:7], v[0:1], v[2:3]
	s_delay_alu instid0(VALU_DEP_3) | instskip(SKIP_2) | instid1(VALU_DEP_3)
	v_lshlrev_b32_e32 v2, 4, v8
	v_cndmask_b32_e64 v18, 0, 1, vcc_lo
	v_cmp_gt_i64_e32 vcc_lo, v[4:5], v[12:13]
	v_add_nc_u64_e32 v[10:11], v[6:7], v[2:3]
	ds_load_b128 v[6:9], v39 offset:48
	v_lshlrev_b32_e32 v2, 4, v18
	v_cndmask_b32_e64 v12, 0, 1, vcc_lo
	s_wait_dscnt 0x1
	v_cmp_gt_i64_e32 vcc_lo, v[4:5], v[14:15]
	s_delay_alu instid0(VALU_DEP_3) | instskip(NEXT) | instid1(VALU_DEP_3)
	v_add_nc_u64_e32 v[10:11], v[10:11], v[2:3]
	v_lshlrev_b32_e32 v2, 4, v12
	v_cndmask_b32_e64 v18, 0, 1, vcc_lo
	v_cmp_gt_i64_e32 vcc_lo, v[4:5], v[16:17]
	s_delay_alu instid0(VALU_DEP_3)
	v_add_nc_u64_e32 v[14:15], v[10:11], v[2:3]
	ds_load_b128 v[10:13], v39 offset:64
	v_lshlrev_b32_e32 v2, 4, v18
	v_cndmask_b32_e64 v16, 0, 1, vcc_lo
	s_wait_dscnt 0x1
	v_cmp_gt_i64_e32 vcc_lo, v[4:5], v[6:7]
	s_delay_alu instid0(VALU_DEP_3) | instskip(NEXT) | instid1(VALU_DEP_3)
	v_add_nc_u64_e32 v[14:15], v[14:15], v[2:3]
	v_lshlrev_b32_e32 v2, 4, v16
	v_cndmask_b32_e64 v18, 0, 1, vcc_lo
	v_cmp_gt_i64_e32 vcc_lo, v[4:5], v[8:9]
	s_delay_alu instid0(VALU_DEP_3)
	;; [unrolled: 12-line block ×12, first 2 shown]
	v_add_nc_u64_e32 v[10:11], v[6:7], v[2:3]
	ds_load_b128 v[6:9], v39 offset:240
	v_lshlrev_b32_e32 v2, 4, v18
	v_cndmask_b32_e64 v12, 0, 1, vcc_lo
	s_wait_dscnt 0x1
	v_cmp_gt_i64_e32 vcc_lo, v[4:5], v[14:15]
	s_delay_alu instid0(VALU_DEP_3) | instskip(NEXT) | instid1(VALU_DEP_3)
	v_add_nc_u64_e32 v[10:11], v[10:11], v[2:3]
	v_lshlrev_b32_e32 v2, 4, v12
	v_cndmask_b32_e64 v12, 0, 1, vcc_lo
	v_cmp_gt_i64_e32 vcc_lo, v[4:5], v[16:17]
	s_delay_alu instid0(VALU_DEP_3) | instskip(NEXT) | instid1(VALU_DEP_3)
	v_add_nc_u64_e32 v[10:11], v[10:11], v[2:3]
	v_lshlrev_b32_e32 v2, 4, v12
	v_cndmask_b32_e64 v12, 0, 1, vcc_lo
	s_wait_dscnt 0x0
	v_cmp_gt_i64_e32 vcc_lo, v[4:5], v[6:7]
	s_delay_alu instid0(VALU_DEP_3) | instskip(NEXT) | instid1(VALU_DEP_3)
	v_add_nc_u64_e32 v[10:11], v[10:11], v[2:3]
	v_lshlrev_b32_e32 v2, 4, v12
	v_cndmask_b32_e64 v14, 0, 1, vcc_lo
	v_cmp_gt_i64_e32 vcc_lo, v[4:5], v[8:9]
	s_delay_alu instid0(VALU_DEP_3) | instskip(SKIP_3) | instid1(VALU_DEP_2)
	v_add_nc_u64_e32 v[6:7], v[10:11], v[2:3]
	ds_load_2addr_b64 v[10:13], v38 offset1:1
	v_lshlrev_b32_e32 v2, 4, v14
	v_cndmask_b32_e64 v8, 0, 1, vcc_lo
	v_add_nc_u64_e32 v[4:5], v[6:7], v[2:3]
	s_delay_alu instid0(VALU_DEP_2) | instskip(NEXT) | instid1(VALU_DEP_1)
	v_lshlrev_b32_e32 v2, 4, v8
	v_add_nc_u64_e32 v[4:5], v[4:5], v[2:3]
	s_wait_dscnt 0x0
	global_store_b128 v[4:5], v[10:13], off
	s_branch .LBB141_49
.LBB141_52:
	s_endpgm
	.section	.rodata,"a",@progbits
	.p2align	6, 0x0
	.amdhsa_kernel _ZN9rocsparseL38csrgemm_numeric_fill_wf_per_row_kernelILj256ELj16ELj32ELj137Ell21rocsparse_complex_numIdEEEvT4_S3_PKS3_S5_NS_24const_host_device_scalarIT5_EEPKT3_S5_PKS7_SB_S5_SD_S8_SB_S5_SD_SB_S5_PS7_21rocsparse_index_base_SF_SF_SF_bbb
		.amdhsa_group_segment_fixed_size 12288
		.amdhsa_private_segment_fixed_size 24
		.amdhsa_kernarg_size 180
		.amdhsa_user_sgpr_count 2
		.amdhsa_user_sgpr_dispatch_ptr 0
		.amdhsa_user_sgpr_queue_ptr 0
		.amdhsa_user_sgpr_kernarg_segment_ptr 1
		.amdhsa_user_sgpr_dispatch_id 0
		.amdhsa_user_sgpr_kernarg_preload_length 0
		.amdhsa_user_sgpr_kernarg_preload_offset 0
		.amdhsa_user_sgpr_private_segment_size 0
		.amdhsa_wavefront_size32 1
		.amdhsa_uses_dynamic_stack 0
		.amdhsa_enable_private_segment 1
		.amdhsa_system_sgpr_workgroup_id_x 1
		.amdhsa_system_sgpr_workgroup_id_y 0
		.amdhsa_system_sgpr_workgroup_id_z 0
		.amdhsa_system_sgpr_workgroup_info 0
		.amdhsa_system_vgpr_workitem_id 0
		.amdhsa_next_free_vgpr 41
		.amdhsa_next_free_sgpr 41
		.amdhsa_named_barrier_count 0
		.amdhsa_reserve_vcc 1
		.amdhsa_float_round_mode_32 0
		.amdhsa_float_round_mode_16_64 0
		.amdhsa_float_denorm_mode_32 3
		.amdhsa_float_denorm_mode_16_64 3
		.amdhsa_fp16_overflow 0
		.amdhsa_memory_ordered 1
		.amdhsa_forward_progress 1
		.amdhsa_inst_pref_size 25
		.amdhsa_round_robin_scheduling 0
		.amdhsa_exception_fp_ieee_invalid_op 0
		.amdhsa_exception_fp_denorm_src 0
		.amdhsa_exception_fp_ieee_div_zero 0
		.amdhsa_exception_fp_ieee_overflow 0
		.amdhsa_exception_fp_ieee_underflow 0
		.amdhsa_exception_fp_ieee_inexact 0
		.amdhsa_exception_int_div_zero 0
	.end_amdhsa_kernel
	.section	.text._ZN9rocsparseL38csrgemm_numeric_fill_wf_per_row_kernelILj256ELj16ELj32ELj137Ell21rocsparse_complex_numIdEEEvT4_S3_PKS3_S5_NS_24const_host_device_scalarIT5_EEPKT3_S5_PKS7_SB_S5_SD_S8_SB_S5_SD_SB_S5_PS7_21rocsparse_index_base_SF_SF_SF_bbb,"axG",@progbits,_ZN9rocsparseL38csrgemm_numeric_fill_wf_per_row_kernelILj256ELj16ELj32ELj137Ell21rocsparse_complex_numIdEEEvT4_S3_PKS3_S5_NS_24const_host_device_scalarIT5_EEPKT3_S5_PKS7_SB_S5_SD_S8_SB_S5_SD_SB_S5_PS7_21rocsparse_index_base_SF_SF_SF_bbb,comdat
.Lfunc_end141:
	.size	_ZN9rocsparseL38csrgemm_numeric_fill_wf_per_row_kernelILj256ELj16ELj32ELj137Ell21rocsparse_complex_numIdEEEvT4_S3_PKS3_S5_NS_24const_host_device_scalarIT5_EEPKT3_S5_PKS7_SB_S5_SD_S8_SB_S5_SD_SB_S5_PS7_21rocsparse_index_base_SF_SF_SF_bbb, .Lfunc_end141-_ZN9rocsparseL38csrgemm_numeric_fill_wf_per_row_kernelILj256ELj16ELj32ELj137Ell21rocsparse_complex_numIdEEEvT4_S3_PKS3_S5_NS_24const_host_device_scalarIT5_EEPKT3_S5_PKS7_SB_S5_SD_S8_SB_S5_SD_SB_S5_PS7_21rocsparse_index_base_SF_SF_SF_bbb
                                        ; -- End function
	.set _ZN9rocsparseL38csrgemm_numeric_fill_wf_per_row_kernelILj256ELj16ELj32ELj137Ell21rocsparse_complex_numIdEEEvT4_S3_PKS3_S5_NS_24const_host_device_scalarIT5_EEPKT3_S5_PKS7_SB_S5_SD_S8_SB_S5_SD_SB_S5_PS7_21rocsparse_index_base_SF_SF_SF_bbb.num_vgpr, 41
	.set _ZN9rocsparseL38csrgemm_numeric_fill_wf_per_row_kernelILj256ELj16ELj32ELj137Ell21rocsparse_complex_numIdEEEvT4_S3_PKS3_S5_NS_24const_host_device_scalarIT5_EEPKT3_S5_PKS7_SB_S5_SD_S8_SB_S5_SD_SB_S5_PS7_21rocsparse_index_base_SF_SF_SF_bbb.num_agpr, 0
	.set _ZN9rocsparseL38csrgemm_numeric_fill_wf_per_row_kernelILj256ELj16ELj32ELj137Ell21rocsparse_complex_numIdEEEvT4_S3_PKS3_S5_NS_24const_host_device_scalarIT5_EEPKT3_S5_PKS7_SB_S5_SD_S8_SB_S5_SD_SB_S5_PS7_21rocsparse_index_base_SF_SF_SF_bbb.numbered_sgpr, 41
	.set _ZN9rocsparseL38csrgemm_numeric_fill_wf_per_row_kernelILj256ELj16ELj32ELj137Ell21rocsparse_complex_numIdEEEvT4_S3_PKS3_S5_NS_24const_host_device_scalarIT5_EEPKT3_S5_PKS7_SB_S5_SD_S8_SB_S5_SD_SB_S5_PS7_21rocsparse_index_base_SF_SF_SF_bbb.num_named_barrier, 0
	.set _ZN9rocsparseL38csrgemm_numeric_fill_wf_per_row_kernelILj256ELj16ELj32ELj137Ell21rocsparse_complex_numIdEEEvT4_S3_PKS3_S5_NS_24const_host_device_scalarIT5_EEPKT3_S5_PKS7_SB_S5_SD_S8_SB_S5_SD_SB_S5_PS7_21rocsparse_index_base_SF_SF_SF_bbb.private_seg_size, 24
	.set _ZN9rocsparseL38csrgemm_numeric_fill_wf_per_row_kernelILj256ELj16ELj32ELj137Ell21rocsparse_complex_numIdEEEvT4_S3_PKS3_S5_NS_24const_host_device_scalarIT5_EEPKT3_S5_PKS7_SB_S5_SD_S8_SB_S5_SD_SB_S5_PS7_21rocsparse_index_base_SF_SF_SF_bbb.uses_vcc, 1
	.set _ZN9rocsparseL38csrgemm_numeric_fill_wf_per_row_kernelILj256ELj16ELj32ELj137Ell21rocsparse_complex_numIdEEEvT4_S3_PKS3_S5_NS_24const_host_device_scalarIT5_EEPKT3_S5_PKS7_SB_S5_SD_S8_SB_S5_SD_SB_S5_PS7_21rocsparse_index_base_SF_SF_SF_bbb.uses_flat_scratch, 1
	.set _ZN9rocsparseL38csrgemm_numeric_fill_wf_per_row_kernelILj256ELj16ELj32ELj137Ell21rocsparse_complex_numIdEEEvT4_S3_PKS3_S5_NS_24const_host_device_scalarIT5_EEPKT3_S5_PKS7_SB_S5_SD_S8_SB_S5_SD_SB_S5_PS7_21rocsparse_index_base_SF_SF_SF_bbb.has_dyn_sized_stack, 0
	.set _ZN9rocsparseL38csrgemm_numeric_fill_wf_per_row_kernelILj256ELj16ELj32ELj137Ell21rocsparse_complex_numIdEEEvT4_S3_PKS3_S5_NS_24const_host_device_scalarIT5_EEPKT3_S5_PKS7_SB_S5_SD_S8_SB_S5_SD_SB_S5_PS7_21rocsparse_index_base_SF_SF_SF_bbb.has_recursion, 0
	.set _ZN9rocsparseL38csrgemm_numeric_fill_wf_per_row_kernelILj256ELj16ELj32ELj137Ell21rocsparse_complex_numIdEEEvT4_S3_PKS3_S5_NS_24const_host_device_scalarIT5_EEPKT3_S5_PKS7_SB_S5_SD_S8_SB_S5_SD_SB_S5_PS7_21rocsparse_index_base_SF_SF_SF_bbb.has_indirect_call, 0
	.section	.AMDGPU.csdata,"",@progbits
; Kernel info:
; codeLenInByte = 3100
; TotalNumSgprs: 43
; NumVgprs: 41
; ScratchSize: 24
; MemoryBound: 0
; FloatMode: 240
; IeeeMode: 1
; LDSByteSize: 12288 bytes/workgroup (compile time only)
; SGPRBlocks: 0
; VGPRBlocks: 2
; NumSGPRsForWavesPerEU: 43
; NumVGPRsForWavesPerEU: 41
; NamedBarCnt: 0
; Occupancy: 16
; WaveLimiterHint : 1
; COMPUTE_PGM_RSRC2:SCRATCH_EN: 1
; COMPUTE_PGM_RSRC2:USER_SGPR: 2
; COMPUTE_PGM_RSRC2:TRAP_HANDLER: 0
; COMPUTE_PGM_RSRC2:TGID_X_EN: 1
; COMPUTE_PGM_RSRC2:TGID_Y_EN: 0
; COMPUTE_PGM_RSRC2:TGID_Z_EN: 0
; COMPUTE_PGM_RSRC2:TIDIG_COMP_CNT: 0
	.section	.text._ZN9rocsparseL41csrgemm_numeric_fill_block_per_row_kernelILj128ELj16ELj256ELj137ELj32Ell21rocsparse_complex_numIdEEEvT5_PKS3_S5_NS_24const_host_device_scalarIT6_EEPKT4_S5_PKS7_SB_S5_SD_S8_SB_S5_SD_SB_S5_PS7_21rocsparse_index_base_SF_SF_SF_bbb,"axG",@progbits,_ZN9rocsparseL41csrgemm_numeric_fill_block_per_row_kernelILj128ELj16ELj256ELj137ELj32Ell21rocsparse_complex_numIdEEEvT5_PKS3_S5_NS_24const_host_device_scalarIT6_EEPKT4_S5_PKS7_SB_S5_SD_S8_SB_S5_SD_SB_S5_PS7_21rocsparse_index_base_SF_SF_SF_bbb,comdat
	.globl	_ZN9rocsparseL41csrgemm_numeric_fill_block_per_row_kernelILj128ELj16ELj256ELj137ELj32Ell21rocsparse_complex_numIdEEEvT5_PKS3_S5_NS_24const_host_device_scalarIT6_EEPKT4_S5_PKS7_SB_S5_SD_S8_SB_S5_SD_SB_S5_PS7_21rocsparse_index_base_SF_SF_SF_bbb ; -- Begin function _ZN9rocsparseL41csrgemm_numeric_fill_block_per_row_kernelILj128ELj16ELj256ELj137ELj32Ell21rocsparse_complex_numIdEEEvT5_PKS3_S5_NS_24const_host_device_scalarIT6_EEPKT4_S5_PKS7_SB_S5_SD_S8_SB_S5_SD_SB_S5_PS7_21rocsparse_index_base_SF_SF_SF_bbb
	.p2align	8
	.type	_ZN9rocsparseL41csrgemm_numeric_fill_block_per_row_kernelILj128ELj16ELj256ELj137ELj32Ell21rocsparse_complex_numIdEEEvT5_PKS3_S5_NS_24const_host_device_scalarIT6_EEPKT4_S5_PKS7_SB_S5_SD_S8_SB_S5_SD_SB_S5_PS7_21rocsparse_index_base_SF_SF_SF_bbb,@function
_ZN9rocsparseL41csrgemm_numeric_fill_block_per_row_kernelILj128ELj16ELj256ELj137ELj32Ell21rocsparse_complex_numIdEEEvT5_PKS3_S5_NS_24const_host_device_scalarIT6_EEPKT4_S5_PKS7_SB_S5_SD_S8_SB_S5_SD_SB_S5_PS7_21rocsparse_index_base_SF_SF_SF_bbb: ; @_ZN9rocsparseL41csrgemm_numeric_fill_block_per_row_kernelILj128ELj16ELj256ELj137ELj32Ell21rocsparse_complex_numIdEEEvT5_PKS3_S5_NS_24const_host_device_scalarIT6_EEPKT4_S5_PKS7_SB_S5_SD_S8_SB_S5_SD_SB_S5_PS7_21rocsparse_index_base_SF_SF_SF_bbb
; %bb.0:
	s_clause 0x2
	s_load_b32 s13, s[0:1], 0xa8
	s_load_b128 s[8:11], s[0:1], 0x18
	s_load_b128 s[4:7], s[0:1], 0x58
	v_mov_b64_e32 v[6:7], 0
	v_mov_b64_e32 v[10:11], 0
	;; [unrolled: 1-line block ×3, first 2 shown]
	v_mbcnt_lo_u32_b32 v36, -1, 0
	s_wait_kmcnt 0x0
	s_bitcmp1_b32 s13, 0
	v_mov_b64_e32 v[2:3], s[8:9]
	s_cselect_b32 s33, -1, 0
	s_bitcmp1_b32 s13, 16
	v_mov_b64_e32 v[4:5], s[4:5]
	s_cselect_b32 s2, -1, 0
	s_clause 0x1
	scratch_store_b64 off, v[2:3], off offset:16
	scratch_store_b64 off, v[4:5], off offset:24
	s_xor_b32 s12, s2, -1
	s_bitcmp0_b32 s13, 0
	v_cndmask_b32_e64 v1, 0, 1, s12
	s_delay_alu instid0(VALU_DEP_1)
	v_cmp_ne_u32_e32 vcc_lo, 1, v1
	s_cbranch_scc1 .LBB142_3
; %bb.1:
	s_wait_xcnt 0x1
	v_dual_mov_b32 v2, 16 :: v_dual_lshlrev_b32 v3, 20, v36
	v_mov_b64_e32 v[12:13], s[10:11]
	s_and_b32 vcc_lo, exec_lo, vcc_lo
	s_delay_alu instid0(VALU_DEP_2) | instskip(NEXT) | instid1(VALU_DEP_1)
	v_add_nc_u64_e32 v[2:3], src_flat_scratch_base_lo, v[2:3]
	v_cndmask_b32_e64 v3, s9, v3, s2
	s_delay_alu instid0(VALU_DEP_2)
	v_cndmask_b32_e64 v2, s8, v2, s2
	flat_load_b64 v[10:11], v[2:3]
	s_cbranch_vccnz .LBB142_3
; %bb.2:
	v_mov_b32_e32 v1, 0
	flat_load_b64 v[12:13], v1, s[8:9] offset:8
.LBB142_3:
	s_load_b128 s[20:23], s[0:1], 0x98
	v_mov_b64_e32 v[8:9], 0
	s_bitcmp1_b32 s13, 8
	s_cselect_b32 s3, -1, 0
	s_bfe_u32 s8, s13, 0x10008
	s_delay_alu instid0(SALU_CYCLE_1)
	s_cmp_eq_u32 s8, 0
	s_cbranch_scc1 .LBB142_6
; %bb.4:
	v_dual_mov_b32 v2, 24 :: v_dual_lshlrev_b32 v3, 20, v36
	v_mov_b64_e32 v[6:7], s[6:7]
	s_and_not1_b32 vcc_lo, exec_lo, s12
	s_delay_alu instid0(VALU_DEP_2) | instskip(NEXT) | instid1(VALU_DEP_1)
	v_add_nc_u64_e32 v[2:3], src_flat_scratch_base_lo, v[2:3]
	v_cndmask_b32_e64 v3, s5, v3, s2
	s_delay_alu instid0(VALU_DEP_2)
	v_cndmask_b32_e64 v2, s4, v2, s2
	flat_load_b64 v[8:9], v[2:3]
	s_cbranch_vccnz .LBB142_6
; %bb.5:
	v_mov_b32_e32 v1, 0
	flat_load_b64 v[6:7], v1, s[4:5] offset:8
.LBB142_6:
	s_load_b128 s[24:27], s[0:1], 0x0
	v_cmp_gt_u32_e64 s2, 0x100, v0
	v_lshlrev_b32_e32 v37, 4, v0
	v_or_b32_e32 v34, 0xffffff80, v0
	v_lshl_add_u32 v35, v0, 3, 0
	s_and_saveexec_b32 s6, s2
	s_cbranch_execz .LBB142_9
; %bb.7:
	s_mov_b32 s4, 0
	s_wait_kmcnt 0x0
	v_mov_b64_e32 v[2:3], s[24:25]
	s_mov_b32 s5, s4
	s_mov_b32 s8, s4
	;; [unrolled: 1-line block ×3, first 2 shown]
	v_mov_b64_e32 v[4:5], s[4:5]
	v_mov_b64_e32 v[14:15], s[8:9]
	v_add3_u32 v1, v37, 0, 0x800
	v_or_b32_e32 v16, 0xffffff80, v0
	v_lshl_add_u32 v17, v0, 3, 0
.LBB142_8:                              ; =>This Inner Loop Header: Depth=1
	s_delay_alu instid0(VALU_DEP_2)
	v_add_co_u32 v16, s5, 0x80, v16
	s_xor_b32 s5, s5, -1
	ds_store_b64 v17, v[2:3]
	ds_store_2addr_b64 v1, v[4:5], v[14:15] offset1:1
	v_add_nc_u32_e32 v1, 0x800, v1
	v_add_nc_u32_e32 v17, 0x400, v17
	s_and_b32 s5, exec_lo, s5
	s_delay_alu instid0(SALU_CYCLE_1) | instskip(NEXT) | instid1(SALU_CYCLE_1)
	s_or_b32 s4, s5, s4
	s_and_not1_b32 exec_lo, exec_lo, s4
	s_cbranch_execnz .LBB142_8
.LBB142_9:
	s_or_b32 exec_lo, exec_lo, s6
	s_clause 0x4
	s_load_b64 s[34:35], s[0:1], 0x90
	s_load_b256 s[4:11], s[0:1], 0x68
	s_load_b128 s[28:31], s[0:1], 0x48
	s_load_b64 s[36:37], s[0:1], 0x10
	s_load_b256 s[12:19], s[0:1], 0x28
	s_wait_storecnt 0x0
	s_wait_loadcnt_dscnt 0x0
	s_barrier_signal -1
	s_barrier_wait -1
	s_wait_kmcnt 0x0
	s_load_b64 s[0:1], s[26:27], 0x0
	s_wait_xcnt 0x0
	s_bfe_u32 s26, ttmp6, 0x4000c
	s_and_b32 s27, ttmp6, 15
	s_add_co_i32 s26, s26, 1
	s_getreg_b32 s38, hwreg(HW_REG_IB_STS2, 6, 4)
	s_mul_i32 s26, ttmp9, s26
	s_delay_alu instid0(SALU_CYCLE_1)
	s_add_co_i32 s27, s27, s26
	s_wait_kmcnt 0x0
	s_lshl_b64 s[0:1], s[0:1], 3
	s_cmp_eq_u32 s38, 0
	s_add_nc_u64 s[0:1], s[36:37], s[0:1]
	s_cselect_b32 s26, ttmp9, s27
	s_and_b32 vcc_lo, exec_lo, s33
	s_load_b64 s[26:27], s[0:1], s26 offset:0x0 scale_offset
	s_wait_xcnt 0x0
	s_mov_b32 s1, 0
	s_cbranch_vccz .LBB142_29
; %bb.10:
	s_wait_kmcnt 0x0
	s_lshl_b64 s[36:37], s[26:27], 3
	v_dual_mov_b32 v3, 0 :: v_dual_lshrrev_b32 v2, 4, v0
	s_add_nc_u64 s[12:13], s[12:13], s[36:37]
	s_mov_b32 s0, s20
	s_load_b128 s[36:39], s[12:13], 0x0
	s_mov_b32 s20, exec_lo
	v_sub_nc_u64_e64 v[4:5], v[2:3], s[0:1]
	s_wait_kmcnt 0x0
	s_delay_alu instid0(VALU_DEP_1)
	v_add_nc_u64_e32 v[14:15], s[36:37], v[4:5]
	s_sub_nc_u64 s[12:13], s[38:39], s[0:1]
	s_delay_alu instid0(VALU_DEP_1) | instid1(SALU_CYCLE_1)
	v_cmpx_gt_i64_e64 s[12:13], v[14:15]
	s_cbranch_execz .LBB142_28
; %bb.11:
	v_and_b32_e32 v2, 15, v0
	s_mov_b32 s37, 0
	s_mov_b32 s36, s21
	s_mov_b32 s21, s37
	s_delay_alu instid0(VALU_DEP_1)
	v_sub_nc_u64_e64 v[16:17], v[2:3], s[36:37]
	s_branch .LBB142_13
.LBB142_12:                             ;   in Loop: Header=BB142_13 Depth=1
	s_or_b32 exec_lo, exec_lo, s33
	v_add_nc_u64_e32 v[14:15], 8, v[14:15]
	s_delay_alu instid0(VALU_DEP_1) | instskip(SKIP_1) | instid1(SALU_CYCLE_1)
	v_cmp_le_i64_e32 vcc_lo, s[12:13], v[14:15]
	s_or_b32 s21, vcc_lo, s21
	s_and_not1_b32 exec_lo, exec_lo, s21
	s_cbranch_execz .LBB142_28
.LBB142_13:                             ; =>This Loop Header: Depth=1
                                        ;     Child Loop BB142_17 Depth 2
                                        ;       Child Loop BB142_20 Depth 3
	v_lshl_add_u64 v[2:3], v[14:15], 3, s[14:15]
	s_mov_b32 s33, exec_lo
	global_load_b64 v[2:3], v[2:3], off
	s_wait_loadcnt 0x0
	s_wait_xcnt 0x0
	v_sub_nc_u64_e64 v[2:3], v[2:3], s[0:1]
	s_delay_alu instid0(VALU_DEP_1)
	v_lshl_add_u64 v[2:3], v[2:3], 3, s[18:19]
	global_load_b128 v[2:5], v[2:3], off
	s_wait_loadcnt 0x0
	v_sub_nc_u64_e64 v[18:19], v[4:5], s[36:37]
	v_add_nc_u64_e32 v[20:21], v[2:3], v[16:17]
	s_wait_xcnt 0x0
	s_delay_alu instid0(VALU_DEP_1)
	v_cmpx_lt_i64_e64 v[20:21], v[18:19]
	s_cbranch_execz .LBB142_12
; %bb.14:                               ;   in Loop: Header=BB142_13 Depth=1
	v_lshl_add_u64 v[2:3], v[14:15], 4, s[16:17]
	s_mov_b32 s38, 0
	global_load_b128 v[2:5], v[2:3], off
	s_wait_loadcnt 0x0
	v_mul_f64_e64 v[22:23], v[4:5], -v[12:13]
	v_mul_f64_e32 v[24:25], v[10:11], v[4:5]
	s_delay_alu instid0(VALU_DEP_2) | instskip(NEXT) | instid1(VALU_DEP_2)
	v_fmac_f64_e32 v[22:23], v[10:11], v[2:3]
	v_fmac_f64_e32 v[24:25], v[12:13], v[2:3]
	s_branch .LBB142_17
.LBB142_15:                             ;   in Loop: Header=BB142_17 Depth=2
	s_or_b32 exec_lo, exec_lo, s40
.LBB142_16:                             ;   in Loop: Header=BB142_17 Depth=2
	s_delay_alu instid0(SALU_CYCLE_1)
	s_or_b32 exec_lo, exec_lo, s39
	s_wait_loadcnt 0x0
	v_mul_f64_e64 v[28:29], v[4:5], -v[24:25]
	v_mul_f64_e32 v[4:5], v[22:23], v[4:5]
	v_lshl_add_u32 v1, v26, 4, 0
	v_add_nc_u64_e32 v[20:21], 16, v[20:21]
	s_delay_alu instid0(VALU_DEP_1)
	v_cmp_ge_i64_e32 vcc_lo, v[20:21], v[18:19]
	s_or_b32 s38, vcc_lo, s38
	v_fmac_f64_e32 v[28:29], v[22:23], v[2:3]
	v_fmac_f64_e32 v[4:5], v[24:25], v[2:3]
	ds_add_f64 v1, v[28:29] offset:2048
	ds_add_f64 v1, v[4:5] offset:2056
	s_and_not1_b32 exec_lo, exec_lo, s38
	s_cbranch_execz .LBB142_12
.LBB142_17:                             ;   Parent Loop BB142_13 Depth=1
                                        ; =>  This Loop Header: Depth=2
                                        ;       Child Loop BB142_20 Depth 3
	s_wait_xcnt 0x0
	v_lshl_add_u64 v[2:3], v[20:21], 3, s[28:29]
	s_mov_b32 s39, exec_lo
	global_load_b64 v[26:27], v[2:3], off
	s_wait_xcnt 0x0
	v_lshl_add_u64 v[2:3], v[20:21], 4, s[30:31]
	global_load_b128 v[2:5], v[2:3], off
	s_wait_loadcnt 0x1
	v_sub_nc_u64_e64 v[28:29], v[26:27], s[36:37]
	s_delay_alu instid0(VALU_DEP_1) | instskip(NEXT) | instid1(VALU_DEP_1)
	v_mul_lo_u32 v1, 0x89, v28
	v_and_b32_e32 v26, 0xff, v1
	s_delay_alu instid0(VALU_DEP_1)
	v_lshl_add_u32 v1, v26, 3, 0
	ds_load_b64 v[32:33], v1
	s_wait_dscnt 0x0
	s_wait_xcnt 0x0
	v_cmpx_ne_u64_e64 v[32:33], v[28:29]
	s_cbranch_execz .LBB142_16
; %bb.18:                               ;   in Loop: Header=BB142_17 Depth=2
	s_mov_b32 s40, 0
                                        ; implicit-def: $sgpr41
                                        ; implicit-def: $sgpr42
	s_branch .LBB142_20
.LBB142_19:                             ;   in Loop: Header=BB142_20 Depth=3
	s_or_b32 exec_lo, exec_lo, s45
	s_delay_alu instid0(SALU_CYCLE_1) | instskip(NEXT) | instid1(SALU_CYCLE_1)
	s_and_b32 s43, exec_lo, s44
	s_or_b32 s40, s43, s40
	s_and_not1_b32 s41, s41, exec_lo
	s_and_b32 s43, s42, exec_lo
	s_delay_alu instid0(SALU_CYCLE_1)
	s_or_b32 s41, s41, s43
	s_and_not1_b32 exec_lo, exec_lo, s40
	s_cbranch_execz .LBB142_26
.LBB142_20:                             ;   Parent Loop BB142_13 Depth=1
                                        ;     Parent Loop BB142_17 Depth=2
                                        ; =>    This Inner Loop Header: Depth=3
	v_mov_b64_e32 v[30:31], v[26:27]
	s_mov_b32 s43, 0
	s_mov_b32 s44, exec_lo
                                        ; implicit-def: $vgpr26_vgpr27
	v_cmpx_ne_u64_e64 s[24:25], v[32:33]
	s_xor_b32 s44, exec_lo, s44
; %bb.21:                               ;   in Loop: Header=BB142_20 Depth=3
	s_delay_alu instid0(VALU_DEP_2) | instskip(SKIP_1) | instid1(VALU_DEP_1)
	v_add_nc_u32_e32 v1, 1, v30
	s_mov_b32 s43, exec_lo
	v_and_b32_e32 v26, 0xff, v1
                                        ; implicit-def: $vgpr1
; %bb.22:                               ;   in Loop: Header=BB142_20 Depth=3
	s_and_not1_saveexec_b32 s44, s44
	s_cbranch_execz .LBB142_24
; %bb.23:                               ;   in Loop: Header=BB142_20 Depth=3
	v_mov_b64_e32 v[26:27], s[24:25]
	s_and_not1_b32 s43, s43, exec_lo
	ds_cmpstore_rtn_b64 v[26:27], v1, v[28:29], v[26:27]
	s_wait_dscnt 0x0
	v_cmp_ne_u64_e32 vcc_lo, s[24:25], v[26:27]
	v_mov_b64_e32 v[26:27], v[30:31]
	s_and_b32 s45, vcc_lo, exec_lo
	s_delay_alu instid0(SALU_CYCLE_1)
	s_or_b32 s43, s43, s45
.LBB142_24:                             ;   in Loop: Header=BB142_20 Depth=3
	s_or_b32 exec_lo, exec_lo, s44
	s_mov_b32 s44, -1
	s_or_b32 s42, s42, exec_lo
                                        ; implicit-def: $vgpr1
                                        ; implicit-def: $vgpr32_vgpr33
	s_and_saveexec_b32 s45, s43
	s_cbranch_execz .LBB142_19
; %bb.25:                               ;   in Loop: Header=BB142_20 Depth=3
	v_lshl_add_u32 v1, v26, 3, 0
	s_and_not1_b32 s42, s42, exec_lo
	ds_load_b64 v[32:33], v1
	s_wait_dscnt 0x0
	v_cmp_eq_u64_e32 vcc_lo, v[32:33], v[28:29]
	s_or_not1_b32 s44, vcc_lo, exec_lo
	s_branch .LBB142_19
.LBB142_26:                             ;   in Loop: Header=BB142_17 Depth=2
	s_or_b32 exec_lo, exec_lo, s40
	s_and_saveexec_b32 s40, s41
	s_delay_alu instid0(SALU_CYCLE_1)
	s_xor_b32 s40, exec_lo, s40
	s_cbranch_execz .LBB142_15
; %bb.27:                               ;   in Loop: Header=BB142_17 Depth=2
	v_mov_b32_e32 v26, v30
	s_branch .LBB142_15
.LBB142_28:
	s_or_b32 exec_lo, exec_lo, s20
.LBB142_29:
	s_delay_alu instid0(SALU_CYCLE_1)
	s_and_not1_b32 vcc_lo, exec_lo, s3
	s_cbranch_vccnz .LBB142_46
; %bb.30:
	s_wait_kmcnt 0x0
	s_lshl_b64 s[0:1], s[26:27], 3
	v_mov_b32_e32 v1, 0
	s_add_nc_u64 s[0:1], s[4:5], s[0:1]
	s_mov_b32 s3, exec_lo
	s_load_b128 s[12:15], s[0:1], 0x0
	s_wait_xcnt 0x0
	s_mov_b32 s1, 0
	s_mov_b32 s0, s23
	s_delay_alu instid0(SALU_CYCLE_1) | instskip(SKIP_1) | instid1(VALU_DEP_1)
	v_sub_nc_u64_e64 v[2:3], v[0:1], s[0:1]
	s_wait_kmcnt 0x0
	v_add_nc_u64_e32 v[10:11], s[12:13], v[2:3]
	s_sub_nc_u64 s[4:5], s[14:15], s[0:1]
	s_delay_alu instid0(VALU_DEP_1) | instid1(SALU_CYCLE_1)
	v_cmpx_gt_i64_e64 s[4:5], v[10:11]
	s_cbranch_execz .LBB142_45
; %bb.31:
	s_mov_b32 s12, s1
	s_branch .LBB142_34
.LBB142_32:                             ;   in Loop: Header=BB142_34 Depth=1
	s_or_b32 exec_lo, exec_lo, s14
.LBB142_33:                             ;   in Loop: Header=BB142_34 Depth=1
	s_delay_alu instid0(SALU_CYCLE_1)
	s_or_b32 exec_lo, exec_lo, s13
	s_wait_loadcnt 0x0
	v_mul_f64_e64 v[14:15], v[4:5], -v[6:7]
	v_mul_f64_e32 v[4:5], v[8:9], v[4:5]
	v_lshl_add_u32 v1, v12, 4, 0
	v_add_nc_u64_e32 v[10:11], 0x80, v[10:11]
	s_delay_alu instid0(VALU_DEP_1)
	v_cmp_le_i64_e32 vcc_lo, s[4:5], v[10:11]
	s_or_b32 s12, vcc_lo, s12
	v_fmac_f64_e32 v[14:15], v[8:9], v[2:3]
	v_fmac_f64_e32 v[4:5], v[6:7], v[2:3]
	ds_add_f64 v1, v[14:15] offset:2048
	ds_add_f64 v1, v[4:5] offset:2056
	s_and_not1_b32 exec_lo, exec_lo, s12
	s_cbranch_execz .LBB142_45
.LBB142_34:                             ; =>This Loop Header: Depth=1
                                        ;     Child Loop BB142_37 Depth 2
	v_lshl_add_u64 v[2:3], v[10:11], 3, s[6:7]
	s_mov_b32 s13, exec_lo
	global_load_b64 v[12:13], v[2:3], off
	s_wait_xcnt 0x0
	v_lshl_add_u64 v[2:3], v[10:11], 4, s[8:9]
	global_load_b128 v[2:5], v[2:3], off
	s_wait_loadcnt 0x1
	v_sub_nc_u64_e64 v[14:15], v[12:13], s[0:1]
	s_delay_alu instid0(VALU_DEP_1) | instskip(NEXT) | instid1(VALU_DEP_1)
	v_mul_lo_u32 v1, 0x89, v14
	v_and_b32_e32 v12, 0xff, v1
	s_delay_alu instid0(VALU_DEP_1)
	v_lshl_add_u32 v1, v12, 3, 0
	ds_load_b64 v[18:19], v1
	s_wait_dscnt 0x0
	s_wait_xcnt 0x0
	v_cmpx_ne_u64_e64 v[18:19], v[14:15]
	s_cbranch_execz .LBB142_33
; %bb.35:                               ;   in Loop: Header=BB142_34 Depth=1
	s_mov_b32 s14, 0
                                        ; implicit-def: $sgpr15
                                        ; implicit-def: $sgpr16
	s_branch .LBB142_37
.LBB142_36:                             ;   in Loop: Header=BB142_37 Depth=2
	s_or_b32 exec_lo, exec_lo, s19
	s_delay_alu instid0(SALU_CYCLE_1) | instskip(NEXT) | instid1(SALU_CYCLE_1)
	s_and_b32 s17, exec_lo, s18
	s_or_b32 s14, s17, s14
	s_and_not1_b32 s15, s15, exec_lo
	s_and_b32 s17, s16, exec_lo
	s_delay_alu instid0(SALU_CYCLE_1)
	s_or_b32 s15, s15, s17
	s_and_not1_b32 exec_lo, exec_lo, s14
	s_cbranch_execz .LBB142_43
.LBB142_37:                             ;   Parent Loop BB142_34 Depth=1
                                        ; =>  This Inner Loop Header: Depth=2
	v_mov_b64_e32 v[16:17], v[12:13]
	s_mov_b32 s17, 0
	s_mov_b32 s18, exec_lo
                                        ; implicit-def: $vgpr12_vgpr13
	v_cmpx_ne_u64_e64 s[24:25], v[18:19]
	s_xor_b32 s18, exec_lo, s18
; %bb.38:                               ;   in Loop: Header=BB142_37 Depth=2
	s_delay_alu instid0(VALU_DEP_2) | instskip(SKIP_1) | instid1(VALU_DEP_1)
	v_add_nc_u32_e32 v1, 1, v16
	s_mov_b32 s17, exec_lo
	v_and_b32_e32 v12, 0xff, v1
                                        ; implicit-def: $vgpr1
; %bb.39:                               ;   in Loop: Header=BB142_37 Depth=2
	s_and_not1_saveexec_b32 s18, s18
	s_cbranch_execz .LBB142_41
; %bb.40:                               ;   in Loop: Header=BB142_37 Depth=2
	v_mov_b64_e32 v[12:13], s[24:25]
	s_and_not1_b32 s17, s17, exec_lo
	ds_cmpstore_rtn_b64 v[12:13], v1, v[14:15], v[12:13]
	s_wait_dscnt 0x0
	v_cmp_ne_u64_e32 vcc_lo, s[24:25], v[12:13]
	v_mov_b64_e32 v[12:13], v[16:17]
	s_and_b32 s19, vcc_lo, exec_lo
	s_delay_alu instid0(SALU_CYCLE_1)
	s_or_b32 s17, s17, s19
.LBB142_41:                             ;   in Loop: Header=BB142_37 Depth=2
	s_or_b32 exec_lo, exec_lo, s18
	s_mov_b32 s18, -1
	s_or_b32 s16, s16, exec_lo
                                        ; implicit-def: $vgpr1
                                        ; implicit-def: $vgpr18_vgpr19
	s_and_saveexec_b32 s19, s17
	s_cbranch_execz .LBB142_36
; %bb.42:                               ;   in Loop: Header=BB142_37 Depth=2
	v_lshl_add_u32 v1, v12, 3, 0
	s_and_not1_b32 s16, s16, exec_lo
	ds_load_b64 v[18:19], v1
	s_wait_dscnt 0x0
	v_cmp_eq_u64_e32 vcc_lo, v[18:19], v[14:15]
	s_or_not1_b32 s18, vcc_lo, exec_lo
	s_branch .LBB142_36
.LBB142_43:                             ;   in Loop: Header=BB142_34 Depth=1
	s_or_b32 exec_lo, exec_lo, s14
	s_and_saveexec_b32 s14, s15
	s_delay_alu instid0(SALU_CYCLE_1)
	s_xor_b32 s14, exec_lo, s14
	s_cbranch_execz .LBB142_32
; %bb.44:                               ;   in Loop: Header=BB142_34 Depth=1
	v_mov_b32_e32 v12, v16
	s_branch .LBB142_32
.LBB142_45:
	s_or_b32 exec_lo, exec_lo, s3
.LBB142_46:
	s_wait_dscnt 0x0
	s_barrier_signal -1
	s_barrier_wait -1
	s_and_saveexec_b32 s4, s2
	s_cbranch_execz .LBB142_59
; %bb.47:
	v_dual_lshrrev_b32 v1, 2, v0 :: v_dual_mov_b32 v3, 0
	v_mov_b64_e32 v[4:5], 0
	v_cmp_lt_u32_e64 s0, 31, v0
	v_cmp_lt_u32_e64 s1, 63, v0
	s_delay_alu instid0(VALU_DEP_4)
	v_and_b32_e32 v1, 24, v1
	v_xor_b32_e32 v2, 31, v36
	v_cmp_lt_u32_e64 s2, 0x5f, v0
	v_add3_u32 v7, v37, 0, 0x800
	s_mov_b32 s5, 0
	v_add_nc_u32_e32 v1, 0, v1
	v_lshrrev_b32_e64 v6, v2, -1
	v_cmp_eq_u32_e32 vcc_lo, 0x7f, v0
	s_branch .LBB142_49
.LBB142_48:                             ;   in Loop: Header=BB142_49 Depth=1
	s_or_b32 exec_lo, exec_lo, s3
	s_wait_dscnt 0x0
	s_barrier_signal -1
	s_barrier_wait -1
	ds_load_b64 v[8:9], v3 offset:6168
	v_add_co_u32 v34, s3, 0x80, v34
	s_xor_b32 s3, s3, -1
	v_add_nc_u32_e32 v7, 0x800, v7
	v_add_nc_u32_e32 v35, 0x400, v35
	s_and_b32 s3, exec_lo, s3
	s_delay_alu instid0(SALU_CYCLE_1)
	s_or_b32 s5, s3, s5
	s_wait_dscnt 0x0
	v_add_nc_u64_e32 v[4:5], v[8:9], v[4:5]
	s_and_not1_b32 exec_lo, exec_lo, s5
	s_cbranch_execz .LBB142_59
.LBB142_49:                             ; =>This Inner Loop Header: Depth=1
	ds_load_b64 v[8:9], v35
	ds_load_2addr_b64 v[10:13], v7 offset1:1
	s_wait_dscnt 0x1
	v_cmp_gt_i64_e64 s3, s[24:25], v[8:9]
	s_wait_dscnt 0x0
	scratch_store_b128 off, v[10:13], off
	s_wait_storecnt 0x0
	s_barrier_signal -1
	s_barrier_wait -1
	s_bcnt1_i32_b32 s6, s3
	s_wait_xcnt 0x0
	v_dual_mov_b32 v2, s6 :: v_dual_bitop2_b32 v10, s3, v6 bitop3:0x40
	s_delay_alu instid0(VALU_DEP_1)
	v_bcnt_u32_b32 v10, v10, 0
	ds_store_b64 v1, v[2:3] offset:6144
	s_wait_dscnt 0x0
	s_barrier_signal -1
	s_barrier_wait -1
	s_and_saveexec_b32 s6, s0
	s_cbranch_execnz .LBB142_54
; %bb.50:                               ;   in Loop: Header=BB142_49 Depth=1
	s_or_b32 exec_lo, exec_lo, s6
	s_and_saveexec_b32 s6, s1
	s_cbranch_execnz .LBB142_55
.LBB142_51:                             ;   in Loop: Header=BB142_49 Depth=1
	s_or_b32 exec_lo, exec_lo, s6
	s_and_saveexec_b32 s6, s2
	s_cbranch_execnz .LBB142_56
.LBB142_52:                             ;   in Loop: Header=BB142_49 Depth=1
	s_or_b32 exec_lo, exec_lo, s6
	v_ashrrev_i32_e32 v11, 31, v10
	s_and_saveexec_b32 s6, s3
	s_cbranch_execnz .LBB142_57
.LBB142_53:                             ;   in Loop: Header=BB142_49 Depth=1
	s_or_b32 exec_lo, exec_lo, s6
	s_and_saveexec_b32 s3, vcc_lo
	s_cbranch_execz .LBB142_48
	s_branch .LBB142_58
.LBB142_54:                             ;   in Loop: Header=BB142_49 Depth=1
	ds_load_b32 v2, v3 offset:6144
	s_wait_dscnt 0x0
	v_add_nc_u32_e32 v10, v2, v10
	s_or_b32 exec_lo, exec_lo, s6
	s_and_saveexec_b32 s6, s1
	s_cbranch_execz .LBB142_51
.LBB142_55:                             ;   in Loop: Header=BB142_49 Depth=1
	ds_load_b32 v2, v3 offset:6152
	s_wait_dscnt 0x0
	v_add_nc_u32_e32 v10, v10, v2
	s_or_b32 exec_lo, exec_lo, s6
	s_and_saveexec_b32 s6, s2
	s_cbranch_execz .LBB142_52
.LBB142_56:                             ;   in Loop: Header=BB142_49 Depth=1
	ds_load_b32 v2, v3 offset:6160
	s_wait_dscnt 0x0
	v_add_nc_u32_e32 v10, v10, v2
	s_or_b32 exec_lo, exec_lo, s6
	s_delay_alu instid0(VALU_DEP_1)
	v_ashrrev_i32_e32 v11, 31, v10
	s_and_saveexec_b32 s6, s3
	s_cbranch_execz .LBB142_53
.LBB142_57:                             ;   in Loop: Header=BB142_49 Depth=1
	scratch_load_b128 v[12:15], off, off
	v_add3_u32 v2, v4, -1, v10
	v_add_nc_u32_e32 v16, v4, v10
	s_delay_alu instid0(VALU_DEP_2) | instskip(NEXT) | instid1(VALU_DEP_2)
	v_lshl_add_u32 v2, v2, 3, 0
	v_lshl_add_u32 v16, v16, 4, 0
	ds_store_b64 v2, v[8:9]
	s_wait_loadcnt 0x0
	ds_store_2addr_b64 v16, v[12:13], v[14:15] offset0:254 offset1:255
	s_or_b32 exec_lo, exec_lo, s6
	s_and_saveexec_b32 s3, vcc_lo
	s_cbranch_execz .LBB142_48
.LBB142_58:                             ;   in Loop: Header=BB142_49 Depth=1
	ds_store_b64 v3, v[10:11] offset:6168
	s_branch .LBB142_48
.LBB142_59:
	s_or_b32 exec_lo, exec_lo, s4
	s_wait_kmcnt 0x0
	s_lshl_b64 s[0:1], s[26:27], 3
	v_mov_b32_e32 v1, 0
	s_add_nc_u64 s[4:5], s[10:11], s[0:1]
	s_mov_b32 s6, exec_lo
	s_load_b128 s[0:3], s[4:5], 0x0
	s_wait_kmcnt 0x0
	s_sub_nc_u64 s[4:5], s[2:3], s[0:1]
	s_delay_alu instid0(SALU_CYCLE_1)
	v_cmpx_gt_i64_e64 s[4:5], v[0:1]
	s_cbranch_execz .LBB142_69
; %bb.60:
	s_sub_nc_u64 s[8:9], s[0:1], s[2:3]
	s_and_b64 s[6:7], s[4:5], 7
	v_cmp_lt_u64_e64 s10, s[8:9], -7
	s_and_b64 s[2:3], s[4:5], -8
	s_mov_b32 s23, 0
	s_cmp_lg_u64 s[6:7], 0
	s_sub_nc_u64 s[0:1], s[0:1], s[22:23]
	s_cselect_b32 s11, -1, 0
	s_mov_b32 s12, 0
	s_branch .LBB142_62
.LBB142_61:                             ;   in Loop: Header=BB142_62 Depth=1
	s_wait_dscnt 0x0
	v_lshlrev_b32_e32 v2, 3, v0
	v_add_nc_u64_e32 v[0:1], 0x80, v[0:1]
	s_delay_alu instid0(VALU_DEP_2) | instskip(NEXT) | instid1(VALU_DEP_2)
	v_add3_u32 v2, v6, v2, 0x800
	v_cmp_le_i64_e32 vcc_lo, s[4:5], v[0:1]
	ds_load_2addr_b64 v[6:9], v2 offset1:1
	v_lshl_add_u64 v[2:3], v[4:5], 4, s[34:35]
	s_or_b32 s12, vcc_lo, s12
	s_wait_dscnt 0x0
	global_store_b128 v[2:3], v[6:9], off
	s_wait_xcnt 0x0
	s_and_not1_b32 exec_lo, exec_lo, s12
	s_cbranch_execz .LBB142_69
.LBB142_62:                             ; =>This Loop Header: Depth=1
                                        ;     Child Loop BB142_64 Depth 2
                                        ;     Child Loop BB142_68 Depth 2
	v_lshl_add_u32 v6, v0, 3, 0
	v_mov_b64_e32 v[4:5], s[0:1]
	s_and_not1_b32 vcc_lo, exec_lo, s10
	s_mov_b64 s[8:9], 0
	ds_load_b64 v[2:3], v6
	s_cbranch_vccnz .LBB142_66
; %bb.63:                               ;   in Loop: Header=BB142_62 Depth=1
	v_mov_b64_e32 v[4:5], s[0:1]
	s_mov_b32 s13, 0
.LBB142_64:                             ;   Parent Loop BB142_62 Depth=1
                                        ; =>  This Inner Loop Header: Depth=2
	s_delay_alu instid0(SALU_CYCLE_1)
	v_dual_mov_b32 v7, s13 :: v_dual_mov_b32 v17, s23
	s_add_nc_u64 s[8:9], s[8:9], 8
	s_add_co_i32 s13, s13, 64
	s_cmp_eq_u64 s[2:3], s[8:9]
	ds_load_2addr_b64 v[8:11], v7 offset1:1
	ds_load_2addr_b64 v[12:15], v7 offset0:2 offset1:3
	s_wait_dscnt 0x1
	v_cmp_gt_i64_e32 vcc_lo, v[2:3], v[8:9]
	v_cndmask_b32_e64 v16, 0, 1, vcc_lo
	v_cmp_gt_i64_e32 vcc_lo, v[2:3], v[10:11]
	ds_load_2addr_b64 v[8:11], v7 offset0:4 offset1:5
	v_add_nc_u64_e32 v[4:5], v[4:5], v[16:17]
	v_cndmask_b32_e64 v18, 0, 1, vcc_lo
	s_wait_dscnt 0x1
	v_cmp_gt_i64_e32 vcc_lo, v[2:3], v[12:13]
	v_cndmask_b32_e64 v16, 0, 1, vcc_lo
	v_cmp_gt_i64_e32 vcc_lo, v[2:3], v[14:15]
	ds_load_2addr_b64 v[12:15], v7 offset0:6 offset1:7
	v_mov_b32_e32 v19, s23
	s_delay_alu instid0(VALU_DEP_1) | instskip(SKIP_4) | instid1(VALU_DEP_4)
	v_add_nc_u64_e32 v[4:5], v[4:5], v[18:19]
	v_cndmask_b32_e64 v18, 0, 1, vcc_lo
	s_wait_dscnt 0x1
	v_cmp_gt_i64_e32 vcc_lo, v[2:3], v[8:9]
	v_mov_b32_e32 v9, s23
	v_add_nc_u64_e32 v[4:5], v[4:5], v[16:17]
	v_cndmask_b32_e64 v16, 0, 1, vcc_lo
	v_cmp_gt_i64_e32 vcc_lo, v[2:3], v[10:11]
	v_mov_b32_e32 v11, s23
	s_delay_alu instid0(VALU_DEP_4) | instskip(SKIP_3) | instid1(VALU_DEP_3)
	v_add_nc_u64_e32 v[4:5], v[4:5], v[18:19]
	v_cndmask_b32_e64 v8, 0, 1, vcc_lo
	s_wait_dscnt 0x0
	v_cmp_gt_i64_e32 vcc_lo, v[2:3], v[12:13]
	v_add_nc_u64_e32 v[4:5], v[4:5], v[16:17]
	v_cndmask_b32_e64 v10, 0, 1, vcc_lo
	v_cmp_gt_i64_e32 vcc_lo, v[2:3], v[14:15]
	s_delay_alu instid0(VALU_DEP_3) | instskip(SKIP_1) | instid1(VALU_DEP_2)
	v_add_nc_u64_e32 v[4:5], v[4:5], v[8:9]
	v_cndmask_b32_e64 v8, 0, 1, vcc_lo
	v_add_nc_u64_e32 v[4:5], v[4:5], v[10:11]
	s_delay_alu instid0(VALU_DEP_1)
	v_add_nc_u64_e32 v[4:5], v[4:5], v[8:9]
	s_cbranch_scc0 .LBB142_64
; %bb.65:                               ;   in Loop: Header=BB142_62 Depth=1
	s_mov_b64 s[8:9], s[2:3]
.LBB142_66:                             ;   in Loop: Header=BB142_62 Depth=1
	s_and_not1_b32 vcc_lo, exec_lo, s11
	s_cbranch_vccnz .LBB142_61
; %bb.67:                               ;   in Loop: Header=BB142_62 Depth=1
	s_lshl_b32 s8, s8, 3
	s_delay_alu instid0(SALU_CYCLE_1)
	s_add_co_i32 s13, s8, 0
	s_mov_b64 s[8:9], s[6:7]
.LBB142_68:                             ;   Parent Loop BB142_62 Depth=1
                                        ; =>  This Inner Loop Header: Depth=2
	v_dual_mov_b32 v7, s13 :: v_dual_mov_b32 v11, s23
	s_add_nc_u64 s[8:9], s[8:9], -1
	s_add_co_i32 s13, s13, 8
	s_cmp_lg_u64 s[8:9], 0
	ds_load_b64 v[8:9], v7
	s_wait_dscnt 0x0
	v_cmp_gt_i64_e32 vcc_lo, v[2:3], v[8:9]
	v_cndmask_b32_e64 v10, 0, 1, vcc_lo
	s_delay_alu instid0(VALU_DEP_1)
	v_add_nc_u64_e32 v[4:5], v[4:5], v[10:11]
	s_cbranch_scc1 .LBB142_68
	s_branch .LBB142_61
.LBB142_69:
	s_endpgm
	.section	.rodata,"a",@progbits
	.p2align	6, 0x0
	.amdhsa_kernel _ZN9rocsparseL41csrgemm_numeric_fill_block_per_row_kernelILj128ELj16ELj256ELj137ELj32Ell21rocsparse_complex_numIdEEEvT5_PKS3_S5_NS_24const_host_device_scalarIT6_EEPKT4_S5_PKS7_SB_S5_SD_S8_SB_S5_SD_SB_S5_PS7_21rocsparse_index_base_SF_SF_SF_bbb
		.amdhsa_group_segment_fixed_size 0
		.amdhsa_private_segment_fixed_size 40
		.amdhsa_kernarg_size 172
		.amdhsa_user_sgpr_count 2
		.amdhsa_user_sgpr_dispatch_ptr 0
		.amdhsa_user_sgpr_queue_ptr 0
		.amdhsa_user_sgpr_kernarg_segment_ptr 1
		.amdhsa_user_sgpr_dispatch_id 0
		.amdhsa_user_sgpr_kernarg_preload_length 0
		.amdhsa_user_sgpr_kernarg_preload_offset 0
		.amdhsa_user_sgpr_private_segment_size 0
		.amdhsa_wavefront_size32 1
		.amdhsa_uses_dynamic_stack 0
		.amdhsa_enable_private_segment 1
		.amdhsa_system_sgpr_workgroup_id_x 1
		.amdhsa_system_sgpr_workgroup_id_y 0
		.amdhsa_system_sgpr_workgroup_id_z 0
		.amdhsa_system_sgpr_workgroup_info 0
		.amdhsa_system_vgpr_workitem_id 0
		.amdhsa_next_free_vgpr 38
		.amdhsa_next_free_sgpr 46
		.amdhsa_named_barrier_count 0
		.amdhsa_reserve_vcc 1
		.amdhsa_float_round_mode_32 0
		.amdhsa_float_round_mode_16_64 0
		.amdhsa_float_denorm_mode_32 3
		.amdhsa_float_denorm_mode_16_64 3
		.amdhsa_fp16_overflow 0
		.amdhsa_memory_ordered 1
		.amdhsa_forward_progress 1
		.amdhsa_inst_pref_size 24
		.amdhsa_round_robin_scheduling 0
		.amdhsa_exception_fp_ieee_invalid_op 0
		.amdhsa_exception_fp_denorm_src 0
		.amdhsa_exception_fp_ieee_div_zero 0
		.amdhsa_exception_fp_ieee_overflow 0
		.amdhsa_exception_fp_ieee_underflow 0
		.amdhsa_exception_fp_ieee_inexact 0
		.amdhsa_exception_int_div_zero 0
	.end_amdhsa_kernel
	.section	.text._ZN9rocsparseL41csrgemm_numeric_fill_block_per_row_kernelILj128ELj16ELj256ELj137ELj32Ell21rocsparse_complex_numIdEEEvT5_PKS3_S5_NS_24const_host_device_scalarIT6_EEPKT4_S5_PKS7_SB_S5_SD_S8_SB_S5_SD_SB_S5_PS7_21rocsparse_index_base_SF_SF_SF_bbb,"axG",@progbits,_ZN9rocsparseL41csrgemm_numeric_fill_block_per_row_kernelILj128ELj16ELj256ELj137ELj32Ell21rocsparse_complex_numIdEEEvT5_PKS3_S5_NS_24const_host_device_scalarIT6_EEPKT4_S5_PKS7_SB_S5_SD_S8_SB_S5_SD_SB_S5_PS7_21rocsparse_index_base_SF_SF_SF_bbb,comdat
.Lfunc_end142:
	.size	_ZN9rocsparseL41csrgemm_numeric_fill_block_per_row_kernelILj128ELj16ELj256ELj137ELj32Ell21rocsparse_complex_numIdEEEvT5_PKS3_S5_NS_24const_host_device_scalarIT6_EEPKT4_S5_PKS7_SB_S5_SD_S8_SB_S5_SD_SB_S5_PS7_21rocsparse_index_base_SF_SF_SF_bbb, .Lfunc_end142-_ZN9rocsparseL41csrgemm_numeric_fill_block_per_row_kernelILj128ELj16ELj256ELj137ELj32Ell21rocsparse_complex_numIdEEEvT5_PKS3_S5_NS_24const_host_device_scalarIT6_EEPKT4_S5_PKS7_SB_S5_SD_S8_SB_S5_SD_SB_S5_PS7_21rocsparse_index_base_SF_SF_SF_bbb
                                        ; -- End function
	.set _ZN9rocsparseL41csrgemm_numeric_fill_block_per_row_kernelILj128ELj16ELj256ELj137ELj32Ell21rocsparse_complex_numIdEEEvT5_PKS3_S5_NS_24const_host_device_scalarIT6_EEPKT4_S5_PKS7_SB_S5_SD_S8_SB_S5_SD_SB_S5_PS7_21rocsparse_index_base_SF_SF_SF_bbb.num_vgpr, 38
	.set _ZN9rocsparseL41csrgemm_numeric_fill_block_per_row_kernelILj128ELj16ELj256ELj137ELj32Ell21rocsparse_complex_numIdEEEvT5_PKS3_S5_NS_24const_host_device_scalarIT6_EEPKT4_S5_PKS7_SB_S5_SD_S8_SB_S5_SD_SB_S5_PS7_21rocsparse_index_base_SF_SF_SF_bbb.num_agpr, 0
	.set _ZN9rocsparseL41csrgemm_numeric_fill_block_per_row_kernelILj128ELj16ELj256ELj137ELj32Ell21rocsparse_complex_numIdEEEvT5_PKS3_S5_NS_24const_host_device_scalarIT6_EEPKT4_S5_PKS7_SB_S5_SD_S8_SB_S5_SD_SB_S5_PS7_21rocsparse_index_base_SF_SF_SF_bbb.numbered_sgpr, 46
	.set _ZN9rocsparseL41csrgemm_numeric_fill_block_per_row_kernelILj128ELj16ELj256ELj137ELj32Ell21rocsparse_complex_numIdEEEvT5_PKS3_S5_NS_24const_host_device_scalarIT6_EEPKT4_S5_PKS7_SB_S5_SD_S8_SB_S5_SD_SB_S5_PS7_21rocsparse_index_base_SF_SF_SF_bbb.num_named_barrier, 0
	.set _ZN9rocsparseL41csrgemm_numeric_fill_block_per_row_kernelILj128ELj16ELj256ELj137ELj32Ell21rocsparse_complex_numIdEEEvT5_PKS3_S5_NS_24const_host_device_scalarIT6_EEPKT4_S5_PKS7_SB_S5_SD_S8_SB_S5_SD_SB_S5_PS7_21rocsparse_index_base_SF_SF_SF_bbb.private_seg_size, 40
	.set _ZN9rocsparseL41csrgemm_numeric_fill_block_per_row_kernelILj128ELj16ELj256ELj137ELj32Ell21rocsparse_complex_numIdEEEvT5_PKS3_S5_NS_24const_host_device_scalarIT6_EEPKT4_S5_PKS7_SB_S5_SD_S8_SB_S5_SD_SB_S5_PS7_21rocsparse_index_base_SF_SF_SF_bbb.uses_vcc, 1
	.set _ZN9rocsparseL41csrgemm_numeric_fill_block_per_row_kernelILj128ELj16ELj256ELj137ELj32Ell21rocsparse_complex_numIdEEEvT5_PKS3_S5_NS_24const_host_device_scalarIT6_EEPKT4_S5_PKS7_SB_S5_SD_S8_SB_S5_SD_SB_S5_PS7_21rocsparse_index_base_SF_SF_SF_bbb.uses_flat_scratch, 1
	.set _ZN9rocsparseL41csrgemm_numeric_fill_block_per_row_kernelILj128ELj16ELj256ELj137ELj32Ell21rocsparse_complex_numIdEEEvT5_PKS3_S5_NS_24const_host_device_scalarIT6_EEPKT4_S5_PKS7_SB_S5_SD_S8_SB_S5_SD_SB_S5_PS7_21rocsparse_index_base_SF_SF_SF_bbb.has_dyn_sized_stack, 0
	.set _ZN9rocsparseL41csrgemm_numeric_fill_block_per_row_kernelILj128ELj16ELj256ELj137ELj32Ell21rocsparse_complex_numIdEEEvT5_PKS3_S5_NS_24const_host_device_scalarIT6_EEPKT4_S5_PKS7_SB_S5_SD_S8_SB_S5_SD_SB_S5_PS7_21rocsparse_index_base_SF_SF_SF_bbb.has_recursion, 0
	.set _ZN9rocsparseL41csrgemm_numeric_fill_block_per_row_kernelILj128ELj16ELj256ELj137ELj32Ell21rocsparse_complex_numIdEEEvT5_PKS3_S5_NS_24const_host_device_scalarIT6_EEPKT4_S5_PKS7_SB_S5_SD_S8_SB_S5_SD_SB_S5_PS7_21rocsparse_index_base_SF_SF_SF_bbb.has_indirect_call, 0
	.section	.AMDGPU.csdata,"",@progbits
; Kernel info:
; codeLenInByte = 3044
; TotalNumSgprs: 48
; NumVgprs: 38
; ScratchSize: 40
; MemoryBound: 0
; FloatMode: 240
; IeeeMode: 1
; LDSByteSize: 0 bytes/workgroup (compile time only)
; SGPRBlocks: 0
; VGPRBlocks: 2
; NumSGPRsForWavesPerEU: 48
; NumVGPRsForWavesPerEU: 38
; NamedBarCnt: 0
; Occupancy: 16
; WaveLimiterHint : 1
; COMPUTE_PGM_RSRC2:SCRATCH_EN: 1
; COMPUTE_PGM_RSRC2:USER_SGPR: 2
; COMPUTE_PGM_RSRC2:TRAP_HANDLER: 0
; COMPUTE_PGM_RSRC2:TGID_X_EN: 1
; COMPUTE_PGM_RSRC2:TGID_Y_EN: 0
; COMPUTE_PGM_RSRC2:TGID_Z_EN: 0
; COMPUTE_PGM_RSRC2:TIDIG_COMP_CNT: 0
	.section	.text._ZN9rocsparseL41csrgemm_numeric_fill_block_per_row_kernelILj128ELj16ELj256ELj137ELj64Ell21rocsparse_complex_numIdEEEvT5_PKS3_S5_NS_24const_host_device_scalarIT6_EEPKT4_S5_PKS7_SB_S5_SD_S8_SB_S5_SD_SB_S5_PS7_21rocsparse_index_base_SF_SF_SF_bbb,"axG",@progbits,_ZN9rocsparseL41csrgemm_numeric_fill_block_per_row_kernelILj128ELj16ELj256ELj137ELj64Ell21rocsparse_complex_numIdEEEvT5_PKS3_S5_NS_24const_host_device_scalarIT6_EEPKT4_S5_PKS7_SB_S5_SD_S8_SB_S5_SD_SB_S5_PS7_21rocsparse_index_base_SF_SF_SF_bbb,comdat
	.globl	_ZN9rocsparseL41csrgemm_numeric_fill_block_per_row_kernelILj128ELj16ELj256ELj137ELj64Ell21rocsparse_complex_numIdEEEvT5_PKS3_S5_NS_24const_host_device_scalarIT6_EEPKT4_S5_PKS7_SB_S5_SD_S8_SB_S5_SD_SB_S5_PS7_21rocsparse_index_base_SF_SF_SF_bbb ; -- Begin function _ZN9rocsparseL41csrgemm_numeric_fill_block_per_row_kernelILj128ELj16ELj256ELj137ELj64Ell21rocsparse_complex_numIdEEEvT5_PKS3_S5_NS_24const_host_device_scalarIT6_EEPKT4_S5_PKS7_SB_S5_SD_S8_SB_S5_SD_SB_S5_PS7_21rocsparse_index_base_SF_SF_SF_bbb
	.p2align	8
	.type	_ZN9rocsparseL41csrgemm_numeric_fill_block_per_row_kernelILj128ELj16ELj256ELj137ELj64Ell21rocsparse_complex_numIdEEEvT5_PKS3_S5_NS_24const_host_device_scalarIT6_EEPKT4_S5_PKS7_SB_S5_SD_S8_SB_S5_SD_SB_S5_PS7_21rocsparse_index_base_SF_SF_SF_bbb,@function
_ZN9rocsparseL41csrgemm_numeric_fill_block_per_row_kernelILj128ELj16ELj256ELj137ELj64Ell21rocsparse_complex_numIdEEEvT5_PKS3_S5_NS_24const_host_device_scalarIT6_EEPKT4_S5_PKS7_SB_S5_SD_S8_SB_S5_SD_SB_S5_PS7_21rocsparse_index_base_SF_SF_SF_bbb: ; @_ZN9rocsparseL41csrgemm_numeric_fill_block_per_row_kernelILj128ELj16ELj256ELj137ELj64Ell21rocsparse_complex_numIdEEEvT5_PKS3_S5_NS_24const_host_device_scalarIT6_EEPKT4_S5_PKS7_SB_S5_SD_S8_SB_S5_SD_SB_S5_PS7_21rocsparse_index_base_SF_SF_SF_bbb
; %bb.0:
	s_clause 0x2
	s_load_b32 s13, s[0:1], 0xa8
	s_load_b128 s[8:11], s[0:1], 0x18
	s_load_b128 s[4:7], s[0:1], 0x58
	v_mov_b64_e32 v[6:7], 0
	v_mov_b64_e32 v[10:11], 0
	;; [unrolled: 1-line block ×3, first 2 shown]
	v_mbcnt_lo_u32_b32 v36, -1, 0
	s_wait_kmcnt 0x0
	s_bitcmp1_b32 s13, 0
	v_mov_b64_e32 v[2:3], s[8:9]
	s_cselect_b32 s33, -1, 0
	s_bitcmp1_b32 s13, 16
	v_mov_b64_e32 v[4:5], s[4:5]
	s_cselect_b32 s2, -1, 0
	s_clause 0x1
	scratch_store_b64 off, v[2:3], off offset:16
	scratch_store_b64 off, v[4:5], off offset:24
	s_xor_b32 s12, s2, -1
	s_bitcmp0_b32 s13, 0
	v_cndmask_b32_e64 v1, 0, 1, s12
	s_delay_alu instid0(VALU_DEP_1)
	v_cmp_ne_u32_e32 vcc_lo, 1, v1
	s_cbranch_scc1 .LBB143_3
; %bb.1:
	s_wait_xcnt 0x1
	v_dual_mov_b32 v2, 16 :: v_dual_lshlrev_b32 v3, 20, v36
	v_mov_b64_e32 v[12:13], s[10:11]
	s_and_b32 vcc_lo, exec_lo, vcc_lo
	s_delay_alu instid0(VALU_DEP_2) | instskip(NEXT) | instid1(VALU_DEP_1)
	v_add_nc_u64_e32 v[2:3], src_flat_scratch_base_lo, v[2:3]
	v_cndmask_b32_e64 v3, s9, v3, s2
	s_delay_alu instid0(VALU_DEP_2)
	v_cndmask_b32_e64 v2, s8, v2, s2
	flat_load_b64 v[10:11], v[2:3]
	s_cbranch_vccnz .LBB143_3
; %bb.2:
	v_mov_b32_e32 v1, 0
	flat_load_b64 v[12:13], v1, s[8:9] offset:8
.LBB143_3:
	s_load_b128 s[20:23], s[0:1], 0x98
	v_mov_b64_e32 v[8:9], 0
	s_bitcmp1_b32 s13, 8
	s_cselect_b32 s3, -1, 0
	s_bfe_u32 s8, s13, 0x10008
	s_delay_alu instid0(SALU_CYCLE_1)
	s_cmp_eq_u32 s8, 0
	s_cbranch_scc1 .LBB143_6
; %bb.4:
	v_dual_mov_b32 v2, 24 :: v_dual_lshlrev_b32 v3, 20, v36
	v_mov_b64_e32 v[6:7], s[6:7]
	s_and_not1_b32 vcc_lo, exec_lo, s12
	s_delay_alu instid0(VALU_DEP_2) | instskip(NEXT) | instid1(VALU_DEP_1)
	v_add_nc_u64_e32 v[2:3], src_flat_scratch_base_lo, v[2:3]
	v_cndmask_b32_e64 v3, s5, v3, s2
	s_delay_alu instid0(VALU_DEP_2)
	v_cndmask_b32_e64 v2, s4, v2, s2
	flat_load_b64 v[8:9], v[2:3]
	s_cbranch_vccnz .LBB143_6
; %bb.5:
	v_mov_b32_e32 v1, 0
	flat_load_b64 v[6:7], v1, s[4:5] offset:8
.LBB143_6:
	s_load_b128 s[24:27], s[0:1], 0x0
	v_cmp_gt_u32_e64 s2, 0x100, v0
	v_lshlrev_b32_e32 v37, 4, v0
	v_or_b32_e32 v34, 0xffffff80, v0
	v_lshl_add_u32 v35, v0, 3, 0
	s_and_saveexec_b32 s6, s2
	s_cbranch_execz .LBB143_9
; %bb.7:
	s_mov_b32 s4, 0
	s_wait_kmcnt 0x0
	v_mov_b64_e32 v[2:3], s[24:25]
	s_mov_b32 s5, s4
	s_mov_b32 s8, s4
	s_mov_b32 s9, s4
	v_mov_b64_e32 v[4:5], s[4:5]
	v_mov_b64_e32 v[14:15], s[8:9]
	v_add3_u32 v1, v37, 0, 0x800
	v_or_b32_e32 v16, 0xffffff80, v0
	v_lshl_add_u32 v17, v0, 3, 0
.LBB143_8:                              ; =>This Inner Loop Header: Depth=1
	s_delay_alu instid0(VALU_DEP_2)
	v_add_co_u32 v16, s5, 0x80, v16
	s_xor_b32 s5, s5, -1
	ds_store_b64 v17, v[2:3]
	ds_store_2addr_b64 v1, v[4:5], v[14:15] offset1:1
	v_add_nc_u32_e32 v1, 0x800, v1
	v_add_nc_u32_e32 v17, 0x400, v17
	s_and_b32 s5, exec_lo, s5
	s_delay_alu instid0(SALU_CYCLE_1) | instskip(NEXT) | instid1(SALU_CYCLE_1)
	s_or_b32 s4, s5, s4
	s_and_not1_b32 exec_lo, exec_lo, s4
	s_cbranch_execnz .LBB143_8
.LBB143_9:
	s_or_b32 exec_lo, exec_lo, s6
	s_clause 0x4
	s_load_b64 s[34:35], s[0:1], 0x90
	s_load_b256 s[4:11], s[0:1], 0x68
	s_load_b128 s[28:31], s[0:1], 0x48
	s_load_b64 s[36:37], s[0:1], 0x10
	s_load_b256 s[12:19], s[0:1], 0x28
	s_wait_storecnt 0x0
	s_wait_loadcnt_dscnt 0x0
	s_barrier_signal -1
	s_barrier_wait -1
	s_wait_kmcnt 0x0
	s_load_b64 s[0:1], s[26:27], 0x0
	s_wait_xcnt 0x0
	s_bfe_u32 s26, ttmp6, 0x4000c
	s_and_b32 s27, ttmp6, 15
	s_add_co_i32 s26, s26, 1
	s_getreg_b32 s38, hwreg(HW_REG_IB_STS2, 6, 4)
	s_mul_i32 s26, ttmp9, s26
	s_delay_alu instid0(SALU_CYCLE_1)
	s_add_co_i32 s27, s27, s26
	s_wait_kmcnt 0x0
	s_lshl_b64 s[0:1], s[0:1], 3
	s_cmp_eq_u32 s38, 0
	s_add_nc_u64 s[0:1], s[36:37], s[0:1]
	s_cselect_b32 s26, ttmp9, s27
	s_and_b32 vcc_lo, exec_lo, s33
	s_load_b64 s[26:27], s[0:1], s26 offset:0x0 scale_offset
	s_wait_xcnt 0x0
	s_mov_b32 s1, 0
	s_cbranch_vccz .LBB143_29
; %bb.10:
	s_wait_kmcnt 0x0
	s_lshl_b64 s[36:37], s[26:27], 3
	v_dual_mov_b32 v3, 0 :: v_dual_lshrrev_b32 v2, 4, v0
	s_add_nc_u64 s[12:13], s[12:13], s[36:37]
	s_mov_b32 s0, s20
	s_load_b128 s[36:39], s[12:13], 0x0
	s_mov_b32 s20, exec_lo
	v_sub_nc_u64_e64 v[4:5], v[2:3], s[0:1]
	s_wait_kmcnt 0x0
	s_delay_alu instid0(VALU_DEP_1)
	v_add_nc_u64_e32 v[14:15], s[36:37], v[4:5]
	s_sub_nc_u64 s[12:13], s[38:39], s[0:1]
	s_delay_alu instid0(VALU_DEP_1) | instid1(SALU_CYCLE_1)
	v_cmpx_gt_i64_e64 s[12:13], v[14:15]
	s_cbranch_execz .LBB143_28
; %bb.11:
	v_and_b32_e32 v2, 15, v0
	s_mov_b32 s37, 0
	s_mov_b32 s36, s21
	;; [unrolled: 1-line block ×3, first 2 shown]
	s_delay_alu instid0(VALU_DEP_1)
	v_sub_nc_u64_e64 v[16:17], v[2:3], s[36:37]
	s_branch .LBB143_13
.LBB143_12:                             ;   in Loop: Header=BB143_13 Depth=1
	s_or_b32 exec_lo, exec_lo, s33
	v_add_nc_u64_e32 v[14:15], 8, v[14:15]
	s_delay_alu instid0(VALU_DEP_1) | instskip(SKIP_1) | instid1(SALU_CYCLE_1)
	v_cmp_le_i64_e32 vcc_lo, s[12:13], v[14:15]
	s_or_b32 s21, vcc_lo, s21
	s_and_not1_b32 exec_lo, exec_lo, s21
	s_cbranch_execz .LBB143_28
.LBB143_13:                             ; =>This Loop Header: Depth=1
                                        ;     Child Loop BB143_17 Depth 2
                                        ;       Child Loop BB143_20 Depth 3
	v_lshl_add_u64 v[2:3], v[14:15], 3, s[14:15]
	s_mov_b32 s33, exec_lo
	global_load_b64 v[2:3], v[2:3], off
	s_wait_loadcnt 0x0
	s_wait_xcnt 0x0
	v_sub_nc_u64_e64 v[2:3], v[2:3], s[0:1]
	s_delay_alu instid0(VALU_DEP_1)
	v_lshl_add_u64 v[2:3], v[2:3], 3, s[18:19]
	global_load_b128 v[2:5], v[2:3], off
	s_wait_loadcnt 0x0
	v_sub_nc_u64_e64 v[18:19], v[4:5], s[36:37]
	v_add_nc_u64_e32 v[20:21], v[2:3], v[16:17]
	s_wait_xcnt 0x0
	s_delay_alu instid0(VALU_DEP_1)
	v_cmpx_lt_i64_e64 v[20:21], v[18:19]
	s_cbranch_execz .LBB143_12
; %bb.14:                               ;   in Loop: Header=BB143_13 Depth=1
	v_lshl_add_u64 v[2:3], v[14:15], 4, s[16:17]
	s_mov_b32 s38, 0
	global_load_b128 v[2:5], v[2:3], off
	s_wait_loadcnt 0x0
	v_mul_f64_e64 v[22:23], v[4:5], -v[12:13]
	v_mul_f64_e32 v[24:25], v[10:11], v[4:5]
	s_delay_alu instid0(VALU_DEP_2) | instskip(NEXT) | instid1(VALU_DEP_2)
	v_fmac_f64_e32 v[22:23], v[10:11], v[2:3]
	v_fmac_f64_e32 v[24:25], v[12:13], v[2:3]
	s_branch .LBB143_17
.LBB143_15:                             ;   in Loop: Header=BB143_17 Depth=2
	s_or_b32 exec_lo, exec_lo, s40
.LBB143_16:                             ;   in Loop: Header=BB143_17 Depth=2
	s_delay_alu instid0(SALU_CYCLE_1)
	s_or_b32 exec_lo, exec_lo, s39
	s_wait_loadcnt 0x0
	v_mul_f64_e64 v[28:29], v[4:5], -v[24:25]
	v_mul_f64_e32 v[4:5], v[22:23], v[4:5]
	v_lshl_add_u32 v1, v26, 4, 0
	v_add_nc_u64_e32 v[20:21], 16, v[20:21]
	s_delay_alu instid0(VALU_DEP_1)
	v_cmp_ge_i64_e32 vcc_lo, v[20:21], v[18:19]
	s_or_b32 s38, vcc_lo, s38
	v_fmac_f64_e32 v[28:29], v[22:23], v[2:3]
	v_fmac_f64_e32 v[4:5], v[24:25], v[2:3]
	ds_add_f64 v1, v[28:29] offset:2048
	ds_add_f64 v1, v[4:5] offset:2056
	s_and_not1_b32 exec_lo, exec_lo, s38
	s_cbranch_execz .LBB143_12
.LBB143_17:                             ;   Parent Loop BB143_13 Depth=1
                                        ; =>  This Loop Header: Depth=2
                                        ;       Child Loop BB143_20 Depth 3
	s_wait_xcnt 0x0
	v_lshl_add_u64 v[2:3], v[20:21], 3, s[28:29]
	s_mov_b32 s39, exec_lo
	global_load_b64 v[26:27], v[2:3], off
	s_wait_xcnt 0x0
	v_lshl_add_u64 v[2:3], v[20:21], 4, s[30:31]
	global_load_b128 v[2:5], v[2:3], off
	s_wait_loadcnt 0x1
	v_sub_nc_u64_e64 v[28:29], v[26:27], s[36:37]
	s_delay_alu instid0(VALU_DEP_1) | instskip(NEXT) | instid1(VALU_DEP_1)
	v_mul_lo_u32 v1, 0x89, v28
	v_and_b32_e32 v26, 0xff, v1
	s_delay_alu instid0(VALU_DEP_1)
	v_lshl_add_u32 v1, v26, 3, 0
	ds_load_b64 v[32:33], v1
	s_wait_dscnt 0x0
	s_wait_xcnt 0x0
	v_cmpx_ne_u64_e64 v[32:33], v[28:29]
	s_cbranch_execz .LBB143_16
; %bb.18:                               ;   in Loop: Header=BB143_17 Depth=2
	s_mov_b32 s40, 0
                                        ; implicit-def: $sgpr41
                                        ; implicit-def: $sgpr42
	s_branch .LBB143_20
.LBB143_19:                             ;   in Loop: Header=BB143_20 Depth=3
	s_or_b32 exec_lo, exec_lo, s45
	s_delay_alu instid0(SALU_CYCLE_1) | instskip(NEXT) | instid1(SALU_CYCLE_1)
	s_and_b32 s43, exec_lo, s44
	s_or_b32 s40, s43, s40
	s_and_not1_b32 s41, s41, exec_lo
	s_and_b32 s43, s42, exec_lo
	s_delay_alu instid0(SALU_CYCLE_1)
	s_or_b32 s41, s41, s43
	s_and_not1_b32 exec_lo, exec_lo, s40
	s_cbranch_execz .LBB143_26
.LBB143_20:                             ;   Parent Loop BB143_13 Depth=1
                                        ;     Parent Loop BB143_17 Depth=2
                                        ; =>    This Inner Loop Header: Depth=3
	v_mov_b64_e32 v[30:31], v[26:27]
	s_mov_b32 s43, 0
	s_mov_b32 s44, exec_lo
                                        ; implicit-def: $vgpr26_vgpr27
	v_cmpx_ne_u64_e64 s[24:25], v[32:33]
	s_xor_b32 s44, exec_lo, s44
; %bb.21:                               ;   in Loop: Header=BB143_20 Depth=3
	s_delay_alu instid0(VALU_DEP_2) | instskip(SKIP_1) | instid1(VALU_DEP_1)
	v_add_nc_u32_e32 v1, 1, v30
	s_mov_b32 s43, exec_lo
	v_and_b32_e32 v26, 0xff, v1
                                        ; implicit-def: $vgpr1
; %bb.22:                               ;   in Loop: Header=BB143_20 Depth=3
	s_and_not1_saveexec_b32 s44, s44
	s_cbranch_execz .LBB143_24
; %bb.23:                               ;   in Loop: Header=BB143_20 Depth=3
	v_mov_b64_e32 v[26:27], s[24:25]
	s_and_not1_b32 s43, s43, exec_lo
	ds_cmpstore_rtn_b64 v[26:27], v1, v[28:29], v[26:27]
	s_wait_dscnt 0x0
	v_cmp_ne_u64_e32 vcc_lo, s[24:25], v[26:27]
	v_mov_b64_e32 v[26:27], v[30:31]
	s_and_b32 s45, vcc_lo, exec_lo
	s_delay_alu instid0(SALU_CYCLE_1)
	s_or_b32 s43, s43, s45
.LBB143_24:                             ;   in Loop: Header=BB143_20 Depth=3
	s_or_b32 exec_lo, exec_lo, s44
	s_mov_b32 s44, -1
	s_or_b32 s42, s42, exec_lo
                                        ; implicit-def: $vgpr1
                                        ; implicit-def: $vgpr32_vgpr33
	s_and_saveexec_b32 s45, s43
	s_cbranch_execz .LBB143_19
; %bb.25:                               ;   in Loop: Header=BB143_20 Depth=3
	v_lshl_add_u32 v1, v26, 3, 0
	s_and_not1_b32 s42, s42, exec_lo
	ds_load_b64 v[32:33], v1
	s_wait_dscnt 0x0
	v_cmp_eq_u64_e32 vcc_lo, v[32:33], v[28:29]
	s_or_not1_b32 s44, vcc_lo, exec_lo
	s_branch .LBB143_19
.LBB143_26:                             ;   in Loop: Header=BB143_17 Depth=2
	s_or_b32 exec_lo, exec_lo, s40
	s_and_saveexec_b32 s40, s41
	s_delay_alu instid0(SALU_CYCLE_1)
	s_xor_b32 s40, exec_lo, s40
	s_cbranch_execz .LBB143_15
; %bb.27:                               ;   in Loop: Header=BB143_17 Depth=2
	v_mov_b32_e32 v26, v30
	s_branch .LBB143_15
.LBB143_28:
	s_or_b32 exec_lo, exec_lo, s20
.LBB143_29:
	s_delay_alu instid0(SALU_CYCLE_1)
	s_and_not1_b32 vcc_lo, exec_lo, s3
	s_cbranch_vccnz .LBB143_46
; %bb.30:
	s_wait_kmcnt 0x0
	s_lshl_b64 s[0:1], s[26:27], 3
	v_mov_b32_e32 v1, 0
	s_add_nc_u64 s[0:1], s[4:5], s[0:1]
	s_mov_b32 s3, exec_lo
	s_load_b128 s[12:15], s[0:1], 0x0
	s_wait_xcnt 0x0
	s_mov_b32 s1, 0
	s_mov_b32 s0, s23
	s_delay_alu instid0(SALU_CYCLE_1) | instskip(SKIP_1) | instid1(VALU_DEP_1)
	v_sub_nc_u64_e64 v[2:3], v[0:1], s[0:1]
	s_wait_kmcnt 0x0
	v_add_nc_u64_e32 v[10:11], s[12:13], v[2:3]
	s_sub_nc_u64 s[4:5], s[14:15], s[0:1]
	s_delay_alu instid0(VALU_DEP_1) | instid1(SALU_CYCLE_1)
	v_cmpx_gt_i64_e64 s[4:5], v[10:11]
	s_cbranch_execz .LBB143_45
; %bb.31:
	s_mov_b32 s12, s1
	s_branch .LBB143_34
.LBB143_32:                             ;   in Loop: Header=BB143_34 Depth=1
	s_or_b32 exec_lo, exec_lo, s14
.LBB143_33:                             ;   in Loop: Header=BB143_34 Depth=1
	s_delay_alu instid0(SALU_CYCLE_1)
	s_or_b32 exec_lo, exec_lo, s13
	s_wait_loadcnt 0x0
	v_mul_f64_e64 v[14:15], v[4:5], -v[6:7]
	v_mul_f64_e32 v[4:5], v[8:9], v[4:5]
	v_lshl_add_u32 v1, v12, 4, 0
	v_add_nc_u64_e32 v[10:11], 0x80, v[10:11]
	s_delay_alu instid0(VALU_DEP_1)
	v_cmp_le_i64_e32 vcc_lo, s[4:5], v[10:11]
	s_or_b32 s12, vcc_lo, s12
	v_fmac_f64_e32 v[14:15], v[8:9], v[2:3]
	v_fmac_f64_e32 v[4:5], v[6:7], v[2:3]
	ds_add_f64 v1, v[14:15] offset:2048
	ds_add_f64 v1, v[4:5] offset:2056
	s_and_not1_b32 exec_lo, exec_lo, s12
	s_cbranch_execz .LBB143_45
.LBB143_34:                             ; =>This Loop Header: Depth=1
                                        ;     Child Loop BB143_37 Depth 2
	v_lshl_add_u64 v[2:3], v[10:11], 3, s[6:7]
	s_mov_b32 s13, exec_lo
	global_load_b64 v[12:13], v[2:3], off
	s_wait_xcnt 0x0
	v_lshl_add_u64 v[2:3], v[10:11], 4, s[8:9]
	global_load_b128 v[2:5], v[2:3], off
	s_wait_loadcnt 0x1
	v_sub_nc_u64_e64 v[14:15], v[12:13], s[0:1]
	s_delay_alu instid0(VALU_DEP_1) | instskip(NEXT) | instid1(VALU_DEP_1)
	v_mul_lo_u32 v1, 0x89, v14
	v_and_b32_e32 v12, 0xff, v1
	s_delay_alu instid0(VALU_DEP_1)
	v_lshl_add_u32 v1, v12, 3, 0
	ds_load_b64 v[18:19], v1
	s_wait_dscnt 0x0
	s_wait_xcnt 0x0
	v_cmpx_ne_u64_e64 v[18:19], v[14:15]
	s_cbranch_execz .LBB143_33
; %bb.35:                               ;   in Loop: Header=BB143_34 Depth=1
	s_mov_b32 s14, 0
                                        ; implicit-def: $sgpr15
                                        ; implicit-def: $sgpr16
	s_branch .LBB143_37
.LBB143_36:                             ;   in Loop: Header=BB143_37 Depth=2
	s_or_b32 exec_lo, exec_lo, s19
	s_delay_alu instid0(SALU_CYCLE_1) | instskip(NEXT) | instid1(SALU_CYCLE_1)
	s_and_b32 s17, exec_lo, s18
	s_or_b32 s14, s17, s14
	s_and_not1_b32 s15, s15, exec_lo
	s_and_b32 s17, s16, exec_lo
	s_delay_alu instid0(SALU_CYCLE_1)
	s_or_b32 s15, s15, s17
	s_and_not1_b32 exec_lo, exec_lo, s14
	s_cbranch_execz .LBB143_43
.LBB143_37:                             ;   Parent Loop BB143_34 Depth=1
                                        ; =>  This Inner Loop Header: Depth=2
	v_mov_b64_e32 v[16:17], v[12:13]
	s_mov_b32 s17, 0
	s_mov_b32 s18, exec_lo
                                        ; implicit-def: $vgpr12_vgpr13
	v_cmpx_ne_u64_e64 s[24:25], v[18:19]
	s_xor_b32 s18, exec_lo, s18
; %bb.38:                               ;   in Loop: Header=BB143_37 Depth=2
	s_delay_alu instid0(VALU_DEP_2) | instskip(SKIP_1) | instid1(VALU_DEP_1)
	v_add_nc_u32_e32 v1, 1, v16
	s_mov_b32 s17, exec_lo
	v_and_b32_e32 v12, 0xff, v1
                                        ; implicit-def: $vgpr1
; %bb.39:                               ;   in Loop: Header=BB143_37 Depth=2
	s_and_not1_saveexec_b32 s18, s18
	s_cbranch_execz .LBB143_41
; %bb.40:                               ;   in Loop: Header=BB143_37 Depth=2
	v_mov_b64_e32 v[12:13], s[24:25]
	s_and_not1_b32 s17, s17, exec_lo
	ds_cmpstore_rtn_b64 v[12:13], v1, v[14:15], v[12:13]
	s_wait_dscnt 0x0
	v_cmp_ne_u64_e32 vcc_lo, s[24:25], v[12:13]
	v_mov_b64_e32 v[12:13], v[16:17]
	s_and_b32 s19, vcc_lo, exec_lo
	s_delay_alu instid0(SALU_CYCLE_1)
	s_or_b32 s17, s17, s19
.LBB143_41:                             ;   in Loop: Header=BB143_37 Depth=2
	s_or_b32 exec_lo, exec_lo, s18
	s_mov_b32 s18, -1
	s_or_b32 s16, s16, exec_lo
                                        ; implicit-def: $vgpr1
                                        ; implicit-def: $vgpr18_vgpr19
	s_and_saveexec_b32 s19, s17
	s_cbranch_execz .LBB143_36
; %bb.42:                               ;   in Loop: Header=BB143_37 Depth=2
	v_lshl_add_u32 v1, v12, 3, 0
	s_and_not1_b32 s16, s16, exec_lo
	ds_load_b64 v[18:19], v1
	s_wait_dscnt 0x0
	v_cmp_eq_u64_e32 vcc_lo, v[18:19], v[14:15]
	s_or_not1_b32 s18, vcc_lo, exec_lo
	s_branch .LBB143_36
.LBB143_43:                             ;   in Loop: Header=BB143_34 Depth=1
	s_or_b32 exec_lo, exec_lo, s14
	s_and_saveexec_b32 s14, s15
	s_delay_alu instid0(SALU_CYCLE_1)
	s_xor_b32 s14, exec_lo, s14
	s_cbranch_execz .LBB143_32
; %bb.44:                               ;   in Loop: Header=BB143_34 Depth=1
	v_mov_b32_e32 v12, v16
	s_branch .LBB143_32
.LBB143_45:
	s_or_b32 exec_lo, exec_lo, s3
.LBB143_46:
	s_wait_dscnt 0x0
	s_barrier_signal -1
	s_barrier_wait -1
	s_and_saveexec_b32 s3, s2
	s_cbranch_execz .LBB143_55
; %bb.47:
	v_dual_lshrrev_b32 v1, 3, v0 :: v_dual_mov_b32 v3, 0
	v_mov_b64_e32 v[4:5], 0
	v_cmp_eq_u32_e64 s0, 0x7f, v0
	v_add3_u32 v7, v37, 0, 0x800
	s_delay_alu instid0(VALU_DEP_4) | instskip(SKIP_3) | instid1(VALU_DEP_3)
	v_and_b32_e32 v1, 8, v1
	v_xor_b32_e32 v2, 31, v36
	s_mov_b32 s2, 0
	v_cmp_lt_u32_e32 vcc_lo, 63, v0
	v_add_nc_u32_e32 v1, 0, v1
	s_delay_alu instid0(VALU_DEP_3)
	v_lshrrev_b32_e64 v6, v2, -1
	s_branch .LBB143_49
.LBB143_48:                             ;   in Loop: Header=BB143_49 Depth=1
	s_or_b32 exec_lo, exec_lo, s1
	s_wait_dscnt 0x0
	s_barrier_signal -1
	s_barrier_wait -1
	ds_load_b64 v[8:9], v3 offset:6152
	v_add_co_u32 v34, s1, 0x80, v34
	s_xor_b32 s1, s1, -1
	v_add_nc_u32_e32 v7, 0x800, v7
	v_add_nc_u32_e32 v35, 0x400, v35
	s_and_b32 s1, exec_lo, s1
	s_delay_alu instid0(SALU_CYCLE_1)
	s_or_b32 s2, s1, s2
	s_wait_dscnt 0x0
	v_add_nc_u64_e32 v[4:5], v[8:9], v[4:5]
	s_and_not1_b32 exec_lo, exec_lo, s2
	s_cbranch_execz .LBB143_55
.LBB143_49:                             ; =>This Inner Loop Header: Depth=1
	ds_load_b64 v[8:9], v35
	ds_load_2addr_b64 v[10:13], v7 offset1:1
	v_mov_b32_e32 v15, v3
	s_wait_dscnt 0x1
	v_cmp_gt_i64_e64 s1, s[24:25], v[8:9]
	s_wait_dscnt 0x0
	scratch_store_b128 off, v[10:13], off
	s_wait_storecnt 0x0
	s_barrier_signal -1
	s_barrier_wait -1
	v_and_b32_e32 v2, s1, v6
	s_bcnt1_i32_b32 s4, s1
	s_delay_alu instid0(SALU_CYCLE_1) | instskip(NEXT) | instid1(VALU_DEP_2)
	v_mov_b32_e32 v14, s4
	v_bcnt_u32_b32 v2, v2, 0
	ds_store_b64 v1, v[14:15] offset:6144
	s_wait_dscnt 0x0
	s_wait_xcnt 0x0
	v_mov_b64_e32 v[10:11], v[2:3]
	s_barrier_signal -1
	s_barrier_wait -1
	s_and_saveexec_b32 s4, vcc_lo
	s_cbranch_execnz .LBB143_52
; %bb.50:                               ;   in Loop: Header=BB143_49 Depth=1
	s_or_b32 exec_lo, exec_lo, s4
	s_and_saveexec_b32 s4, s1
	s_cbranch_execnz .LBB143_53
.LBB143_51:                             ;   in Loop: Header=BB143_49 Depth=1
	s_or_b32 exec_lo, exec_lo, s4
	s_and_saveexec_b32 s1, s0
	s_cbranch_execz .LBB143_48
	s_branch .LBB143_54
.LBB143_52:                             ;   in Loop: Header=BB143_49 Depth=1
	ds_load_b64 v[10:11], v3 offset:6144
	s_wait_dscnt 0x0
	v_add_nc_u64_e32 v[10:11], v[10:11], v[2:3]
	s_or_b32 exec_lo, exec_lo, s4
	s_and_saveexec_b32 s4, s1
	s_cbranch_execz .LBB143_51
.LBB143_53:                             ;   in Loop: Header=BB143_49 Depth=1
	scratch_load_b128 v[12:15], off, off
	v_add3_u32 v2, v4, -1, v10
	v_add_nc_u32_e32 v11, v4, v10
	s_delay_alu instid0(VALU_DEP_2) | instskip(NEXT) | instid1(VALU_DEP_2)
	v_lshl_add_u32 v2, v2, 3, 0
	v_lshl_add_u32 v11, v11, 4, 0
	ds_store_b64 v2, v[8:9]
	s_wait_loadcnt 0x0
	ds_store_2addr_b64 v11, v[12:13], v[14:15] offset0:254 offset1:255
	s_or_b32 exec_lo, exec_lo, s4
	s_and_saveexec_b32 s1, s0
	s_cbranch_execz .LBB143_48
.LBB143_54:                             ;   in Loop: Header=BB143_49 Depth=1
	v_ashrrev_i32_e32 v11, 31, v10
	ds_store_b64 v3, v[10:11] offset:6152
	s_branch .LBB143_48
.LBB143_55:
	s_or_b32 exec_lo, exec_lo, s3
	s_wait_kmcnt 0x0
	s_lshl_b64 s[0:1], s[26:27], 3
	v_mov_b32_e32 v1, 0
	s_add_nc_u64 s[4:5], s[10:11], s[0:1]
	s_mov_b32 s6, exec_lo
	s_load_b128 s[0:3], s[4:5], 0x0
	s_wait_kmcnt 0x0
	s_sub_nc_u64 s[4:5], s[2:3], s[0:1]
	s_delay_alu instid0(SALU_CYCLE_1)
	v_cmpx_gt_i64_e64 s[4:5], v[0:1]
	s_cbranch_execz .LBB143_65
; %bb.56:
	s_sub_nc_u64 s[8:9], s[0:1], s[2:3]
	s_and_b64 s[6:7], s[4:5], 7
	v_cmp_lt_u64_e64 s10, s[8:9], -7
	s_and_b64 s[2:3], s[4:5], -8
	s_mov_b32 s23, 0
	s_cmp_lg_u64 s[6:7], 0
	s_sub_nc_u64 s[0:1], s[0:1], s[22:23]
	s_cselect_b32 s11, -1, 0
	s_mov_b32 s12, 0
	s_branch .LBB143_58
.LBB143_57:                             ;   in Loop: Header=BB143_58 Depth=1
	s_wait_dscnt 0x0
	v_lshlrev_b32_e32 v2, 3, v0
	v_add_nc_u64_e32 v[0:1], 0x80, v[0:1]
	s_delay_alu instid0(VALU_DEP_2) | instskip(NEXT) | instid1(VALU_DEP_2)
	v_add3_u32 v2, v6, v2, 0x800
	v_cmp_le_i64_e32 vcc_lo, s[4:5], v[0:1]
	ds_load_2addr_b64 v[6:9], v2 offset1:1
	v_lshl_add_u64 v[2:3], v[4:5], 4, s[34:35]
	s_or_b32 s12, vcc_lo, s12
	s_wait_dscnt 0x0
	global_store_b128 v[2:3], v[6:9], off
	s_wait_xcnt 0x0
	s_and_not1_b32 exec_lo, exec_lo, s12
	s_cbranch_execz .LBB143_65
.LBB143_58:                             ; =>This Loop Header: Depth=1
                                        ;     Child Loop BB143_60 Depth 2
                                        ;     Child Loop BB143_64 Depth 2
	v_lshl_add_u32 v6, v0, 3, 0
	v_mov_b64_e32 v[4:5], s[0:1]
	s_and_not1_b32 vcc_lo, exec_lo, s10
	s_mov_b64 s[8:9], 0
	ds_load_b64 v[2:3], v6
	s_cbranch_vccnz .LBB143_62
; %bb.59:                               ;   in Loop: Header=BB143_58 Depth=1
	v_mov_b64_e32 v[4:5], s[0:1]
	s_mov_b32 s13, 0
.LBB143_60:                             ;   Parent Loop BB143_58 Depth=1
                                        ; =>  This Inner Loop Header: Depth=2
	s_delay_alu instid0(SALU_CYCLE_1)
	v_dual_mov_b32 v7, s13 :: v_dual_mov_b32 v17, s23
	s_add_nc_u64 s[8:9], s[8:9], 8
	s_add_co_i32 s13, s13, 64
	s_cmp_eq_u64 s[2:3], s[8:9]
	ds_load_2addr_b64 v[8:11], v7 offset1:1
	ds_load_2addr_b64 v[12:15], v7 offset0:2 offset1:3
	s_wait_dscnt 0x1
	v_cmp_gt_i64_e32 vcc_lo, v[2:3], v[8:9]
	v_cndmask_b32_e64 v16, 0, 1, vcc_lo
	v_cmp_gt_i64_e32 vcc_lo, v[2:3], v[10:11]
	ds_load_2addr_b64 v[8:11], v7 offset0:4 offset1:5
	v_add_nc_u64_e32 v[4:5], v[4:5], v[16:17]
	v_cndmask_b32_e64 v18, 0, 1, vcc_lo
	s_wait_dscnt 0x1
	v_cmp_gt_i64_e32 vcc_lo, v[2:3], v[12:13]
	v_cndmask_b32_e64 v16, 0, 1, vcc_lo
	v_cmp_gt_i64_e32 vcc_lo, v[2:3], v[14:15]
	ds_load_2addr_b64 v[12:15], v7 offset0:6 offset1:7
	v_mov_b32_e32 v19, s23
	s_delay_alu instid0(VALU_DEP_1) | instskip(SKIP_4) | instid1(VALU_DEP_4)
	v_add_nc_u64_e32 v[4:5], v[4:5], v[18:19]
	v_cndmask_b32_e64 v18, 0, 1, vcc_lo
	s_wait_dscnt 0x1
	v_cmp_gt_i64_e32 vcc_lo, v[2:3], v[8:9]
	v_mov_b32_e32 v9, s23
	v_add_nc_u64_e32 v[4:5], v[4:5], v[16:17]
	v_cndmask_b32_e64 v16, 0, 1, vcc_lo
	v_cmp_gt_i64_e32 vcc_lo, v[2:3], v[10:11]
	v_mov_b32_e32 v11, s23
	s_delay_alu instid0(VALU_DEP_4) | instskip(SKIP_3) | instid1(VALU_DEP_3)
	v_add_nc_u64_e32 v[4:5], v[4:5], v[18:19]
	v_cndmask_b32_e64 v8, 0, 1, vcc_lo
	s_wait_dscnt 0x0
	v_cmp_gt_i64_e32 vcc_lo, v[2:3], v[12:13]
	v_add_nc_u64_e32 v[4:5], v[4:5], v[16:17]
	v_cndmask_b32_e64 v10, 0, 1, vcc_lo
	v_cmp_gt_i64_e32 vcc_lo, v[2:3], v[14:15]
	s_delay_alu instid0(VALU_DEP_3) | instskip(SKIP_1) | instid1(VALU_DEP_2)
	v_add_nc_u64_e32 v[4:5], v[4:5], v[8:9]
	v_cndmask_b32_e64 v8, 0, 1, vcc_lo
	v_add_nc_u64_e32 v[4:5], v[4:5], v[10:11]
	s_delay_alu instid0(VALU_DEP_1)
	v_add_nc_u64_e32 v[4:5], v[4:5], v[8:9]
	s_cbranch_scc0 .LBB143_60
; %bb.61:                               ;   in Loop: Header=BB143_58 Depth=1
	s_mov_b64 s[8:9], s[2:3]
.LBB143_62:                             ;   in Loop: Header=BB143_58 Depth=1
	s_and_not1_b32 vcc_lo, exec_lo, s11
	s_cbranch_vccnz .LBB143_57
; %bb.63:                               ;   in Loop: Header=BB143_58 Depth=1
	s_lshl_b32 s8, s8, 3
	s_delay_alu instid0(SALU_CYCLE_1)
	s_add_co_i32 s13, s8, 0
	s_mov_b64 s[8:9], s[6:7]
.LBB143_64:                             ;   Parent Loop BB143_58 Depth=1
                                        ; =>  This Inner Loop Header: Depth=2
	v_dual_mov_b32 v7, s13 :: v_dual_mov_b32 v11, s23
	s_add_nc_u64 s[8:9], s[8:9], -1
	s_add_co_i32 s13, s13, 8
	s_cmp_lg_u64 s[8:9], 0
	ds_load_b64 v[8:9], v7
	s_wait_dscnt 0x0
	v_cmp_gt_i64_e32 vcc_lo, v[2:3], v[8:9]
	v_cndmask_b32_e64 v10, 0, 1, vcc_lo
	s_delay_alu instid0(VALU_DEP_1)
	v_add_nc_u64_e32 v[4:5], v[4:5], v[10:11]
	s_cbranch_scc1 .LBB143_64
	s_branch .LBB143_57
.LBB143_65:
	s_endpgm
	.section	.rodata,"a",@progbits
	.p2align	6, 0x0
	.amdhsa_kernel _ZN9rocsparseL41csrgemm_numeric_fill_block_per_row_kernelILj128ELj16ELj256ELj137ELj64Ell21rocsparse_complex_numIdEEEvT5_PKS3_S5_NS_24const_host_device_scalarIT6_EEPKT4_S5_PKS7_SB_S5_SD_S8_SB_S5_SD_SB_S5_PS7_21rocsparse_index_base_SF_SF_SF_bbb
		.amdhsa_group_segment_fixed_size 0
		.amdhsa_private_segment_fixed_size 40
		.amdhsa_kernarg_size 172
		.amdhsa_user_sgpr_count 2
		.amdhsa_user_sgpr_dispatch_ptr 0
		.amdhsa_user_sgpr_queue_ptr 0
		.amdhsa_user_sgpr_kernarg_segment_ptr 1
		.amdhsa_user_sgpr_dispatch_id 0
		.amdhsa_user_sgpr_kernarg_preload_length 0
		.amdhsa_user_sgpr_kernarg_preload_offset 0
		.amdhsa_user_sgpr_private_segment_size 0
		.amdhsa_wavefront_size32 1
		.amdhsa_uses_dynamic_stack 0
		.amdhsa_enable_private_segment 1
		.amdhsa_system_sgpr_workgroup_id_x 1
		.amdhsa_system_sgpr_workgroup_id_y 0
		.amdhsa_system_sgpr_workgroup_id_z 0
		.amdhsa_system_sgpr_workgroup_info 0
		.amdhsa_system_vgpr_workitem_id 0
		.amdhsa_next_free_vgpr 38
		.amdhsa_next_free_sgpr 46
		.amdhsa_named_barrier_count 0
		.amdhsa_reserve_vcc 1
		.amdhsa_float_round_mode_32 0
		.amdhsa_float_round_mode_16_64 0
		.amdhsa_float_denorm_mode_32 3
		.amdhsa_float_denorm_mode_16_64 3
		.amdhsa_fp16_overflow 0
		.amdhsa_memory_ordered 1
		.amdhsa_forward_progress 1
		.amdhsa_inst_pref_size 23
		.amdhsa_round_robin_scheduling 0
		.amdhsa_exception_fp_ieee_invalid_op 0
		.amdhsa_exception_fp_denorm_src 0
		.amdhsa_exception_fp_ieee_div_zero 0
		.amdhsa_exception_fp_ieee_overflow 0
		.amdhsa_exception_fp_ieee_underflow 0
		.amdhsa_exception_fp_ieee_inexact 0
		.amdhsa_exception_int_div_zero 0
	.end_amdhsa_kernel
	.section	.text._ZN9rocsparseL41csrgemm_numeric_fill_block_per_row_kernelILj128ELj16ELj256ELj137ELj64Ell21rocsparse_complex_numIdEEEvT5_PKS3_S5_NS_24const_host_device_scalarIT6_EEPKT4_S5_PKS7_SB_S5_SD_S8_SB_S5_SD_SB_S5_PS7_21rocsparse_index_base_SF_SF_SF_bbb,"axG",@progbits,_ZN9rocsparseL41csrgemm_numeric_fill_block_per_row_kernelILj128ELj16ELj256ELj137ELj64Ell21rocsparse_complex_numIdEEEvT5_PKS3_S5_NS_24const_host_device_scalarIT6_EEPKT4_S5_PKS7_SB_S5_SD_S8_SB_S5_SD_SB_S5_PS7_21rocsparse_index_base_SF_SF_SF_bbb,comdat
.Lfunc_end143:
	.size	_ZN9rocsparseL41csrgemm_numeric_fill_block_per_row_kernelILj128ELj16ELj256ELj137ELj64Ell21rocsparse_complex_numIdEEEvT5_PKS3_S5_NS_24const_host_device_scalarIT6_EEPKT4_S5_PKS7_SB_S5_SD_S8_SB_S5_SD_SB_S5_PS7_21rocsparse_index_base_SF_SF_SF_bbb, .Lfunc_end143-_ZN9rocsparseL41csrgemm_numeric_fill_block_per_row_kernelILj128ELj16ELj256ELj137ELj64Ell21rocsparse_complex_numIdEEEvT5_PKS3_S5_NS_24const_host_device_scalarIT6_EEPKT4_S5_PKS7_SB_S5_SD_S8_SB_S5_SD_SB_S5_PS7_21rocsparse_index_base_SF_SF_SF_bbb
                                        ; -- End function
	.set _ZN9rocsparseL41csrgemm_numeric_fill_block_per_row_kernelILj128ELj16ELj256ELj137ELj64Ell21rocsparse_complex_numIdEEEvT5_PKS3_S5_NS_24const_host_device_scalarIT6_EEPKT4_S5_PKS7_SB_S5_SD_S8_SB_S5_SD_SB_S5_PS7_21rocsparse_index_base_SF_SF_SF_bbb.num_vgpr, 38
	.set _ZN9rocsparseL41csrgemm_numeric_fill_block_per_row_kernelILj128ELj16ELj256ELj137ELj64Ell21rocsparse_complex_numIdEEEvT5_PKS3_S5_NS_24const_host_device_scalarIT6_EEPKT4_S5_PKS7_SB_S5_SD_S8_SB_S5_SD_SB_S5_PS7_21rocsparse_index_base_SF_SF_SF_bbb.num_agpr, 0
	.set _ZN9rocsparseL41csrgemm_numeric_fill_block_per_row_kernelILj128ELj16ELj256ELj137ELj64Ell21rocsparse_complex_numIdEEEvT5_PKS3_S5_NS_24const_host_device_scalarIT6_EEPKT4_S5_PKS7_SB_S5_SD_S8_SB_S5_SD_SB_S5_PS7_21rocsparse_index_base_SF_SF_SF_bbb.numbered_sgpr, 46
	.set _ZN9rocsparseL41csrgemm_numeric_fill_block_per_row_kernelILj128ELj16ELj256ELj137ELj64Ell21rocsparse_complex_numIdEEEvT5_PKS3_S5_NS_24const_host_device_scalarIT6_EEPKT4_S5_PKS7_SB_S5_SD_S8_SB_S5_SD_SB_S5_PS7_21rocsparse_index_base_SF_SF_SF_bbb.num_named_barrier, 0
	.set _ZN9rocsparseL41csrgemm_numeric_fill_block_per_row_kernelILj128ELj16ELj256ELj137ELj64Ell21rocsparse_complex_numIdEEEvT5_PKS3_S5_NS_24const_host_device_scalarIT6_EEPKT4_S5_PKS7_SB_S5_SD_S8_SB_S5_SD_SB_S5_PS7_21rocsparse_index_base_SF_SF_SF_bbb.private_seg_size, 40
	.set _ZN9rocsparseL41csrgemm_numeric_fill_block_per_row_kernelILj128ELj16ELj256ELj137ELj64Ell21rocsparse_complex_numIdEEEvT5_PKS3_S5_NS_24const_host_device_scalarIT6_EEPKT4_S5_PKS7_SB_S5_SD_S8_SB_S5_SD_SB_S5_PS7_21rocsparse_index_base_SF_SF_SF_bbb.uses_vcc, 1
	.set _ZN9rocsparseL41csrgemm_numeric_fill_block_per_row_kernelILj128ELj16ELj256ELj137ELj64Ell21rocsparse_complex_numIdEEEvT5_PKS3_S5_NS_24const_host_device_scalarIT6_EEPKT4_S5_PKS7_SB_S5_SD_S8_SB_S5_SD_SB_S5_PS7_21rocsparse_index_base_SF_SF_SF_bbb.uses_flat_scratch, 1
	.set _ZN9rocsparseL41csrgemm_numeric_fill_block_per_row_kernelILj128ELj16ELj256ELj137ELj64Ell21rocsparse_complex_numIdEEEvT5_PKS3_S5_NS_24const_host_device_scalarIT6_EEPKT4_S5_PKS7_SB_S5_SD_S8_SB_S5_SD_SB_S5_PS7_21rocsparse_index_base_SF_SF_SF_bbb.has_dyn_sized_stack, 0
	.set _ZN9rocsparseL41csrgemm_numeric_fill_block_per_row_kernelILj128ELj16ELj256ELj137ELj64Ell21rocsparse_complex_numIdEEEvT5_PKS3_S5_NS_24const_host_device_scalarIT6_EEPKT4_S5_PKS7_SB_S5_SD_S8_SB_S5_SD_SB_S5_PS7_21rocsparse_index_base_SF_SF_SF_bbb.has_recursion, 0
	.set _ZN9rocsparseL41csrgemm_numeric_fill_block_per_row_kernelILj128ELj16ELj256ELj137ELj64Ell21rocsparse_complex_numIdEEEvT5_PKS3_S5_NS_24const_host_device_scalarIT6_EEPKT4_S5_PKS7_SB_S5_SD_S8_SB_S5_SD_SB_S5_PS7_21rocsparse_index_base_SF_SF_SF_bbb.has_indirect_call, 0
	.section	.AMDGPU.csdata,"",@progbits
; Kernel info:
; codeLenInByte = 2944
; TotalNumSgprs: 48
; NumVgprs: 38
; ScratchSize: 40
; MemoryBound: 0
; FloatMode: 240
; IeeeMode: 1
; LDSByteSize: 0 bytes/workgroup (compile time only)
; SGPRBlocks: 0
; VGPRBlocks: 2
; NumSGPRsForWavesPerEU: 48
; NumVGPRsForWavesPerEU: 38
; NamedBarCnt: 0
; Occupancy: 16
; WaveLimiterHint : 1
; COMPUTE_PGM_RSRC2:SCRATCH_EN: 1
; COMPUTE_PGM_RSRC2:USER_SGPR: 2
; COMPUTE_PGM_RSRC2:TRAP_HANDLER: 0
; COMPUTE_PGM_RSRC2:TGID_X_EN: 1
; COMPUTE_PGM_RSRC2:TGID_Y_EN: 0
; COMPUTE_PGM_RSRC2:TGID_Z_EN: 0
; COMPUTE_PGM_RSRC2:TIDIG_COMP_CNT: 0
	.section	.text._ZN9rocsparseL41csrgemm_numeric_fill_block_per_row_kernelILj256ELj32ELj512ELj137ELj32Ell21rocsparse_complex_numIdEEEvT5_PKS3_S5_NS_24const_host_device_scalarIT6_EEPKT4_S5_PKS7_SB_S5_SD_S8_SB_S5_SD_SB_S5_PS7_21rocsparse_index_base_SF_SF_SF_bbb,"axG",@progbits,_ZN9rocsparseL41csrgemm_numeric_fill_block_per_row_kernelILj256ELj32ELj512ELj137ELj32Ell21rocsparse_complex_numIdEEEvT5_PKS3_S5_NS_24const_host_device_scalarIT6_EEPKT4_S5_PKS7_SB_S5_SD_S8_SB_S5_SD_SB_S5_PS7_21rocsparse_index_base_SF_SF_SF_bbb,comdat
	.globl	_ZN9rocsparseL41csrgemm_numeric_fill_block_per_row_kernelILj256ELj32ELj512ELj137ELj32Ell21rocsparse_complex_numIdEEEvT5_PKS3_S5_NS_24const_host_device_scalarIT6_EEPKT4_S5_PKS7_SB_S5_SD_S8_SB_S5_SD_SB_S5_PS7_21rocsparse_index_base_SF_SF_SF_bbb ; -- Begin function _ZN9rocsparseL41csrgemm_numeric_fill_block_per_row_kernelILj256ELj32ELj512ELj137ELj32Ell21rocsparse_complex_numIdEEEvT5_PKS3_S5_NS_24const_host_device_scalarIT6_EEPKT4_S5_PKS7_SB_S5_SD_S8_SB_S5_SD_SB_S5_PS7_21rocsparse_index_base_SF_SF_SF_bbb
	.p2align	8
	.type	_ZN9rocsparseL41csrgemm_numeric_fill_block_per_row_kernelILj256ELj32ELj512ELj137ELj32Ell21rocsparse_complex_numIdEEEvT5_PKS3_S5_NS_24const_host_device_scalarIT6_EEPKT4_S5_PKS7_SB_S5_SD_S8_SB_S5_SD_SB_S5_PS7_21rocsparse_index_base_SF_SF_SF_bbb,@function
_ZN9rocsparseL41csrgemm_numeric_fill_block_per_row_kernelILj256ELj32ELj512ELj137ELj32Ell21rocsparse_complex_numIdEEEvT5_PKS3_S5_NS_24const_host_device_scalarIT6_EEPKT4_S5_PKS7_SB_S5_SD_S8_SB_S5_SD_SB_S5_PS7_21rocsparse_index_base_SF_SF_SF_bbb: ; @_ZN9rocsparseL41csrgemm_numeric_fill_block_per_row_kernelILj256ELj32ELj512ELj137ELj32Ell21rocsparse_complex_numIdEEEvT5_PKS3_S5_NS_24const_host_device_scalarIT6_EEPKT4_S5_PKS7_SB_S5_SD_S8_SB_S5_SD_SB_S5_PS7_21rocsparse_index_base_SF_SF_SF_bbb
; %bb.0:
	s_clause 0x2
	s_load_b32 s13, s[0:1], 0xa8
	s_load_b128 s[8:11], s[0:1], 0x18
	s_load_b128 s[4:7], s[0:1], 0x58
	v_mov_b64_e32 v[6:7], 0
	v_mov_b64_e32 v[12:13], 0
	;; [unrolled: 1-line block ×3, first 2 shown]
	v_mbcnt_lo_u32_b32 v38, -1, 0
	s_wait_kmcnt 0x0
	s_bitcmp1_b32 s13, 0
	v_mov_b64_e32 v[2:3], s[8:9]
	s_cselect_b32 s33, -1, 0
	s_bitcmp1_b32 s13, 16
	v_mov_b64_e32 v[4:5], s[4:5]
	s_cselect_b32 s2, -1, 0
	s_clause 0x1
	scratch_store_b64 off, v[2:3], off offset:16
	scratch_store_b64 off, v[4:5], off offset:24
	s_xor_b32 s12, s2, -1
	s_bitcmp0_b32 s13, 0
	v_cndmask_b32_e64 v1, 0, 1, s12
	s_delay_alu instid0(VALU_DEP_1)
	v_cmp_ne_u32_e32 vcc_lo, 1, v1
	s_cbranch_scc1 .LBB144_3
; %bb.1:
	s_wait_xcnt 0x1
	v_dual_mov_b32 v2, 16 :: v_dual_lshlrev_b32 v3, 20, v38
	v_mov_b64_e32 v[14:15], s[10:11]
	s_and_b32 vcc_lo, exec_lo, vcc_lo
	s_delay_alu instid0(VALU_DEP_2) | instskip(NEXT) | instid1(VALU_DEP_1)
	v_add_nc_u64_e32 v[2:3], src_flat_scratch_base_lo, v[2:3]
	v_cndmask_b32_e64 v3, s9, v3, s2
	s_delay_alu instid0(VALU_DEP_2)
	v_cndmask_b32_e64 v2, s8, v2, s2
	flat_load_b64 v[12:13], v[2:3]
	s_cbranch_vccnz .LBB144_3
; %bb.2:
	v_mov_b32_e32 v1, 0
	flat_load_b64 v[14:15], v1, s[8:9] offset:8
.LBB144_3:
	s_load_b128 s[20:23], s[0:1], 0x98
	v_mov_b64_e32 v[8:9], 0
	s_bitcmp1_b32 s13, 8
	s_cselect_b32 s3, -1, 0
	s_bfe_u32 s8, s13, 0x10008
	s_delay_alu instid0(SALU_CYCLE_1)
	s_cmp_eq_u32 s8, 0
	s_cbranch_scc1 .LBB144_6
; %bb.4:
	v_dual_mov_b32 v2, 24 :: v_dual_lshlrev_b32 v3, 20, v38
	v_mov_b64_e32 v[6:7], s[6:7]
	s_and_not1_b32 vcc_lo, exec_lo, s12
	s_delay_alu instid0(VALU_DEP_2) | instskip(NEXT) | instid1(VALU_DEP_1)
	v_add_nc_u64_e32 v[2:3], src_flat_scratch_base_lo, v[2:3]
	v_cndmask_b32_e64 v3, s5, v3, s2
	s_delay_alu instid0(VALU_DEP_2)
	v_cndmask_b32_e64 v2, s4, v2, s2
	flat_load_b64 v[8:9], v[2:3]
	s_cbranch_vccnz .LBB144_6
; %bb.5:
	v_mov_b32_e32 v1, 0
	flat_load_b64 v[6:7], v1, s[4:5] offset:8
.LBB144_6:
	s_load_b128 s[24:27], s[0:1], 0x0
	v_cmp_gt_u32_e64 s2, 0x200, v0
	v_lshlrev_b32_e32 v39, 4, v0
	v_or_b32_e32 v36, 0xffffff00, v0
	v_lshl_add_u32 v37, v0, 3, 0
	s_and_saveexec_b32 s6, s2
	s_cbranch_execz .LBB144_9
; %bb.7:
	s_mov_b32 s4, 0
	s_wait_kmcnt 0x0
	v_mov_b64_e32 v[2:3], s[24:25]
	s_mov_b32 s5, s4
	s_mov_b32 s8, s4
	;; [unrolled: 1-line block ×3, first 2 shown]
	v_mov_b64_e32 v[4:5], s[4:5]
	v_mov_b64_e32 v[10:11], s[8:9]
	v_add3_u32 v1, v39, 0, 0x1000
	v_or_b32_e32 v16, 0xffffff00, v0
	v_lshl_add_u32 v17, v0, 3, 0
.LBB144_8:                              ; =>This Inner Loop Header: Depth=1
	s_delay_alu instid0(VALU_DEP_2)
	v_add_co_u32 v16, s5, 0x100, v16
	s_xor_b32 s5, s5, -1
	ds_store_b64 v17, v[2:3]
	ds_store_2addr_b64 v1, v[4:5], v[10:11] offset1:1
	v_add_nc_u32_e32 v1, 0x1000, v1
	v_add_nc_u32_e32 v17, 0x800, v17
	s_and_b32 s5, exec_lo, s5
	s_delay_alu instid0(SALU_CYCLE_1) | instskip(NEXT) | instid1(SALU_CYCLE_1)
	s_or_b32 s4, s5, s4
	s_and_not1_b32 exec_lo, exec_lo, s4
	s_cbranch_execnz .LBB144_8
.LBB144_9:
	s_or_b32 exec_lo, exec_lo, s6
	s_clause 0x4
	s_load_b64 s[34:35], s[0:1], 0x90
	s_load_b256 s[4:11], s[0:1], 0x68
	s_load_b128 s[28:31], s[0:1], 0x48
	s_load_b64 s[36:37], s[0:1], 0x10
	s_load_b256 s[12:19], s[0:1], 0x28
	s_wait_storecnt 0x0
	s_wait_loadcnt_dscnt 0x0
	s_barrier_signal -1
	s_barrier_wait -1
	s_wait_kmcnt 0x0
	s_load_b64 s[0:1], s[26:27], 0x0
	s_wait_xcnt 0x0
	s_bfe_u32 s26, ttmp6, 0x4000c
	s_and_b32 s27, ttmp6, 15
	s_add_co_i32 s26, s26, 1
	s_getreg_b32 s38, hwreg(HW_REG_IB_STS2, 6, 4)
	s_mul_i32 s26, ttmp9, s26
	v_lshrrev_b32_e32 v10, 5, v0
	s_add_co_i32 s27, s27, s26
	s_wait_kmcnt 0x0
	s_lshl_b64 s[0:1], s[0:1], 3
	s_cmp_eq_u32 s38, 0
	s_add_nc_u64 s[0:1], s[36:37], s[0:1]
	s_cselect_b32 s26, ttmp9, s27
	s_and_b32 vcc_lo, exec_lo, s33
	s_load_b64 s[26:27], s[0:1], s26 offset:0x0 scale_offset
	s_wait_xcnt 0x0
	s_mov_b32 s1, 0
	s_cbranch_vccz .LBB144_29
; %bb.10:
	s_wait_kmcnt 0x0
	s_lshl_b64 s[36:37], s[26:27], 3
	v_mov_b32_e32 v11, 0
	s_add_nc_u64 s[12:13], s[12:13], s[36:37]
	s_mov_b32 s0, s20
	s_load_b128 s[36:39], s[12:13], 0x0
	s_mov_b32 s20, exec_lo
	v_sub_nc_u64_e64 v[2:3], v[10:11], s[0:1]
	s_wait_kmcnt 0x0
	s_delay_alu instid0(VALU_DEP_1)
	v_add_nc_u64_e32 v[16:17], s[36:37], v[2:3]
	s_sub_nc_u64 s[12:13], s[38:39], s[0:1]
	s_delay_alu instid0(VALU_DEP_1) | instid1(SALU_CYCLE_1)
	v_cmpx_gt_i64_e64 s[12:13], v[16:17]
	s_cbranch_execz .LBB144_28
; %bb.11:
	v_dual_mov_b32 v3, v11 :: v_dual_bitop2_b32 v2, 31, v0 bitop3:0x40
	s_mov_b32 s37, 0
	s_mov_b32 s36, s21
	;; [unrolled: 1-line block ×3, first 2 shown]
	s_delay_alu instid0(VALU_DEP_1)
	v_sub_nc_u64_e64 v[18:19], v[2:3], s[36:37]
	s_branch .LBB144_13
.LBB144_12:                             ;   in Loop: Header=BB144_13 Depth=1
	s_or_b32 exec_lo, exec_lo, s33
	v_add_nc_u64_e32 v[16:17], 8, v[16:17]
	s_delay_alu instid0(VALU_DEP_1) | instskip(SKIP_1) | instid1(SALU_CYCLE_1)
	v_cmp_le_i64_e32 vcc_lo, s[12:13], v[16:17]
	s_or_b32 s21, vcc_lo, s21
	s_and_not1_b32 exec_lo, exec_lo, s21
	s_cbranch_execz .LBB144_28
.LBB144_13:                             ; =>This Loop Header: Depth=1
                                        ;     Child Loop BB144_17 Depth 2
                                        ;       Child Loop BB144_20 Depth 3
	v_lshl_add_u64 v[2:3], v[16:17], 3, s[14:15]
	s_mov_b32 s33, exec_lo
	global_load_b64 v[2:3], v[2:3], off
	s_wait_loadcnt 0x0
	s_wait_xcnt 0x0
	v_sub_nc_u64_e64 v[2:3], v[2:3], s[0:1]
	s_delay_alu instid0(VALU_DEP_1)
	v_lshl_add_u64 v[2:3], v[2:3], 3, s[18:19]
	global_load_b128 v[2:5], v[2:3], off
	s_wait_loadcnt 0x0
	v_sub_nc_u64_e64 v[20:21], v[4:5], s[36:37]
	v_add_nc_u64_e32 v[22:23], v[2:3], v[18:19]
	s_wait_xcnt 0x0
	s_delay_alu instid0(VALU_DEP_1)
	v_cmpx_lt_i64_e64 v[22:23], v[20:21]
	s_cbranch_execz .LBB144_12
; %bb.14:                               ;   in Loop: Header=BB144_13 Depth=1
	v_lshl_add_u64 v[2:3], v[16:17], 4, s[16:17]
	s_mov_b32 s38, 0
	global_load_b128 v[2:5], v[2:3], off
	s_wait_loadcnt 0x0
	v_mul_f64_e64 v[24:25], v[4:5], -v[14:15]
	v_mul_f64_e32 v[26:27], v[12:13], v[4:5]
	s_delay_alu instid0(VALU_DEP_2) | instskip(NEXT) | instid1(VALU_DEP_2)
	v_fmac_f64_e32 v[24:25], v[12:13], v[2:3]
	v_fmac_f64_e32 v[26:27], v[14:15], v[2:3]
	s_branch .LBB144_17
.LBB144_15:                             ;   in Loop: Header=BB144_17 Depth=2
	s_or_b32 exec_lo, exec_lo, s40
.LBB144_16:                             ;   in Loop: Header=BB144_17 Depth=2
	s_delay_alu instid0(SALU_CYCLE_1)
	s_or_b32 exec_lo, exec_lo, s39
	s_wait_loadcnt 0x0
	v_mul_f64_e64 v[30:31], v[4:5], -v[26:27]
	v_mul_f64_e32 v[4:5], v[24:25], v[4:5]
	v_lshl_add_u32 v1, v28, 4, 0
	v_add_nc_u64_e32 v[22:23], 32, v[22:23]
	s_delay_alu instid0(VALU_DEP_1)
	v_cmp_ge_i64_e32 vcc_lo, v[22:23], v[20:21]
	s_or_b32 s38, vcc_lo, s38
	v_fmac_f64_e32 v[30:31], v[24:25], v[2:3]
	v_fmac_f64_e32 v[4:5], v[26:27], v[2:3]
	ds_add_f64 v1, v[30:31] offset:4096
	ds_add_f64 v1, v[4:5] offset:4104
	s_and_not1_b32 exec_lo, exec_lo, s38
	s_cbranch_execz .LBB144_12
.LBB144_17:                             ;   Parent Loop BB144_13 Depth=1
                                        ; =>  This Loop Header: Depth=2
                                        ;       Child Loop BB144_20 Depth 3
	s_wait_xcnt 0x0
	v_lshl_add_u64 v[2:3], v[22:23], 3, s[28:29]
	s_mov_b32 s39, exec_lo
	global_load_b64 v[28:29], v[2:3], off
	s_wait_xcnt 0x0
	v_lshl_add_u64 v[2:3], v[22:23], 4, s[30:31]
	global_load_b128 v[2:5], v[2:3], off
	s_wait_loadcnt 0x1
	v_sub_nc_u64_e64 v[30:31], v[28:29], s[36:37]
	s_delay_alu instid0(VALU_DEP_1) | instskip(NEXT) | instid1(VALU_DEP_1)
	v_mul_lo_u32 v1, 0x89, v30
	v_and_b32_e32 v28, 0x1ff, v1
	s_delay_alu instid0(VALU_DEP_1)
	v_lshl_add_u32 v1, v28, 3, 0
	ds_load_b64 v[34:35], v1
	s_wait_dscnt 0x0
	s_wait_xcnt 0x0
	v_cmpx_ne_u64_e64 v[34:35], v[30:31]
	s_cbranch_execz .LBB144_16
; %bb.18:                               ;   in Loop: Header=BB144_17 Depth=2
	s_mov_b32 s40, 0
                                        ; implicit-def: $sgpr41
                                        ; implicit-def: $sgpr42
	s_branch .LBB144_20
.LBB144_19:                             ;   in Loop: Header=BB144_20 Depth=3
	s_or_b32 exec_lo, exec_lo, s45
	s_delay_alu instid0(SALU_CYCLE_1) | instskip(NEXT) | instid1(SALU_CYCLE_1)
	s_and_b32 s43, exec_lo, s44
	s_or_b32 s40, s43, s40
	s_and_not1_b32 s41, s41, exec_lo
	s_and_b32 s43, s42, exec_lo
	s_delay_alu instid0(SALU_CYCLE_1)
	s_or_b32 s41, s41, s43
	s_and_not1_b32 exec_lo, exec_lo, s40
	s_cbranch_execz .LBB144_26
.LBB144_20:                             ;   Parent Loop BB144_13 Depth=1
                                        ;     Parent Loop BB144_17 Depth=2
                                        ; =>    This Inner Loop Header: Depth=3
	v_mov_b64_e32 v[32:33], v[28:29]
	s_mov_b32 s43, 0
	s_mov_b32 s44, exec_lo
                                        ; implicit-def: $vgpr28_vgpr29
	v_cmpx_ne_u64_e64 s[24:25], v[34:35]
	s_xor_b32 s44, exec_lo, s44
; %bb.21:                               ;   in Loop: Header=BB144_20 Depth=3
	s_delay_alu instid0(VALU_DEP_2) | instskip(SKIP_1) | instid1(VALU_DEP_1)
	v_add_nc_u32_e32 v1, 1, v32
	s_mov_b32 s43, exec_lo
	v_and_b32_e32 v28, 0x1ff, v1
                                        ; implicit-def: $vgpr1
; %bb.22:                               ;   in Loop: Header=BB144_20 Depth=3
	s_and_not1_saveexec_b32 s44, s44
	s_cbranch_execz .LBB144_24
; %bb.23:                               ;   in Loop: Header=BB144_20 Depth=3
	v_mov_b64_e32 v[28:29], s[24:25]
	s_and_not1_b32 s43, s43, exec_lo
	ds_cmpstore_rtn_b64 v[28:29], v1, v[30:31], v[28:29]
	s_wait_dscnt 0x0
	v_cmp_ne_u64_e32 vcc_lo, s[24:25], v[28:29]
	v_mov_b64_e32 v[28:29], v[32:33]
	s_and_b32 s45, vcc_lo, exec_lo
	s_delay_alu instid0(SALU_CYCLE_1)
	s_or_b32 s43, s43, s45
.LBB144_24:                             ;   in Loop: Header=BB144_20 Depth=3
	s_or_b32 exec_lo, exec_lo, s44
	s_mov_b32 s44, -1
	s_or_b32 s42, s42, exec_lo
                                        ; implicit-def: $vgpr1
                                        ; implicit-def: $vgpr34_vgpr35
	s_and_saveexec_b32 s45, s43
	s_cbranch_execz .LBB144_19
; %bb.25:                               ;   in Loop: Header=BB144_20 Depth=3
	v_lshl_add_u32 v1, v28, 3, 0
	s_and_not1_b32 s42, s42, exec_lo
	ds_load_b64 v[34:35], v1
	s_wait_dscnt 0x0
	v_cmp_eq_u64_e32 vcc_lo, v[34:35], v[30:31]
	s_or_not1_b32 s44, vcc_lo, exec_lo
	s_branch .LBB144_19
.LBB144_26:                             ;   in Loop: Header=BB144_17 Depth=2
	s_or_b32 exec_lo, exec_lo, s40
	s_and_saveexec_b32 s40, s41
	s_delay_alu instid0(SALU_CYCLE_1)
	s_xor_b32 s40, exec_lo, s40
	s_cbranch_execz .LBB144_15
; %bb.27:                               ;   in Loop: Header=BB144_17 Depth=2
	v_mov_b32_e32 v28, v32
	s_branch .LBB144_15
.LBB144_28:
	s_or_b32 exec_lo, exec_lo, s20
.LBB144_29:
	s_delay_alu instid0(SALU_CYCLE_1)
	s_and_not1_b32 vcc_lo, exec_lo, s3
	s_cbranch_vccnz .LBB144_46
; %bb.30:
	s_wait_kmcnt 0x0
	s_lshl_b64 s[0:1], s[26:27], 3
	v_mov_b32_e32 v1, 0
	s_add_nc_u64 s[0:1], s[4:5], s[0:1]
	s_mov_b32 s3, exec_lo
	s_load_b128 s[12:15], s[0:1], 0x0
	s_wait_xcnt 0x0
	s_mov_b32 s1, 0
	s_mov_b32 s0, s23
	s_delay_alu instid0(SALU_CYCLE_1) | instskip(SKIP_1) | instid1(VALU_DEP_1)
	v_sub_nc_u64_e64 v[2:3], v[0:1], s[0:1]
	s_wait_kmcnt 0x0
	v_add_nc_u64_e32 v[12:13], s[12:13], v[2:3]
	s_sub_nc_u64 s[4:5], s[14:15], s[0:1]
	s_delay_alu instid0(VALU_DEP_1) | instid1(SALU_CYCLE_1)
	v_cmpx_gt_i64_e64 s[4:5], v[12:13]
	s_cbranch_execz .LBB144_45
; %bb.31:
	s_mov_b32 s12, s1
	s_branch .LBB144_34
.LBB144_32:                             ;   in Loop: Header=BB144_34 Depth=1
	s_or_b32 exec_lo, exec_lo, s14
.LBB144_33:                             ;   in Loop: Header=BB144_34 Depth=1
	s_delay_alu instid0(SALU_CYCLE_1)
	s_or_b32 exec_lo, exec_lo, s13
	s_wait_loadcnt 0x0
	v_mul_f64_e64 v[16:17], v[4:5], -v[6:7]
	v_mul_f64_e32 v[4:5], v[8:9], v[4:5]
	v_lshl_add_u32 v1, v14, 4, 0
	v_add_nc_u64_e32 v[12:13], 0x100, v[12:13]
	s_delay_alu instid0(VALU_DEP_1)
	v_cmp_le_i64_e32 vcc_lo, s[4:5], v[12:13]
	s_or_b32 s12, vcc_lo, s12
	v_fmac_f64_e32 v[16:17], v[8:9], v[2:3]
	v_fmac_f64_e32 v[4:5], v[6:7], v[2:3]
	ds_add_f64 v1, v[16:17] offset:4096
	ds_add_f64 v1, v[4:5] offset:4104
	s_and_not1_b32 exec_lo, exec_lo, s12
	s_cbranch_execz .LBB144_45
.LBB144_34:                             ; =>This Loop Header: Depth=1
                                        ;     Child Loop BB144_37 Depth 2
	v_lshl_add_u64 v[2:3], v[12:13], 3, s[6:7]
	s_mov_b32 s13, exec_lo
	global_load_b64 v[14:15], v[2:3], off
	s_wait_xcnt 0x0
	v_lshl_add_u64 v[2:3], v[12:13], 4, s[8:9]
	global_load_b128 v[2:5], v[2:3], off
	s_wait_loadcnt 0x1
	v_sub_nc_u64_e64 v[16:17], v[14:15], s[0:1]
	s_delay_alu instid0(VALU_DEP_1) | instskip(NEXT) | instid1(VALU_DEP_1)
	v_mul_lo_u32 v1, 0x89, v16
	v_and_b32_e32 v14, 0x1ff, v1
	s_delay_alu instid0(VALU_DEP_1)
	v_lshl_add_u32 v1, v14, 3, 0
	ds_load_b64 v[20:21], v1
	s_wait_dscnt 0x0
	s_wait_xcnt 0x0
	v_cmpx_ne_u64_e64 v[20:21], v[16:17]
	s_cbranch_execz .LBB144_33
; %bb.35:                               ;   in Loop: Header=BB144_34 Depth=1
	s_mov_b32 s14, 0
                                        ; implicit-def: $sgpr15
                                        ; implicit-def: $sgpr16
	s_branch .LBB144_37
.LBB144_36:                             ;   in Loop: Header=BB144_37 Depth=2
	s_or_b32 exec_lo, exec_lo, s19
	s_delay_alu instid0(SALU_CYCLE_1) | instskip(NEXT) | instid1(SALU_CYCLE_1)
	s_and_b32 s17, exec_lo, s18
	s_or_b32 s14, s17, s14
	s_and_not1_b32 s15, s15, exec_lo
	s_and_b32 s17, s16, exec_lo
	s_delay_alu instid0(SALU_CYCLE_1)
	s_or_b32 s15, s15, s17
	s_and_not1_b32 exec_lo, exec_lo, s14
	s_cbranch_execz .LBB144_43
.LBB144_37:                             ;   Parent Loop BB144_34 Depth=1
                                        ; =>  This Inner Loop Header: Depth=2
	v_mov_b64_e32 v[18:19], v[14:15]
	s_mov_b32 s17, 0
	s_mov_b32 s18, exec_lo
                                        ; implicit-def: $vgpr14_vgpr15
	v_cmpx_ne_u64_e64 s[24:25], v[20:21]
	s_xor_b32 s18, exec_lo, s18
; %bb.38:                               ;   in Loop: Header=BB144_37 Depth=2
	s_delay_alu instid0(VALU_DEP_2) | instskip(SKIP_1) | instid1(VALU_DEP_1)
	v_add_nc_u32_e32 v1, 1, v18
	s_mov_b32 s17, exec_lo
	v_and_b32_e32 v14, 0x1ff, v1
                                        ; implicit-def: $vgpr1
; %bb.39:                               ;   in Loop: Header=BB144_37 Depth=2
	s_and_not1_saveexec_b32 s18, s18
	s_cbranch_execz .LBB144_41
; %bb.40:                               ;   in Loop: Header=BB144_37 Depth=2
	v_mov_b64_e32 v[14:15], s[24:25]
	s_and_not1_b32 s17, s17, exec_lo
	ds_cmpstore_rtn_b64 v[14:15], v1, v[16:17], v[14:15]
	s_wait_dscnt 0x0
	v_cmp_ne_u64_e32 vcc_lo, s[24:25], v[14:15]
	v_mov_b64_e32 v[14:15], v[18:19]
	s_and_b32 s19, vcc_lo, exec_lo
	s_delay_alu instid0(SALU_CYCLE_1)
	s_or_b32 s17, s17, s19
.LBB144_41:                             ;   in Loop: Header=BB144_37 Depth=2
	s_or_b32 exec_lo, exec_lo, s18
	s_mov_b32 s18, -1
	s_or_b32 s16, s16, exec_lo
                                        ; implicit-def: $vgpr1
                                        ; implicit-def: $vgpr20_vgpr21
	s_and_saveexec_b32 s19, s17
	s_cbranch_execz .LBB144_36
; %bb.42:                               ;   in Loop: Header=BB144_37 Depth=2
	v_lshl_add_u32 v1, v14, 3, 0
	s_and_not1_b32 s16, s16, exec_lo
	ds_load_b64 v[20:21], v1
	s_wait_dscnt 0x0
	v_cmp_eq_u64_e32 vcc_lo, v[20:21], v[16:17]
	s_or_not1_b32 s18, vcc_lo, exec_lo
	s_branch .LBB144_36
.LBB144_43:                             ;   in Loop: Header=BB144_34 Depth=1
	s_or_b32 exec_lo, exec_lo, s14
	s_and_saveexec_b32 s14, s15
	s_delay_alu instid0(SALU_CYCLE_1)
	s_xor_b32 s14, exec_lo, s14
	s_cbranch_execz .LBB144_32
; %bb.44:                               ;   in Loop: Header=BB144_34 Depth=1
	v_mov_b32_e32 v14, v18
	s_branch .LBB144_32
.LBB144_45:
	s_or_b32 exec_lo, exec_lo, s3
.LBB144_46:
	s_wait_dscnt 0x0
	s_barrier_signal -1
	s_barrier_wait -1
	s_and_saveexec_b32 s8, s2
	s_cbranch_execz .LBB144_67
; %bb.47:
	v_dual_mov_b32 v3, 0 :: v_dual_bitop2_b32 v2, 31, v38 bitop3:0x14
	v_mov_b64_e32 v[6:7], 0
	v_lshl_add_u32 v1, v10, 3, 0
	v_cmp_lt_u32_e64 s0, 31, v0
	s_delay_alu instid0(VALU_DEP_4)
	v_lshrrev_b32_e64 v4, v2, -1
	v_cmp_lt_u32_e64 s1, 63, v0
	v_cmp_lt_u32_e64 s2, 0x5f, v0
	;; [unrolled: 1-line block ×6, first 2 shown]
	v_add3_u32 v5, v39, 0, 0x1000
	s_mov_b32 s9, 0
	v_cmp_eq_u32_e32 vcc_lo, 0xff, v0
	s_branch .LBB144_49
.LBB144_48:                             ;   in Loop: Header=BB144_49 Depth=1
	s_or_b32 exec_lo, exec_lo, s7
	s_wait_dscnt 0x0
	s_barrier_signal -1
	s_barrier_wait -1
	ds_load_b64 v[8:9], v3 offset:12344
	v_add_co_u32 v36, s7, 0x100, v36
	s_xor_b32 s7, s7, -1
	v_add_nc_u32_e32 v5, 0x1000, v5
	v_add_nc_u32_e32 v37, 0x800, v37
	s_and_b32 s7, exec_lo, s7
	s_delay_alu instid0(SALU_CYCLE_1)
	s_or_b32 s9, s7, s9
	s_wait_dscnt 0x0
	v_add_nc_u64_e32 v[6:7], v[8:9], v[6:7]
	s_and_not1_b32 exec_lo, exec_lo, s9
	s_cbranch_execz .LBB144_67
.LBB144_49:                             ; =>This Inner Loop Header: Depth=1
	ds_load_b64 v[8:9], v37
	ds_load_2addr_b64 v[10:13], v5 offset1:1
	s_wait_dscnt 0x1
	v_cmp_gt_i64_e64 s7, s[24:25], v[8:9]
	s_wait_dscnt 0x0
	scratch_store_b128 off, v[10:13], off
	s_wait_storecnt 0x0
	s_barrier_signal -1
	s_barrier_wait -1
	s_bcnt1_i32_b32 s12, s7
	s_wait_xcnt 0x0
	v_dual_mov_b32 v2, s12 :: v_dual_bitop2_b32 v10, s7, v4 bitop3:0x40
	s_delay_alu instid0(VALU_DEP_1)
	v_bcnt_u32_b32 v10, v10, 0
	ds_store_b64 v1, v[2:3] offset:12288
	s_wait_dscnt 0x0
	s_barrier_signal -1
	s_barrier_wait -1
	s_and_saveexec_b32 s12, s0
	s_cbranch_execnz .LBB144_58
; %bb.50:                               ;   in Loop: Header=BB144_49 Depth=1
	s_or_b32 exec_lo, exec_lo, s12
	s_and_saveexec_b32 s12, s1
	s_cbranch_execnz .LBB144_59
.LBB144_51:                             ;   in Loop: Header=BB144_49 Depth=1
	s_or_b32 exec_lo, exec_lo, s12
	s_and_saveexec_b32 s12, s2
	s_cbranch_execnz .LBB144_60
.LBB144_52:                             ;   in Loop: Header=BB144_49 Depth=1
	s_or_b32 exec_lo, exec_lo, s12
	s_and_saveexec_b32 s12, s3
	s_cbranch_execnz .LBB144_61
.LBB144_53:                             ;   in Loop: Header=BB144_49 Depth=1
	s_or_b32 exec_lo, exec_lo, s12
	s_and_saveexec_b32 s12, s4
	s_cbranch_execnz .LBB144_62
.LBB144_54:                             ;   in Loop: Header=BB144_49 Depth=1
	s_or_b32 exec_lo, exec_lo, s12
	s_and_saveexec_b32 s12, s5
	s_cbranch_execnz .LBB144_63
.LBB144_55:                             ;   in Loop: Header=BB144_49 Depth=1
	s_or_b32 exec_lo, exec_lo, s12
	s_and_saveexec_b32 s12, s6
	s_cbranch_execnz .LBB144_64
.LBB144_56:                             ;   in Loop: Header=BB144_49 Depth=1
	s_or_b32 exec_lo, exec_lo, s12
	v_ashrrev_i32_e32 v11, 31, v10
	s_and_saveexec_b32 s12, s7
	s_cbranch_execnz .LBB144_65
.LBB144_57:                             ;   in Loop: Header=BB144_49 Depth=1
	s_or_b32 exec_lo, exec_lo, s12
	s_and_saveexec_b32 s7, vcc_lo
	s_cbranch_execz .LBB144_48
	s_branch .LBB144_66
.LBB144_58:                             ;   in Loop: Header=BB144_49 Depth=1
	ds_load_b32 v2, v3 offset:12288
	s_wait_dscnt 0x0
	v_add_nc_u32_e32 v10, v2, v10
	s_or_b32 exec_lo, exec_lo, s12
	s_and_saveexec_b32 s12, s1
	s_cbranch_execz .LBB144_51
.LBB144_59:                             ;   in Loop: Header=BB144_49 Depth=1
	ds_load_b32 v2, v3 offset:12296
	s_wait_dscnt 0x0
	v_add_nc_u32_e32 v10, v10, v2
	s_or_b32 exec_lo, exec_lo, s12
	s_and_saveexec_b32 s12, s2
	s_cbranch_execz .LBB144_52
.LBB144_60:                             ;   in Loop: Header=BB144_49 Depth=1
	ds_load_b32 v2, v3 offset:12304
	s_wait_dscnt 0x0
	v_add_nc_u32_e32 v10, v10, v2
	s_or_b32 exec_lo, exec_lo, s12
	s_and_saveexec_b32 s12, s3
	s_cbranch_execz .LBB144_53
.LBB144_61:                             ;   in Loop: Header=BB144_49 Depth=1
	ds_load_b32 v2, v3 offset:12312
	s_wait_dscnt 0x0
	v_add_nc_u32_e32 v10, v10, v2
	s_or_b32 exec_lo, exec_lo, s12
	s_and_saveexec_b32 s12, s4
	s_cbranch_execz .LBB144_54
.LBB144_62:                             ;   in Loop: Header=BB144_49 Depth=1
	ds_load_b32 v2, v3 offset:12320
	s_wait_dscnt 0x0
	v_add_nc_u32_e32 v10, v10, v2
	s_or_b32 exec_lo, exec_lo, s12
	s_and_saveexec_b32 s12, s5
	s_cbranch_execz .LBB144_55
.LBB144_63:                             ;   in Loop: Header=BB144_49 Depth=1
	ds_load_b32 v2, v3 offset:12328
	s_wait_dscnt 0x0
	v_add_nc_u32_e32 v10, v10, v2
	s_or_b32 exec_lo, exec_lo, s12
	s_and_saveexec_b32 s12, s6
	s_cbranch_execz .LBB144_56
.LBB144_64:                             ;   in Loop: Header=BB144_49 Depth=1
	ds_load_b32 v2, v3 offset:12336
	s_wait_dscnt 0x0
	v_add_nc_u32_e32 v10, v10, v2
	s_or_b32 exec_lo, exec_lo, s12
	s_delay_alu instid0(VALU_DEP_1)
	v_ashrrev_i32_e32 v11, 31, v10
	s_and_saveexec_b32 s12, s7
	s_cbranch_execz .LBB144_57
.LBB144_65:                             ;   in Loop: Header=BB144_49 Depth=1
	scratch_load_b128 v[12:15], off, off
	v_add3_u32 v2, v6, -1, v10
	v_add_lshl_u32 v16, v6, v10, 4
	s_delay_alu instid0(VALU_DEP_2) | instskip(NEXT) | instid1(VALU_DEP_2)
	v_lshl_add_u32 v2, v2, 3, 0
	v_add3_u32 v16, 0, v16, 0xff0
	ds_store_b64 v2, v[8:9]
	s_wait_loadcnt 0x0
	ds_store_2addr_b64 v16, v[12:13], v[14:15] offset1:1
	s_or_b32 exec_lo, exec_lo, s12
	s_and_saveexec_b32 s7, vcc_lo
	s_cbranch_execz .LBB144_48
.LBB144_66:                             ;   in Loop: Header=BB144_49 Depth=1
	ds_store_b64 v3, v[10:11] offset:12344
	s_branch .LBB144_48
.LBB144_67:
	s_or_b32 exec_lo, exec_lo, s8
	s_wait_kmcnt 0x0
	s_lshl_b64 s[0:1], s[26:27], 3
	v_mov_b32_e32 v1, 0
	s_add_nc_u64 s[4:5], s[10:11], s[0:1]
	s_mov_b32 s6, exec_lo
	s_load_b128 s[0:3], s[4:5], 0x0
	s_wait_kmcnt 0x0
	s_sub_nc_u64 s[4:5], s[2:3], s[0:1]
	s_delay_alu instid0(SALU_CYCLE_1)
	v_cmpx_gt_i64_e64 s[4:5], v[0:1]
	s_cbranch_execz .LBB144_77
; %bb.68:
	s_sub_nc_u64 s[8:9], s[0:1], s[2:3]
	s_and_b64 s[6:7], s[4:5], 7
	v_cmp_lt_u64_e64 s10, s[8:9], -7
	s_and_b64 s[2:3], s[4:5], -8
	s_mov_b32 s23, 0
	s_cmp_lg_u64 s[6:7], 0
	s_sub_nc_u64 s[0:1], s[0:1], s[22:23]
	s_cselect_b32 s11, -1, 0
	s_mov_b32 s12, 0
	s_branch .LBB144_70
.LBB144_69:                             ;   in Loop: Header=BB144_70 Depth=1
	s_wait_dscnt 0x0
	v_lshlrev_b32_e32 v2, 3, v0
	v_add_nc_u64_e32 v[0:1], 0x100, v[0:1]
	s_delay_alu instid0(VALU_DEP_2) | instskip(NEXT) | instid1(VALU_DEP_2)
	v_add3_u32 v2, v6, v2, 0x1000
	v_cmp_le_i64_e32 vcc_lo, s[4:5], v[0:1]
	ds_load_2addr_b64 v[6:9], v2 offset1:1
	v_lshl_add_u64 v[2:3], v[4:5], 4, s[34:35]
	s_or_b32 s12, vcc_lo, s12
	s_wait_dscnt 0x0
	global_store_b128 v[2:3], v[6:9], off
	s_wait_xcnt 0x0
	s_and_not1_b32 exec_lo, exec_lo, s12
	s_cbranch_execz .LBB144_77
.LBB144_70:                             ; =>This Loop Header: Depth=1
                                        ;     Child Loop BB144_72 Depth 2
                                        ;     Child Loop BB144_76 Depth 2
	v_lshl_add_u32 v6, v0, 3, 0
	v_mov_b64_e32 v[4:5], s[0:1]
	s_and_not1_b32 vcc_lo, exec_lo, s10
	s_mov_b64 s[8:9], 0
	ds_load_b64 v[2:3], v6
	s_cbranch_vccnz .LBB144_74
; %bb.71:                               ;   in Loop: Header=BB144_70 Depth=1
	v_mov_b64_e32 v[4:5], s[0:1]
	s_mov_b32 s13, 0
.LBB144_72:                             ;   Parent Loop BB144_70 Depth=1
                                        ; =>  This Inner Loop Header: Depth=2
	s_delay_alu instid0(SALU_CYCLE_1)
	v_dual_mov_b32 v7, s13 :: v_dual_mov_b32 v17, s23
	s_add_nc_u64 s[8:9], s[8:9], 8
	s_add_co_i32 s13, s13, 64
	s_cmp_eq_u64 s[2:3], s[8:9]
	ds_load_2addr_b64 v[8:11], v7 offset1:1
	ds_load_2addr_b64 v[12:15], v7 offset0:2 offset1:3
	s_wait_dscnt 0x1
	v_cmp_gt_i64_e32 vcc_lo, v[2:3], v[8:9]
	v_cndmask_b32_e64 v16, 0, 1, vcc_lo
	v_cmp_gt_i64_e32 vcc_lo, v[2:3], v[10:11]
	ds_load_2addr_b64 v[8:11], v7 offset0:4 offset1:5
	v_add_nc_u64_e32 v[4:5], v[4:5], v[16:17]
	v_cndmask_b32_e64 v18, 0, 1, vcc_lo
	s_wait_dscnt 0x1
	v_cmp_gt_i64_e32 vcc_lo, v[2:3], v[12:13]
	v_cndmask_b32_e64 v16, 0, 1, vcc_lo
	v_cmp_gt_i64_e32 vcc_lo, v[2:3], v[14:15]
	ds_load_2addr_b64 v[12:15], v7 offset0:6 offset1:7
	v_mov_b32_e32 v19, s23
	s_delay_alu instid0(VALU_DEP_1) | instskip(SKIP_4) | instid1(VALU_DEP_4)
	v_add_nc_u64_e32 v[4:5], v[4:5], v[18:19]
	v_cndmask_b32_e64 v18, 0, 1, vcc_lo
	s_wait_dscnt 0x1
	v_cmp_gt_i64_e32 vcc_lo, v[2:3], v[8:9]
	v_mov_b32_e32 v9, s23
	v_add_nc_u64_e32 v[4:5], v[4:5], v[16:17]
	v_cndmask_b32_e64 v16, 0, 1, vcc_lo
	v_cmp_gt_i64_e32 vcc_lo, v[2:3], v[10:11]
	v_mov_b32_e32 v11, s23
	s_delay_alu instid0(VALU_DEP_4) | instskip(SKIP_3) | instid1(VALU_DEP_3)
	v_add_nc_u64_e32 v[4:5], v[4:5], v[18:19]
	v_cndmask_b32_e64 v8, 0, 1, vcc_lo
	s_wait_dscnt 0x0
	v_cmp_gt_i64_e32 vcc_lo, v[2:3], v[12:13]
	v_add_nc_u64_e32 v[4:5], v[4:5], v[16:17]
	v_cndmask_b32_e64 v10, 0, 1, vcc_lo
	v_cmp_gt_i64_e32 vcc_lo, v[2:3], v[14:15]
	s_delay_alu instid0(VALU_DEP_3) | instskip(SKIP_1) | instid1(VALU_DEP_2)
	v_add_nc_u64_e32 v[4:5], v[4:5], v[8:9]
	v_cndmask_b32_e64 v8, 0, 1, vcc_lo
	v_add_nc_u64_e32 v[4:5], v[4:5], v[10:11]
	s_delay_alu instid0(VALU_DEP_1)
	v_add_nc_u64_e32 v[4:5], v[4:5], v[8:9]
	s_cbranch_scc0 .LBB144_72
; %bb.73:                               ;   in Loop: Header=BB144_70 Depth=1
	s_mov_b64 s[8:9], s[2:3]
.LBB144_74:                             ;   in Loop: Header=BB144_70 Depth=1
	s_and_not1_b32 vcc_lo, exec_lo, s11
	s_cbranch_vccnz .LBB144_69
; %bb.75:                               ;   in Loop: Header=BB144_70 Depth=1
	s_lshl_b32 s8, s8, 3
	s_delay_alu instid0(SALU_CYCLE_1)
	s_add_co_i32 s13, s8, 0
	s_mov_b64 s[8:9], s[6:7]
.LBB144_76:                             ;   Parent Loop BB144_70 Depth=1
                                        ; =>  This Inner Loop Header: Depth=2
	v_dual_mov_b32 v7, s13 :: v_dual_mov_b32 v11, s23
	s_add_nc_u64 s[8:9], s[8:9], -1
	s_add_co_i32 s13, s13, 8
	s_cmp_lg_u64 s[8:9], 0
	ds_load_b64 v[8:9], v7
	s_wait_dscnt 0x0
	v_cmp_gt_i64_e32 vcc_lo, v[2:3], v[8:9]
	v_cndmask_b32_e64 v10, 0, 1, vcc_lo
	s_delay_alu instid0(VALU_DEP_1)
	v_add_nc_u64_e32 v[4:5], v[4:5], v[10:11]
	s_cbranch_scc1 .LBB144_76
	s_branch .LBB144_69
.LBB144_77:
	s_endpgm
	.section	.rodata,"a",@progbits
	.p2align	6, 0x0
	.amdhsa_kernel _ZN9rocsparseL41csrgemm_numeric_fill_block_per_row_kernelILj256ELj32ELj512ELj137ELj32Ell21rocsparse_complex_numIdEEEvT5_PKS3_S5_NS_24const_host_device_scalarIT6_EEPKT4_S5_PKS7_SB_S5_SD_S8_SB_S5_SD_SB_S5_PS7_21rocsparse_index_base_SF_SF_SF_bbb
		.amdhsa_group_segment_fixed_size 0
		.amdhsa_private_segment_fixed_size 40
		.amdhsa_kernarg_size 172
		.amdhsa_user_sgpr_count 2
		.amdhsa_user_sgpr_dispatch_ptr 0
		.amdhsa_user_sgpr_queue_ptr 0
		.amdhsa_user_sgpr_kernarg_segment_ptr 1
		.amdhsa_user_sgpr_dispatch_id 0
		.amdhsa_user_sgpr_kernarg_preload_length 0
		.amdhsa_user_sgpr_kernarg_preload_offset 0
		.amdhsa_user_sgpr_private_segment_size 0
		.amdhsa_wavefront_size32 1
		.amdhsa_uses_dynamic_stack 0
		.amdhsa_enable_private_segment 1
		.amdhsa_system_sgpr_workgroup_id_x 1
		.amdhsa_system_sgpr_workgroup_id_y 0
		.amdhsa_system_sgpr_workgroup_id_z 0
		.amdhsa_system_sgpr_workgroup_info 0
		.amdhsa_system_vgpr_workitem_id 0
		.amdhsa_next_free_vgpr 40
		.amdhsa_next_free_sgpr 46
		.amdhsa_named_barrier_count 0
		.amdhsa_reserve_vcc 1
		.amdhsa_float_round_mode_32 0
		.amdhsa_float_round_mode_16_64 0
		.amdhsa_float_denorm_mode_32 3
		.amdhsa_float_denorm_mode_16_64 3
		.amdhsa_fp16_overflow 0
		.amdhsa_memory_ordered 1
		.amdhsa_forward_progress 1
		.amdhsa_inst_pref_size 26
		.amdhsa_round_robin_scheduling 0
		.amdhsa_exception_fp_ieee_invalid_op 0
		.amdhsa_exception_fp_denorm_src 0
		.amdhsa_exception_fp_ieee_div_zero 0
		.amdhsa_exception_fp_ieee_overflow 0
		.amdhsa_exception_fp_ieee_underflow 0
		.amdhsa_exception_fp_ieee_inexact 0
		.amdhsa_exception_int_div_zero 0
	.end_amdhsa_kernel
	.section	.text._ZN9rocsparseL41csrgemm_numeric_fill_block_per_row_kernelILj256ELj32ELj512ELj137ELj32Ell21rocsparse_complex_numIdEEEvT5_PKS3_S5_NS_24const_host_device_scalarIT6_EEPKT4_S5_PKS7_SB_S5_SD_S8_SB_S5_SD_SB_S5_PS7_21rocsparse_index_base_SF_SF_SF_bbb,"axG",@progbits,_ZN9rocsparseL41csrgemm_numeric_fill_block_per_row_kernelILj256ELj32ELj512ELj137ELj32Ell21rocsparse_complex_numIdEEEvT5_PKS3_S5_NS_24const_host_device_scalarIT6_EEPKT4_S5_PKS7_SB_S5_SD_S8_SB_S5_SD_SB_S5_PS7_21rocsparse_index_base_SF_SF_SF_bbb,comdat
.Lfunc_end144:
	.size	_ZN9rocsparseL41csrgemm_numeric_fill_block_per_row_kernelILj256ELj32ELj512ELj137ELj32Ell21rocsparse_complex_numIdEEEvT5_PKS3_S5_NS_24const_host_device_scalarIT6_EEPKT4_S5_PKS7_SB_S5_SD_S8_SB_S5_SD_SB_S5_PS7_21rocsparse_index_base_SF_SF_SF_bbb, .Lfunc_end144-_ZN9rocsparseL41csrgemm_numeric_fill_block_per_row_kernelILj256ELj32ELj512ELj137ELj32Ell21rocsparse_complex_numIdEEEvT5_PKS3_S5_NS_24const_host_device_scalarIT6_EEPKT4_S5_PKS7_SB_S5_SD_S8_SB_S5_SD_SB_S5_PS7_21rocsparse_index_base_SF_SF_SF_bbb
                                        ; -- End function
	.set _ZN9rocsparseL41csrgemm_numeric_fill_block_per_row_kernelILj256ELj32ELj512ELj137ELj32Ell21rocsparse_complex_numIdEEEvT5_PKS3_S5_NS_24const_host_device_scalarIT6_EEPKT4_S5_PKS7_SB_S5_SD_S8_SB_S5_SD_SB_S5_PS7_21rocsparse_index_base_SF_SF_SF_bbb.num_vgpr, 40
	.set _ZN9rocsparseL41csrgemm_numeric_fill_block_per_row_kernelILj256ELj32ELj512ELj137ELj32Ell21rocsparse_complex_numIdEEEvT5_PKS3_S5_NS_24const_host_device_scalarIT6_EEPKT4_S5_PKS7_SB_S5_SD_S8_SB_S5_SD_SB_S5_PS7_21rocsparse_index_base_SF_SF_SF_bbb.num_agpr, 0
	.set _ZN9rocsparseL41csrgemm_numeric_fill_block_per_row_kernelILj256ELj32ELj512ELj137ELj32Ell21rocsparse_complex_numIdEEEvT5_PKS3_S5_NS_24const_host_device_scalarIT6_EEPKT4_S5_PKS7_SB_S5_SD_S8_SB_S5_SD_SB_S5_PS7_21rocsparse_index_base_SF_SF_SF_bbb.numbered_sgpr, 46
	.set _ZN9rocsparseL41csrgemm_numeric_fill_block_per_row_kernelILj256ELj32ELj512ELj137ELj32Ell21rocsparse_complex_numIdEEEvT5_PKS3_S5_NS_24const_host_device_scalarIT6_EEPKT4_S5_PKS7_SB_S5_SD_S8_SB_S5_SD_SB_S5_PS7_21rocsparse_index_base_SF_SF_SF_bbb.num_named_barrier, 0
	.set _ZN9rocsparseL41csrgemm_numeric_fill_block_per_row_kernelILj256ELj32ELj512ELj137ELj32Ell21rocsparse_complex_numIdEEEvT5_PKS3_S5_NS_24const_host_device_scalarIT6_EEPKT4_S5_PKS7_SB_S5_SD_S8_SB_S5_SD_SB_S5_PS7_21rocsparse_index_base_SF_SF_SF_bbb.private_seg_size, 40
	.set _ZN9rocsparseL41csrgemm_numeric_fill_block_per_row_kernelILj256ELj32ELj512ELj137ELj32Ell21rocsparse_complex_numIdEEEvT5_PKS3_S5_NS_24const_host_device_scalarIT6_EEPKT4_S5_PKS7_SB_S5_SD_S8_SB_S5_SD_SB_S5_PS7_21rocsparse_index_base_SF_SF_SF_bbb.uses_vcc, 1
	.set _ZN9rocsparseL41csrgemm_numeric_fill_block_per_row_kernelILj256ELj32ELj512ELj137ELj32Ell21rocsparse_complex_numIdEEEvT5_PKS3_S5_NS_24const_host_device_scalarIT6_EEPKT4_S5_PKS7_SB_S5_SD_S8_SB_S5_SD_SB_S5_PS7_21rocsparse_index_base_SF_SF_SF_bbb.uses_flat_scratch, 1
	.set _ZN9rocsparseL41csrgemm_numeric_fill_block_per_row_kernelILj256ELj32ELj512ELj137ELj32Ell21rocsparse_complex_numIdEEEvT5_PKS3_S5_NS_24const_host_device_scalarIT6_EEPKT4_S5_PKS7_SB_S5_SD_S8_SB_S5_SD_SB_S5_PS7_21rocsparse_index_base_SF_SF_SF_bbb.has_dyn_sized_stack, 0
	.set _ZN9rocsparseL41csrgemm_numeric_fill_block_per_row_kernelILj256ELj32ELj512ELj137ELj32Ell21rocsparse_complex_numIdEEEvT5_PKS3_S5_NS_24const_host_device_scalarIT6_EEPKT4_S5_PKS7_SB_S5_SD_S8_SB_S5_SD_SB_S5_PS7_21rocsparse_index_base_SF_SF_SF_bbb.has_recursion, 0
	.set _ZN9rocsparseL41csrgemm_numeric_fill_block_per_row_kernelILj256ELj32ELj512ELj137ELj32Ell21rocsparse_complex_numIdEEEvT5_PKS3_S5_NS_24const_host_device_scalarIT6_EEPKT4_S5_PKS7_SB_S5_SD_S8_SB_S5_SD_SB_S5_PS7_21rocsparse_index_base_SF_SF_SF_bbb.has_indirect_call, 0
	.section	.AMDGPU.csdata,"",@progbits
; Kernel info:
; codeLenInByte = 3260
; TotalNumSgprs: 48
; NumVgprs: 40
; ScratchSize: 40
; MemoryBound: 0
; FloatMode: 240
; IeeeMode: 1
; LDSByteSize: 0 bytes/workgroup (compile time only)
; SGPRBlocks: 0
; VGPRBlocks: 2
; NumSGPRsForWavesPerEU: 48
; NumVGPRsForWavesPerEU: 40
; NamedBarCnt: 0
; Occupancy: 16
; WaveLimiterHint : 1
; COMPUTE_PGM_RSRC2:SCRATCH_EN: 1
; COMPUTE_PGM_RSRC2:USER_SGPR: 2
; COMPUTE_PGM_RSRC2:TRAP_HANDLER: 0
; COMPUTE_PGM_RSRC2:TGID_X_EN: 1
; COMPUTE_PGM_RSRC2:TGID_Y_EN: 0
; COMPUTE_PGM_RSRC2:TGID_Z_EN: 0
; COMPUTE_PGM_RSRC2:TIDIG_COMP_CNT: 0
	.section	.text._ZN9rocsparseL41csrgemm_numeric_fill_block_per_row_kernelILj256ELj32ELj512ELj137ELj64Ell21rocsparse_complex_numIdEEEvT5_PKS3_S5_NS_24const_host_device_scalarIT6_EEPKT4_S5_PKS7_SB_S5_SD_S8_SB_S5_SD_SB_S5_PS7_21rocsparse_index_base_SF_SF_SF_bbb,"axG",@progbits,_ZN9rocsparseL41csrgemm_numeric_fill_block_per_row_kernelILj256ELj32ELj512ELj137ELj64Ell21rocsparse_complex_numIdEEEvT5_PKS3_S5_NS_24const_host_device_scalarIT6_EEPKT4_S5_PKS7_SB_S5_SD_S8_SB_S5_SD_SB_S5_PS7_21rocsparse_index_base_SF_SF_SF_bbb,comdat
	.globl	_ZN9rocsparseL41csrgemm_numeric_fill_block_per_row_kernelILj256ELj32ELj512ELj137ELj64Ell21rocsparse_complex_numIdEEEvT5_PKS3_S5_NS_24const_host_device_scalarIT6_EEPKT4_S5_PKS7_SB_S5_SD_S8_SB_S5_SD_SB_S5_PS7_21rocsparse_index_base_SF_SF_SF_bbb ; -- Begin function _ZN9rocsparseL41csrgemm_numeric_fill_block_per_row_kernelILj256ELj32ELj512ELj137ELj64Ell21rocsparse_complex_numIdEEEvT5_PKS3_S5_NS_24const_host_device_scalarIT6_EEPKT4_S5_PKS7_SB_S5_SD_S8_SB_S5_SD_SB_S5_PS7_21rocsparse_index_base_SF_SF_SF_bbb
	.p2align	8
	.type	_ZN9rocsparseL41csrgemm_numeric_fill_block_per_row_kernelILj256ELj32ELj512ELj137ELj64Ell21rocsparse_complex_numIdEEEvT5_PKS3_S5_NS_24const_host_device_scalarIT6_EEPKT4_S5_PKS7_SB_S5_SD_S8_SB_S5_SD_SB_S5_PS7_21rocsparse_index_base_SF_SF_SF_bbb,@function
_ZN9rocsparseL41csrgemm_numeric_fill_block_per_row_kernelILj256ELj32ELj512ELj137ELj64Ell21rocsparse_complex_numIdEEEvT5_PKS3_S5_NS_24const_host_device_scalarIT6_EEPKT4_S5_PKS7_SB_S5_SD_S8_SB_S5_SD_SB_S5_PS7_21rocsparse_index_base_SF_SF_SF_bbb: ; @_ZN9rocsparseL41csrgemm_numeric_fill_block_per_row_kernelILj256ELj32ELj512ELj137ELj64Ell21rocsparse_complex_numIdEEEvT5_PKS3_S5_NS_24const_host_device_scalarIT6_EEPKT4_S5_PKS7_SB_S5_SD_S8_SB_S5_SD_SB_S5_PS7_21rocsparse_index_base_SF_SF_SF_bbb
; %bb.0:
	s_clause 0x2
	s_load_b32 s13, s[0:1], 0xa8
	s_load_b128 s[8:11], s[0:1], 0x18
	s_load_b128 s[4:7], s[0:1], 0x58
	v_mov_b64_e32 v[6:7], 0
	v_mov_b64_e32 v[10:11], 0
	;; [unrolled: 1-line block ×3, first 2 shown]
	v_mbcnt_lo_u32_b32 v36, -1, 0
	s_wait_kmcnt 0x0
	s_bitcmp1_b32 s13, 0
	v_mov_b64_e32 v[2:3], s[8:9]
	s_cselect_b32 s33, -1, 0
	s_bitcmp1_b32 s13, 16
	v_mov_b64_e32 v[4:5], s[4:5]
	s_cselect_b32 s2, -1, 0
	s_clause 0x1
	scratch_store_b64 off, v[2:3], off offset:16
	scratch_store_b64 off, v[4:5], off offset:24
	s_xor_b32 s12, s2, -1
	s_bitcmp0_b32 s13, 0
	v_cndmask_b32_e64 v1, 0, 1, s12
	s_delay_alu instid0(VALU_DEP_1)
	v_cmp_ne_u32_e32 vcc_lo, 1, v1
	s_cbranch_scc1 .LBB145_3
; %bb.1:
	s_wait_xcnt 0x1
	v_dual_mov_b32 v2, 16 :: v_dual_lshlrev_b32 v3, 20, v36
	v_mov_b64_e32 v[12:13], s[10:11]
	s_and_b32 vcc_lo, exec_lo, vcc_lo
	s_delay_alu instid0(VALU_DEP_2) | instskip(NEXT) | instid1(VALU_DEP_1)
	v_add_nc_u64_e32 v[2:3], src_flat_scratch_base_lo, v[2:3]
	v_cndmask_b32_e64 v3, s9, v3, s2
	s_delay_alu instid0(VALU_DEP_2)
	v_cndmask_b32_e64 v2, s8, v2, s2
	flat_load_b64 v[10:11], v[2:3]
	s_cbranch_vccnz .LBB145_3
; %bb.2:
	v_mov_b32_e32 v1, 0
	flat_load_b64 v[12:13], v1, s[8:9] offset:8
.LBB145_3:
	s_load_b128 s[20:23], s[0:1], 0x98
	v_mov_b64_e32 v[8:9], 0
	s_bitcmp1_b32 s13, 8
	s_cselect_b32 s3, -1, 0
	s_bfe_u32 s8, s13, 0x10008
	s_delay_alu instid0(SALU_CYCLE_1)
	s_cmp_eq_u32 s8, 0
	s_cbranch_scc1 .LBB145_6
; %bb.4:
	v_dual_mov_b32 v2, 24 :: v_dual_lshlrev_b32 v3, 20, v36
	v_mov_b64_e32 v[6:7], s[6:7]
	s_and_not1_b32 vcc_lo, exec_lo, s12
	s_delay_alu instid0(VALU_DEP_2) | instskip(NEXT) | instid1(VALU_DEP_1)
	v_add_nc_u64_e32 v[2:3], src_flat_scratch_base_lo, v[2:3]
	v_cndmask_b32_e64 v3, s5, v3, s2
	s_delay_alu instid0(VALU_DEP_2)
	v_cndmask_b32_e64 v2, s4, v2, s2
	flat_load_b64 v[8:9], v[2:3]
	s_cbranch_vccnz .LBB145_6
; %bb.5:
	v_mov_b32_e32 v1, 0
	flat_load_b64 v[6:7], v1, s[4:5] offset:8
.LBB145_6:
	s_load_b128 s[24:27], s[0:1], 0x0
	v_cmp_gt_u32_e64 s2, 0x200, v0
	v_lshlrev_b32_e32 v37, 4, v0
	v_or_b32_e32 v34, 0xffffff00, v0
	v_lshl_add_u32 v35, v0, 3, 0
	s_and_saveexec_b32 s6, s2
	s_cbranch_execz .LBB145_9
; %bb.7:
	s_mov_b32 s4, 0
	s_wait_kmcnt 0x0
	v_mov_b64_e32 v[2:3], s[24:25]
	s_mov_b32 s5, s4
	s_mov_b32 s8, s4
	;; [unrolled: 1-line block ×3, first 2 shown]
	v_mov_b64_e32 v[4:5], s[4:5]
	v_mov_b64_e32 v[14:15], s[8:9]
	v_add3_u32 v1, v37, 0, 0x1000
	v_or_b32_e32 v16, 0xffffff00, v0
	v_lshl_add_u32 v17, v0, 3, 0
.LBB145_8:                              ; =>This Inner Loop Header: Depth=1
	s_delay_alu instid0(VALU_DEP_2)
	v_add_co_u32 v16, s5, 0x100, v16
	s_xor_b32 s5, s5, -1
	ds_store_b64 v17, v[2:3]
	ds_store_2addr_b64 v1, v[4:5], v[14:15] offset1:1
	v_add_nc_u32_e32 v1, 0x1000, v1
	v_add_nc_u32_e32 v17, 0x800, v17
	s_and_b32 s5, exec_lo, s5
	s_delay_alu instid0(SALU_CYCLE_1) | instskip(NEXT) | instid1(SALU_CYCLE_1)
	s_or_b32 s4, s5, s4
	s_and_not1_b32 exec_lo, exec_lo, s4
	s_cbranch_execnz .LBB145_8
.LBB145_9:
	s_or_b32 exec_lo, exec_lo, s6
	s_clause 0x4
	s_load_b64 s[34:35], s[0:1], 0x90
	s_load_b256 s[4:11], s[0:1], 0x68
	s_load_b128 s[28:31], s[0:1], 0x48
	s_load_b64 s[36:37], s[0:1], 0x10
	s_load_b256 s[12:19], s[0:1], 0x28
	s_wait_storecnt 0x0
	s_wait_loadcnt_dscnt 0x0
	s_barrier_signal -1
	s_barrier_wait -1
	s_wait_kmcnt 0x0
	s_load_b64 s[0:1], s[26:27], 0x0
	s_wait_xcnt 0x0
	s_bfe_u32 s26, ttmp6, 0x4000c
	s_and_b32 s27, ttmp6, 15
	s_add_co_i32 s26, s26, 1
	s_getreg_b32 s38, hwreg(HW_REG_IB_STS2, 6, 4)
	s_mul_i32 s26, ttmp9, s26
	s_delay_alu instid0(SALU_CYCLE_1)
	s_add_co_i32 s27, s27, s26
	s_wait_kmcnt 0x0
	s_lshl_b64 s[0:1], s[0:1], 3
	s_cmp_eq_u32 s38, 0
	s_add_nc_u64 s[0:1], s[36:37], s[0:1]
	s_cselect_b32 s26, ttmp9, s27
	s_and_b32 vcc_lo, exec_lo, s33
	s_load_b64 s[26:27], s[0:1], s26 offset:0x0 scale_offset
	s_wait_xcnt 0x0
	s_mov_b32 s1, 0
	s_cbranch_vccz .LBB145_29
; %bb.10:
	s_wait_kmcnt 0x0
	s_lshl_b64 s[36:37], s[26:27], 3
	v_dual_mov_b32 v3, 0 :: v_dual_lshrrev_b32 v2, 5, v0
	s_add_nc_u64 s[12:13], s[12:13], s[36:37]
	s_mov_b32 s0, s20
	s_load_b128 s[36:39], s[12:13], 0x0
	s_mov_b32 s20, exec_lo
	v_sub_nc_u64_e64 v[4:5], v[2:3], s[0:1]
	s_wait_kmcnt 0x0
	s_delay_alu instid0(VALU_DEP_1)
	v_add_nc_u64_e32 v[14:15], s[36:37], v[4:5]
	s_sub_nc_u64 s[12:13], s[38:39], s[0:1]
	s_delay_alu instid0(VALU_DEP_1) | instid1(SALU_CYCLE_1)
	v_cmpx_gt_i64_e64 s[12:13], v[14:15]
	s_cbranch_execz .LBB145_28
; %bb.11:
	v_and_b32_e32 v2, 31, v0
	s_mov_b32 s37, 0
	s_mov_b32 s36, s21
	;; [unrolled: 1-line block ×3, first 2 shown]
	s_delay_alu instid0(VALU_DEP_1)
	v_sub_nc_u64_e64 v[16:17], v[2:3], s[36:37]
	s_branch .LBB145_13
.LBB145_12:                             ;   in Loop: Header=BB145_13 Depth=1
	s_or_b32 exec_lo, exec_lo, s33
	v_add_nc_u64_e32 v[14:15], 8, v[14:15]
	s_delay_alu instid0(VALU_DEP_1) | instskip(SKIP_1) | instid1(SALU_CYCLE_1)
	v_cmp_le_i64_e32 vcc_lo, s[12:13], v[14:15]
	s_or_b32 s21, vcc_lo, s21
	s_and_not1_b32 exec_lo, exec_lo, s21
	s_cbranch_execz .LBB145_28
.LBB145_13:                             ; =>This Loop Header: Depth=1
                                        ;     Child Loop BB145_17 Depth 2
                                        ;       Child Loop BB145_20 Depth 3
	v_lshl_add_u64 v[2:3], v[14:15], 3, s[14:15]
	s_mov_b32 s33, exec_lo
	global_load_b64 v[2:3], v[2:3], off
	s_wait_loadcnt 0x0
	s_wait_xcnt 0x0
	v_sub_nc_u64_e64 v[2:3], v[2:3], s[0:1]
	s_delay_alu instid0(VALU_DEP_1)
	v_lshl_add_u64 v[2:3], v[2:3], 3, s[18:19]
	global_load_b128 v[2:5], v[2:3], off
	s_wait_loadcnt 0x0
	v_sub_nc_u64_e64 v[18:19], v[4:5], s[36:37]
	v_add_nc_u64_e32 v[20:21], v[2:3], v[16:17]
	s_wait_xcnt 0x0
	s_delay_alu instid0(VALU_DEP_1)
	v_cmpx_lt_i64_e64 v[20:21], v[18:19]
	s_cbranch_execz .LBB145_12
; %bb.14:                               ;   in Loop: Header=BB145_13 Depth=1
	v_lshl_add_u64 v[2:3], v[14:15], 4, s[16:17]
	s_mov_b32 s38, 0
	global_load_b128 v[2:5], v[2:3], off
	s_wait_loadcnt 0x0
	v_mul_f64_e64 v[22:23], v[4:5], -v[12:13]
	v_mul_f64_e32 v[24:25], v[10:11], v[4:5]
	s_delay_alu instid0(VALU_DEP_2) | instskip(NEXT) | instid1(VALU_DEP_2)
	v_fmac_f64_e32 v[22:23], v[10:11], v[2:3]
	v_fmac_f64_e32 v[24:25], v[12:13], v[2:3]
	s_branch .LBB145_17
.LBB145_15:                             ;   in Loop: Header=BB145_17 Depth=2
	s_or_b32 exec_lo, exec_lo, s40
.LBB145_16:                             ;   in Loop: Header=BB145_17 Depth=2
	s_delay_alu instid0(SALU_CYCLE_1)
	s_or_b32 exec_lo, exec_lo, s39
	s_wait_loadcnt 0x0
	v_mul_f64_e64 v[28:29], v[4:5], -v[24:25]
	v_mul_f64_e32 v[4:5], v[22:23], v[4:5]
	v_lshl_add_u32 v1, v26, 4, 0
	v_add_nc_u64_e32 v[20:21], 32, v[20:21]
	s_delay_alu instid0(VALU_DEP_1)
	v_cmp_ge_i64_e32 vcc_lo, v[20:21], v[18:19]
	s_or_b32 s38, vcc_lo, s38
	v_fmac_f64_e32 v[28:29], v[22:23], v[2:3]
	v_fmac_f64_e32 v[4:5], v[24:25], v[2:3]
	ds_add_f64 v1, v[28:29] offset:4096
	ds_add_f64 v1, v[4:5] offset:4104
	s_and_not1_b32 exec_lo, exec_lo, s38
	s_cbranch_execz .LBB145_12
.LBB145_17:                             ;   Parent Loop BB145_13 Depth=1
                                        ; =>  This Loop Header: Depth=2
                                        ;       Child Loop BB145_20 Depth 3
	s_wait_xcnt 0x0
	v_lshl_add_u64 v[2:3], v[20:21], 3, s[28:29]
	s_mov_b32 s39, exec_lo
	global_load_b64 v[26:27], v[2:3], off
	s_wait_xcnt 0x0
	v_lshl_add_u64 v[2:3], v[20:21], 4, s[30:31]
	global_load_b128 v[2:5], v[2:3], off
	s_wait_loadcnt 0x1
	v_sub_nc_u64_e64 v[28:29], v[26:27], s[36:37]
	s_delay_alu instid0(VALU_DEP_1) | instskip(NEXT) | instid1(VALU_DEP_1)
	v_mul_lo_u32 v1, 0x89, v28
	v_and_b32_e32 v26, 0x1ff, v1
	s_delay_alu instid0(VALU_DEP_1)
	v_lshl_add_u32 v1, v26, 3, 0
	ds_load_b64 v[32:33], v1
	s_wait_dscnt 0x0
	s_wait_xcnt 0x0
	v_cmpx_ne_u64_e64 v[32:33], v[28:29]
	s_cbranch_execz .LBB145_16
; %bb.18:                               ;   in Loop: Header=BB145_17 Depth=2
	s_mov_b32 s40, 0
                                        ; implicit-def: $sgpr41
                                        ; implicit-def: $sgpr42
	s_branch .LBB145_20
.LBB145_19:                             ;   in Loop: Header=BB145_20 Depth=3
	s_or_b32 exec_lo, exec_lo, s45
	s_delay_alu instid0(SALU_CYCLE_1) | instskip(NEXT) | instid1(SALU_CYCLE_1)
	s_and_b32 s43, exec_lo, s44
	s_or_b32 s40, s43, s40
	s_and_not1_b32 s41, s41, exec_lo
	s_and_b32 s43, s42, exec_lo
	s_delay_alu instid0(SALU_CYCLE_1)
	s_or_b32 s41, s41, s43
	s_and_not1_b32 exec_lo, exec_lo, s40
	s_cbranch_execz .LBB145_26
.LBB145_20:                             ;   Parent Loop BB145_13 Depth=1
                                        ;     Parent Loop BB145_17 Depth=2
                                        ; =>    This Inner Loop Header: Depth=3
	v_mov_b64_e32 v[30:31], v[26:27]
	s_mov_b32 s43, 0
	s_mov_b32 s44, exec_lo
                                        ; implicit-def: $vgpr26_vgpr27
	v_cmpx_ne_u64_e64 s[24:25], v[32:33]
	s_xor_b32 s44, exec_lo, s44
; %bb.21:                               ;   in Loop: Header=BB145_20 Depth=3
	s_delay_alu instid0(VALU_DEP_2) | instskip(SKIP_1) | instid1(VALU_DEP_1)
	v_add_nc_u32_e32 v1, 1, v30
	s_mov_b32 s43, exec_lo
	v_and_b32_e32 v26, 0x1ff, v1
                                        ; implicit-def: $vgpr1
; %bb.22:                               ;   in Loop: Header=BB145_20 Depth=3
	s_and_not1_saveexec_b32 s44, s44
	s_cbranch_execz .LBB145_24
; %bb.23:                               ;   in Loop: Header=BB145_20 Depth=3
	v_mov_b64_e32 v[26:27], s[24:25]
	s_and_not1_b32 s43, s43, exec_lo
	ds_cmpstore_rtn_b64 v[26:27], v1, v[28:29], v[26:27]
	s_wait_dscnt 0x0
	v_cmp_ne_u64_e32 vcc_lo, s[24:25], v[26:27]
	v_mov_b64_e32 v[26:27], v[30:31]
	s_and_b32 s45, vcc_lo, exec_lo
	s_delay_alu instid0(SALU_CYCLE_1)
	s_or_b32 s43, s43, s45
.LBB145_24:                             ;   in Loop: Header=BB145_20 Depth=3
	s_or_b32 exec_lo, exec_lo, s44
	s_mov_b32 s44, -1
	s_or_b32 s42, s42, exec_lo
                                        ; implicit-def: $vgpr1
                                        ; implicit-def: $vgpr32_vgpr33
	s_and_saveexec_b32 s45, s43
	s_cbranch_execz .LBB145_19
; %bb.25:                               ;   in Loop: Header=BB145_20 Depth=3
	v_lshl_add_u32 v1, v26, 3, 0
	s_and_not1_b32 s42, s42, exec_lo
	ds_load_b64 v[32:33], v1
	s_wait_dscnt 0x0
	v_cmp_eq_u64_e32 vcc_lo, v[32:33], v[28:29]
	s_or_not1_b32 s44, vcc_lo, exec_lo
	s_branch .LBB145_19
.LBB145_26:                             ;   in Loop: Header=BB145_17 Depth=2
	s_or_b32 exec_lo, exec_lo, s40
	s_and_saveexec_b32 s40, s41
	s_delay_alu instid0(SALU_CYCLE_1)
	s_xor_b32 s40, exec_lo, s40
	s_cbranch_execz .LBB145_15
; %bb.27:                               ;   in Loop: Header=BB145_17 Depth=2
	v_mov_b32_e32 v26, v30
	s_branch .LBB145_15
.LBB145_28:
	s_or_b32 exec_lo, exec_lo, s20
.LBB145_29:
	s_delay_alu instid0(SALU_CYCLE_1)
	s_and_not1_b32 vcc_lo, exec_lo, s3
	s_cbranch_vccnz .LBB145_46
; %bb.30:
	s_wait_kmcnt 0x0
	s_lshl_b64 s[0:1], s[26:27], 3
	v_mov_b32_e32 v1, 0
	s_add_nc_u64 s[0:1], s[4:5], s[0:1]
	s_mov_b32 s3, exec_lo
	s_load_b128 s[12:15], s[0:1], 0x0
	s_wait_xcnt 0x0
	s_mov_b32 s1, 0
	s_mov_b32 s0, s23
	s_delay_alu instid0(SALU_CYCLE_1) | instskip(SKIP_1) | instid1(VALU_DEP_1)
	v_sub_nc_u64_e64 v[2:3], v[0:1], s[0:1]
	s_wait_kmcnt 0x0
	v_add_nc_u64_e32 v[10:11], s[12:13], v[2:3]
	s_sub_nc_u64 s[4:5], s[14:15], s[0:1]
	s_delay_alu instid0(VALU_DEP_1) | instid1(SALU_CYCLE_1)
	v_cmpx_gt_i64_e64 s[4:5], v[10:11]
	s_cbranch_execz .LBB145_45
; %bb.31:
	s_mov_b32 s12, s1
	s_branch .LBB145_34
.LBB145_32:                             ;   in Loop: Header=BB145_34 Depth=1
	s_or_b32 exec_lo, exec_lo, s14
.LBB145_33:                             ;   in Loop: Header=BB145_34 Depth=1
	s_delay_alu instid0(SALU_CYCLE_1)
	s_or_b32 exec_lo, exec_lo, s13
	s_wait_loadcnt 0x0
	v_mul_f64_e64 v[14:15], v[4:5], -v[6:7]
	v_mul_f64_e32 v[4:5], v[8:9], v[4:5]
	v_lshl_add_u32 v1, v12, 4, 0
	v_add_nc_u64_e32 v[10:11], 0x100, v[10:11]
	s_delay_alu instid0(VALU_DEP_1)
	v_cmp_le_i64_e32 vcc_lo, s[4:5], v[10:11]
	s_or_b32 s12, vcc_lo, s12
	v_fmac_f64_e32 v[14:15], v[8:9], v[2:3]
	v_fmac_f64_e32 v[4:5], v[6:7], v[2:3]
	ds_add_f64 v1, v[14:15] offset:4096
	ds_add_f64 v1, v[4:5] offset:4104
	s_and_not1_b32 exec_lo, exec_lo, s12
	s_cbranch_execz .LBB145_45
.LBB145_34:                             ; =>This Loop Header: Depth=1
                                        ;     Child Loop BB145_37 Depth 2
	v_lshl_add_u64 v[2:3], v[10:11], 3, s[6:7]
	s_mov_b32 s13, exec_lo
	global_load_b64 v[12:13], v[2:3], off
	s_wait_xcnt 0x0
	v_lshl_add_u64 v[2:3], v[10:11], 4, s[8:9]
	global_load_b128 v[2:5], v[2:3], off
	s_wait_loadcnt 0x1
	v_sub_nc_u64_e64 v[14:15], v[12:13], s[0:1]
	s_delay_alu instid0(VALU_DEP_1) | instskip(NEXT) | instid1(VALU_DEP_1)
	v_mul_lo_u32 v1, 0x89, v14
	v_and_b32_e32 v12, 0x1ff, v1
	s_delay_alu instid0(VALU_DEP_1)
	v_lshl_add_u32 v1, v12, 3, 0
	ds_load_b64 v[18:19], v1
	s_wait_dscnt 0x0
	s_wait_xcnt 0x0
	v_cmpx_ne_u64_e64 v[18:19], v[14:15]
	s_cbranch_execz .LBB145_33
; %bb.35:                               ;   in Loop: Header=BB145_34 Depth=1
	s_mov_b32 s14, 0
                                        ; implicit-def: $sgpr15
                                        ; implicit-def: $sgpr16
	s_branch .LBB145_37
.LBB145_36:                             ;   in Loop: Header=BB145_37 Depth=2
	s_or_b32 exec_lo, exec_lo, s19
	s_delay_alu instid0(SALU_CYCLE_1) | instskip(NEXT) | instid1(SALU_CYCLE_1)
	s_and_b32 s17, exec_lo, s18
	s_or_b32 s14, s17, s14
	s_and_not1_b32 s15, s15, exec_lo
	s_and_b32 s17, s16, exec_lo
	s_delay_alu instid0(SALU_CYCLE_1)
	s_or_b32 s15, s15, s17
	s_and_not1_b32 exec_lo, exec_lo, s14
	s_cbranch_execz .LBB145_43
.LBB145_37:                             ;   Parent Loop BB145_34 Depth=1
                                        ; =>  This Inner Loop Header: Depth=2
	v_mov_b64_e32 v[16:17], v[12:13]
	s_mov_b32 s17, 0
	s_mov_b32 s18, exec_lo
                                        ; implicit-def: $vgpr12_vgpr13
	v_cmpx_ne_u64_e64 s[24:25], v[18:19]
	s_xor_b32 s18, exec_lo, s18
; %bb.38:                               ;   in Loop: Header=BB145_37 Depth=2
	s_delay_alu instid0(VALU_DEP_2) | instskip(SKIP_1) | instid1(VALU_DEP_1)
	v_add_nc_u32_e32 v1, 1, v16
	s_mov_b32 s17, exec_lo
	v_and_b32_e32 v12, 0x1ff, v1
                                        ; implicit-def: $vgpr1
; %bb.39:                               ;   in Loop: Header=BB145_37 Depth=2
	s_and_not1_saveexec_b32 s18, s18
	s_cbranch_execz .LBB145_41
; %bb.40:                               ;   in Loop: Header=BB145_37 Depth=2
	v_mov_b64_e32 v[12:13], s[24:25]
	s_and_not1_b32 s17, s17, exec_lo
	ds_cmpstore_rtn_b64 v[12:13], v1, v[14:15], v[12:13]
	s_wait_dscnt 0x0
	v_cmp_ne_u64_e32 vcc_lo, s[24:25], v[12:13]
	v_mov_b64_e32 v[12:13], v[16:17]
	s_and_b32 s19, vcc_lo, exec_lo
	s_delay_alu instid0(SALU_CYCLE_1)
	s_or_b32 s17, s17, s19
.LBB145_41:                             ;   in Loop: Header=BB145_37 Depth=2
	s_or_b32 exec_lo, exec_lo, s18
	s_mov_b32 s18, -1
	s_or_b32 s16, s16, exec_lo
                                        ; implicit-def: $vgpr1
                                        ; implicit-def: $vgpr18_vgpr19
	s_and_saveexec_b32 s19, s17
	s_cbranch_execz .LBB145_36
; %bb.42:                               ;   in Loop: Header=BB145_37 Depth=2
	v_lshl_add_u32 v1, v12, 3, 0
	s_and_not1_b32 s16, s16, exec_lo
	ds_load_b64 v[18:19], v1
	s_wait_dscnt 0x0
	v_cmp_eq_u64_e32 vcc_lo, v[18:19], v[14:15]
	s_or_not1_b32 s18, vcc_lo, exec_lo
	s_branch .LBB145_36
.LBB145_43:                             ;   in Loop: Header=BB145_34 Depth=1
	s_or_b32 exec_lo, exec_lo, s14
	s_and_saveexec_b32 s14, s15
	s_delay_alu instid0(SALU_CYCLE_1)
	s_xor_b32 s14, exec_lo, s14
	s_cbranch_execz .LBB145_32
; %bb.44:                               ;   in Loop: Header=BB145_34 Depth=1
	v_mov_b32_e32 v12, v16
	s_branch .LBB145_32
.LBB145_45:
	s_or_b32 exec_lo, exec_lo, s3
.LBB145_46:
	s_wait_dscnt 0x0
	s_barrier_signal -1
	s_barrier_wait -1
	s_and_saveexec_b32 s4, s2
	s_cbranch_execz .LBB145_59
; %bb.47:
	v_dual_lshrrev_b32 v1, 3, v0 :: v_dual_mov_b32 v3, 0
	v_mov_b64_e32 v[4:5], 0
	v_cmp_lt_u32_e64 s0, 63, v0
	v_cmp_lt_u32_e64 s1, 0x7f, v0
	s_delay_alu instid0(VALU_DEP_4)
	v_and_b32_e32 v1, 24, v1
	v_xor_b32_e32 v2, 31, v36
	v_cmp_lt_u32_e64 s2, 0xbf, v0
	v_add3_u32 v7, v37, 0, 0x1000
	s_mov_b32 s5, 0
	v_add_nc_u32_e32 v1, 0, v1
	v_lshrrev_b32_e64 v6, v2, -1
	v_cmp_eq_u32_e32 vcc_lo, 0xff, v0
	s_branch .LBB145_49
.LBB145_48:                             ;   in Loop: Header=BB145_49 Depth=1
	s_or_b32 exec_lo, exec_lo, s3
	s_wait_dscnt 0x0
	s_barrier_signal -1
	s_barrier_wait -1
	ds_load_b64 v[8:9], v3 offset:12312
	v_add_co_u32 v34, s3, 0x100, v34
	s_xor_b32 s3, s3, -1
	v_add_nc_u32_e32 v7, 0x1000, v7
	v_add_nc_u32_e32 v35, 0x800, v35
	s_and_b32 s3, exec_lo, s3
	s_delay_alu instid0(SALU_CYCLE_1)
	s_or_b32 s5, s3, s5
	s_wait_dscnt 0x0
	v_add_nc_u64_e32 v[4:5], v[8:9], v[4:5]
	s_and_not1_b32 exec_lo, exec_lo, s5
	s_cbranch_execz .LBB145_59
.LBB145_49:                             ; =>This Inner Loop Header: Depth=1
	ds_load_b64 v[8:9], v35
	ds_load_2addr_b64 v[10:13], v7 offset1:1
	s_wait_dscnt 0x1
	v_cmp_gt_i64_e64 s3, s[24:25], v[8:9]
	s_wait_dscnt 0x0
	scratch_store_b128 off, v[10:13], off
	s_wait_storecnt 0x0
	s_barrier_signal -1
	s_barrier_wait -1
	s_bcnt1_i32_b32 s6, s3
	s_wait_xcnt 0x0
	v_dual_mov_b32 v2, s6 :: v_dual_bitop2_b32 v10, s3, v6 bitop3:0x40
	s_delay_alu instid0(VALU_DEP_1)
	v_bcnt_u32_b32 v10, v10, 0
	ds_store_b64 v1, v[2:3] offset:12288
	s_wait_dscnt 0x0
	s_barrier_signal -1
	s_barrier_wait -1
	s_and_saveexec_b32 s6, s0
	s_cbranch_execnz .LBB145_54
; %bb.50:                               ;   in Loop: Header=BB145_49 Depth=1
	s_or_b32 exec_lo, exec_lo, s6
	s_and_saveexec_b32 s6, s1
	s_cbranch_execnz .LBB145_55
.LBB145_51:                             ;   in Loop: Header=BB145_49 Depth=1
	s_or_b32 exec_lo, exec_lo, s6
	s_and_saveexec_b32 s6, s2
	s_cbranch_execnz .LBB145_56
.LBB145_52:                             ;   in Loop: Header=BB145_49 Depth=1
	s_or_b32 exec_lo, exec_lo, s6
	v_ashrrev_i32_e32 v11, 31, v10
	s_and_saveexec_b32 s6, s3
	s_cbranch_execnz .LBB145_57
.LBB145_53:                             ;   in Loop: Header=BB145_49 Depth=1
	s_or_b32 exec_lo, exec_lo, s6
	s_and_saveexec_b32 s3, vcc_lo
	s_cbranch_execz .LBB145_48
	s_branch .LBB145_58
.LBB145_54:                             ;   in Loop: Header=BB145_49 Depth=1
	ds_load_b32 v2, v3 offset:12288
	s_wait_dscnt 0x0
	v_add_nc_u32_e32 v10, v2, v10
	s_or_b32 exec_lo, exec_lo, s6
	s_and_saveexec_b32 s6, s1
	s_cbranch_execz .LBB145_51
.LBB145_55:                             ;   in Loop: Header=BB145_49 Depth=1
	ds_load_b32 v2, v3 offset:12296
	s_wait_dscnt 0x0
	v_add_nc_u32_e32 v10, v10, v2
	s_or_b32 exec_lo, exec_lo, s6
	s_and_saveexec_b32 s6, s2
	s_cbranch_execz .LBB145_52
.LBB145_56:                             ;   in Loop: Header=BB145_49 Depth=1
	ds_load_b32 v2, v3 offset:12304
	s_wait_dscnt 0x0
	v_add_nc_u32_e32 v10, v10, v2
	s_or_b32 exec_lo, exec_lo, s6
	s_delay_alu instid0(VALU_DEP_1)
	v_ashrrev_i32_e32 v11, 31, v10
	s_and_saveexec_b32 s6, s3
	s_cbranch_execz .LBB145_53
.LBB145_57:                             ;   in Loop: Header=BB145_49 Depth=1
	scratch_load_b128 v[12:15], off, off
	v_add3_u32 v2, v4, -1, v10
	v_add_lshl_u32 v16, v4, v10, 4
	s_delay_alu instid0(VALU_DEP_2) | instskip(NEXT) | instid1(VALU_DEP_2)
	v_lshl_add_u32 v2, v2, 3, 0
	v_add3_u32 v16, 0, v16, 0xff0
	ds_store_b64 v2, v[8:9]
	s_wait_loadcnt 0x0
	ds_store_2addr_b64 v16, v[12:13], v[14:15] offset1:1
	s_or_b32 exec_lo, exec_lo, s6
	s_and_saveexec_b32 s3, vcc_lo
	s_cbranch_execz .LBB145_48
.LBB145_58:                             ;   in Loop: Header=BB145_49 Depth=1
	ds_store_b64 v3, v[10:11] offset:12312
	s_branch .LBB145_48
.LBB145_59:
	s_or_b32 exec_lo, exec_lo, s4
	s_wait_kmcnt 0x0
	s_lshl_b64 s[0:1], s[26:27], 3
	v_mov_b32_e32 v1, 0
	s_add_nc_u64 s[4:5], s[10:11], s[0:1]
	s_mov_b32 s6, exec_lo
	s_load_b128 s[0:3], s[4:5], 0x0
	s_wait_kmcnt 0x0
	s_sub_nc_u64 s[4:5], s[2:3], s[0:1]
	s_delay_alu instid0(SALU_CYCLE_1)
	v_cmpx_gt_i64_e64 s[4:5], v[0:1]
	s_cbranch_execz .LBB145_69
; %bb.60:
	s_sub_nc_u64 s[8:9], s[0:1], s[2:3]
	s_and_b64 s[6:7], s[4:5], 7
	v_cmp_lt_u64_e64 s10, s[8:9], -7
	s_and_b64 s[2:3], s[4:5], -8
	s_mov_b32 s23, 0
	s_cmp_lg_u64 s[6:7], 0
	s_sub_nc_u64 s[0:1], s[0:1], s[22:23]
	s_cselect_b32 s11, -1, 0
	s_mov_b32 s12, 0
	s_branch .LBB145_62
.LBB145_61:                             ;   in Loop: Header=BB145_62 Depth=1
	s_wait_dscnt 0x0
	v_lshlrev_b32_e32 v2, 3, v0
	v_add_nc_u64_e32 v[0:1], 0x100, v[0:1]
	s_delay_alu instid0(VALU_DEP_2) | instskip(NEXT) | instid1(VALU_DEP_2)
	v_add3_u32 v2, v6, v2, 0x1000
	v_cmp_le_i64_e32 vcc_lo, s[4:5], v[0:1]
	ds_load_2addr_b64 v[6:9], v2 offset1:1
	v_lshl_add_u64 v[2:3], v[4:5], 4, s[34:35]
	s_or_b32 s12, vcc_lo, s12
	s_wait_dscnt 0x0
	global_store_b128 v[2:3], v[6:9], off
	s_wait_xcnt 0x0
	s_and_not1_b32 exec_lo, exec_lo, s12
	s_cbranch_execz .LBB145_69
.LBB145_62:                             ; =>This Loop Header: Depth=1
                                        ;     Child Loop BB145_64 Depth 2
                                        ;     Child Loop BB145_68 Depth 2
	v_lshl_add_u32 v6, v0, 3, 0
	v_mov_b64_e32 v[4:5], s[0:1]
	s_and_not1_b32 vcc_lo, exec_lo, s10
	s_mov_b64 s[8:9], 0
	ds_load_b64 v[2:3], v6
	s_cbranch_vccnz .LBB145_66
; %bb.63:                               ;   in Loop: Header=BB145_62 Depth=1
	v_mov_b64_e32 v[4:5], s[0:1]
	s_mov_b32 s13, 0
.LBB145_64:                             ;   Parent Loop BB145_62 Depth=1
                                        ; =>  This Inner Loop Header: Depth=2
	s_delay_alu instid0(SALU_CYCLE_1)
	v_dual_mov_b32 v7, s13 :: v_dual_mov_b32 v17, s23
	s_add_nc_u64 s[8:9], s[8:9], 8
	s_add_co_i32 s13, s13, 64
	s_cmp_eq_u64 s[2:3], s[8:9]
	ds_load_2addr_b64 v[8:11], v7 offset1:1
	ds_load_2addr_b64 v[12:15], v7 offset0:2 offset1:3
	s_wait_dscnt 0x1
	v_cmp_gt_i64_e32 vcc_lo, v[2:3], v[8:9]
	v_cndmask_b32_e64 v16, 0, 1, vcc_lo
	v_cmp_gt_i64_e32 vcc_lo, v[2:3], v[10:11]
	ds_load_2addr_b64 v[8:11], v7 offset0:4 offset1:5
	v_add_nc_u64_e32 v[4:5], v[4:5], v[16:17]
	v_cndmask_b32_e64 v18, 0, 1, vcc_lo
	s_wait_dscnt 0x1
	v_cmp_gt_i64_e32 vcc_lo, v[2:3], v[12:13]
	v_cndmask_b32_e64 v16, 0, 1, vcc_lo
	v_cmp_gt_i64_e32 vcc_lo, v[2:3], v[14:15]
	ds_load_2addr_b64 v[12:15], v7 offset0:6 offset1:7
	v_mov_b32_e32 v19, s23
	s_delay_alu instid0(VALU_DEP_1) | instskip(SKIP_4) | instid1(VALU_DEP_4)
	v_add_nc_u64_e32 v[4:5], v[4:5], v[18:19]
	v_cndmask_b32_e64 v18, 0, 1, vcc_lo
	s_wait_dscnt 0x1
	v_cmp_gt_i64_e32 vcc_lo, v[2:3], v[8:9]
	v_mov_b32_e32 v9, s23
	v_add_nc_u64_e32 v[4:5], v[4:5], v[16:17]
	v_cndmask_b32_e64 v16, 0, 1, vcc_lo
	v_cmp_gt_i64_e32 vcc_lo, v[2:3], v[10:11]
	v_mov_b32_e32 v11, s23
	s_delay_alu instid0(VALU_DEP_4) | instskip(SKIP_3) | instid1(VALU_DEP_3)
	v_add_nc_u64_e32 v[4:5], v[4:5], v[18:19]
	v_cndmask_b32_e64 v8, 0, 1, vcc_lo
	s_wait_dscnt 0x0
	v_cmp_gt_i64_e32 vcc_lo, v[2:3], v[12:13]
	v_add_nc_u64_e32 v[4:5], v[4:5], v[16:17]
	v_cndmask_b32_e64 v10, 0, 1, vcc_lo
	v_cmp_gt_i64_e32 vcc_lo, v[2:3], v[14:15]
	s_delay_alu instid0(VALU_DEP_3) | instskip(SKIP_1) | instid1(VALU_DEP_2)
	v_add_nc_u64_e32 v[4:5], v[4:5], v[8:9]
	v_cndmask_b32_e64 v8, 0, 1, vcc_lo
	v_add_nc_u64_e32 v[4:5], v[4:5], v[10:11]
	s_delay_alu instid0(VALU_DEP_1)
	v_add_nc_u64_e32 v[4:5], v[4:5], v[8:9]
	s_cbranch_scc0 .LBB145_64
; %bb.65:                               ;   in Loop: Header=BB145_62 Depth=1
	s_mov_b64 s[8:9], s[2:3]
.LBB145_66:                             ;   in Loop: Header=BB145_62 Depth=1
	s_and_not1_b32 vcc_lo, exec_lo, s11
	s_cbranch_vccnz .LBB145_61
; %bb.67:                               ;   in Loop: Header=BB145_62 Depth=1
	s_lshl_b32 s8, s8, 3
	s_delay_alu instid0(SALU_CYCLE_1)
	s_add_co_i32 s13, s8, 0
	s_mov_b64 s[8:9], s[6:7]
.LBB145_68:                             ;   Parent Loop BB145_62 Depth=1
                                        ; =>  This Inner Loop Header: Depth=2
	v_dual_mov_b32 v7, s13 :: v_dual_mov_b32 v11, s23
	s_add_nc_u64 s[8:9], s[8:9], -1
	s_add_co_i32 s13, s13, 8
	s_cmp_lg_u64 s[8:9], 0
	ds_load_b64 v[8:9], v7
	s_wait_dscnt 0x0
	v_cmp_gt_i64_e32 vcc_lo, v[2:3], v[8:9]
	v_cndmask_b32_e64 v10, 0, 1, vcc_lo
	s_delay_alu instid0(VALU_DEP_1)
	v_add_nc_u64_e32 v[4:5], v[4:5], v[10:11]
	s_cbranch_scc1 .LBB145_68
	s_branch .LBB145_61
.LBB145_69:
	s_endpgm
	.section	.rodata,"a",@progbits
	.p2align	6, 0x0
	.amdhsa_kernel _ZN9rocsparseL41csrgemm_numeric_fill_block_per_row_kernelILj256ELj32ELj512ELj137ELj64Ell21rocsparse_complex_numIdEEEvT5_PKS3_S5_NS_24const_host_device_scalarIT6_EEPKT4_S5_PKS7_SB_S5_SD_S8_SB_S5_SD_SB_S5_PS7_21rocsparse_index_base_SF_SF_SF_bbb
		.amdhsa_group_segment_fixed_size 0
		.amdhsa_private_segment_fixed_size 40
		.amdhsa_kernarg_size 172
		.amdhsa_user_sgpr_count 2
		.amdhsa_user_sgpr_dispatch_ptr 0
		.amdhsa_user_sgpr_queue_ptr 0
		.amdhsa_user_sgpr_kernarg_segment_ptr 1
		.amdhsa_user_sgpr_dispatch_id 0
		.amdhsa_user_sgpr_kernarg_preload_length 0
		.amdhsa_user_sgpr_kernarg_preload_offset 0
		.amdhsa_user_sgpr_private_segment_size 0
		.amdhsa_wavefront_size32 1
		.amdhsa_uses_dynamic_stack 0
		.amdhsa_enable_private_segment 1
		.amdhsa_system_sgpr_workgroup_id_x 1
		.amdhsa_system_sgpr_workgroup_id_y 0
		.amdhsa_system_sgpr_workgroup_id_z 0
		.amdhsa_system_sgpr_workgroup_info 0
		.amdhsa_system_vgpr_workitem_id 0
		.amdhsa_next_free_vgpr 38
		.amdhsa_next_free_sgpr 46
		.amdhsa_named_barrier_count 0
		.amdhsa_reserve_vcc 1
		.amdhsa_float_round_mode_32 0
		.amdhsa_float_round_mode_16_64 0
		.amdhsa_float_denorm_mode_32 3
		.amdhsa_float_denorm_mode_16_64 3
		.amdhsa_fp16_overflow 0
		.amdhsa_memory_ordered 1
		.amdhsa_forward_progress 1
		.amdhsa_inst_pref_size 24
		.amdhsa_round_robin_scheduling 0
		.amdhsa_exception_fp_ieee_invalid_op 0
		.amdhsa_exception_fp_denorm_src 0
		.amdhsa_exception_fp_ieee_div_zero 0
		.amdhsa_exception_fp_ieee_overflow 0
		.amdhsa_exception_fp_ieee_underflow 0
		.amdhsa_exception_fp_ieee_inexact 0
		.amdhsa_exception_int_div_zero 0
	.end_amdhsa_kernel
	.section	.text._ZN9rocsparseL41csrgemm_numeric_fill_block_per_row_kernelILj256ELj32ELj512ELj137ELj64Ell21rocsparse_complex_numIdEEEvT5_PKS3_S5_NS_24const_host_device_scalarIT6_EEPKT4_S5_PKS7_SB_S5_SD_S8_SB_S5_SD_SB_S5_PS7_21rocsparse_index_base_SF_SF_SF_bbb,"axG",@progbits,_ZN9rocsparseL41csrgemm_numeric_fill_block_per_row_kernelILj256ELj32ELj512ELj137ELj64Ell21rocsparse_complex_numIdEEEvT5_PKS3_S5_NS_24const_host_device_scalarIT6_EEPKT4_S5_PKS7_SB_S5_SD_S8_SB_S5_SD_SB_S5_PS7_21rocsparse_index_base_SF_SF_SF_bbb,comdat
.Lfunc_end145:
	.size	_ZN9rocsparseL41csrgemm_numeric_fill_block_per_row_kernelILj256ELj32ELj512ELj137ELj64Ell21rocsparse_complex_numIdEEEvT5_PKS3_S5_NS_24const_host_device_scalarIT6_EEPKT4_S5_PKS7_SB_S5_SD_S8_SB_S5_SD_SB_S5_PS7_21rocsparse_index_base_SF_SF_SF_bbb, .Lfunc_end145-_ZN9rocsparseL41csrgemm_numeric_fill_block_per_row_kernelILj256ELj32ELj512ELj137ELj64Ell21rocsparse_complex_numIdEEEvT5_PKS3_S5_NS_24const_host_device_scalarIT6_EEPKT4_S5_PKS7_SB_S5_SD_S8_SB_S5_SD_SB_S5_PS7_21rocsparse_index_base_SF_SF_SF_bbb
                                        ; -- End function
	.set _ZN9rocsparseL41csrgemm_numeric_fill_block_per_row_kernelILj256ELj32ELj512ELj137ELj64Ell21rocsparse_complex_numIdEEEvT5_PKS3_S5_NS_24const_host_device_scalarIT6_EEPKT4_S5_PKS7_SB_S5_SD_S8_SB_S5_SD_SB_S5_PS7_21rocsparse_index_base_SF_SF_SF_bbb.num_vgpr, 38
	.set _ZN9rocsparseL41csrgemm_numeric_fill_block_per_row_kernelILj256ELj32ELj512ELj137ELj64Ell21rocsparse_complex_numIdEEEvT5_PKS3_S5_NS_24const_host_device_scalarIT6_EEPKT4_S5_PKS7_SB_S5_SD_S8_SB_S5_SD_SB_S5_PS7_21rocsparse_index_base_SF_SF_SF_bbb.num_agpr, 0
	.set _ZN9rocsparseL41csrgemm_numeric_fill_block_per_row_kernelILj256ELj32ELj512ELj137ELj64Ell21rocsparse_complex_numIdEEEvT5_PKS3_S5_NS_24const_host_device_scalarIT6_EEPKT4_S5_PKS7_SB_S5_SD_S8_SB_S5_SD_SB_S5_PS7_21rocsparse_index_base_SF_SF_SF_bbb.numbered_sgpr, 46
	.set _ZN9rocsparseL41csrgemm_numeric_fill_block_per_row_kernelILj256ELj32ELj512ELj137ELj64Ell21rocsparse_complex_numIdEEEvT5_PKS3_S5_NS_24const_host_device_scalarIT6_EEPKT4_S5_PKS7_SB_S5_SD_S8_SB_S5_SD_SB_S5_PS7_21rocsparse_index_base_SF_SF_SF_bbb.num_named_barrier, 0
	.set _ZN9rocsparseL41csrgemm_numeric_fill_block_per_row_kernelILj256ELj32ELj512ELj137ELj64Ell21rocsparse_complex_numIdEEEvT5_PKS3_S5_NS_24const_host_device_scalarIT6_EEPKT4_S5_PKS7_SB_S5_SD_S8_SB_S5_SD_SB_S5_PS7_21rocsparse_index_base_SF_SF_SF_bbb.private_seg_size, 40
	.set _ZN9rocsparseL41csrgemm_numeric_fill_block_per_row_kernelILj256ELj32ELj512ELj137ELj64Ell21rocsparse_complex_numIdEEEvT5_PKS3_S5_NS_24const_host_device_scalarIT6_EEPKT4_S5_PKS7_SB_S5_SD_S8_SB_S5_SD_SB_S5_PS7_21rocsparse_index_base_SF_SF_SF_bbb.uses_vcc, 1
	.set _ZN9rocsparseL41csrgemm_numeric_fill_block_per_row_kernelILj256ELj32ELj512ELj137ELj64Ell21rocsparse_complex_numIdEEEvT5_PKS3_S5_NS_24const_host_device_scalarIT6_EEPKT4_S5_PKS7_SB_S5_SD_S8_SB_S5_SD_SB_S5_PS7_21rocsparse_index_base_SF_SF_SF_bbb.uses_flat_scratch, 1
	.set _ZN9rocsparseL41csrgemm_numeric_fill_block_per_row_kernelILj256ELj32ELj512ELj137ELj64Ell21rocsparse_complex_numIdEEEvT5_PKS3_S5_NS_24const_host_device_scalarIT6_EEPKT4_S5_PKS7_SB_S5_SD_S8_SB_S5_SD_SB_S5_PS7_21rocsparse_index_base_SF_SF_SF_bbb.has_dyn_sized_stack, 0
	.set _ZN9rocsparseL41csrgemm_numeric_fill_block_per_row_kernelILj256ELj32ELj512ELj137ELj64Ell21rocsparse_complex_numIdEEEvT5_PKS3_S5_NS_24const_host_device_scalarIT6_EEPKT4_S5_PKS7_SB_S5_SD_S8_SB_S5_SD_SB_S5_PS7_21rocsparse_index_base_SF_SF_SF_bbb.has_recursion, 0
	.set _ZN9rocsparseL41csrgemm_numeric_fill_block_per_row_kernelILj256ELj32ELj512ELj137ELj64Ell21rocsparse_complex_numIdEEEvT5_PKS3_S5_NS_24const_host_device_scalarIT6_EEPKT4_S5_PKS7_SB_S5_SD_S8_SB_S5_SD_SB_S5_PS7_21rocsparse_index_base_SF_SF_SF_bbb.has_indirect_call, 0
	.section	.AMDGPU.csdata,"",@progbits
; Kernel info:
; codeLenInByte = 3056
; TotalNumSgprs: 48
; NumVgprs: 38
; ScratchSize: 40
; MemoryBound: 0
; FloatMode: 240
; IeeeMode: 1
; LDSByteSize: 0 bytes/workgroup (compile time only)
; SGPRBlocks: 0
; VGPRBlocks: 2
; NumSGPRsForWavesPerEU: 48
; NumVGPRsForWavesPerEU: 38
; NamedBarCnt: 0
; Occupancy: 16
; WaveLimiterHint : 1
; COMPUTE_PGM_RSRC2:SCRATCH_EN: 1
; COMPUTE_PGM_RSRC2:USER_SGPR: 2
; COMPUTE_PGM_RSRC2:TRAP_HANDLER: 0
; COMPUTE_PGM_RSRC2:TGID_X_EN: 1
; COMPUTE_PGM_RSRC2:TGID_Y_EN: 0
; COMPUTE_PGM_RSRC2:TGID_Z_EN: 0
; COMPUTE_PGM_RSRC2:TIDIG_COMP_CNT: 0
	.section	.text._ZN9rocsparseL41csrgemm_numeric_fill_block_per_row_kernelILj512ELj32ELj1024ELj137ELj32Ell21rocsparse_complex_numIdEEEvT5_PKS3_S5_NS_24const_host_device_scalarIT6_EEPKT4_S5_PKS7_SB_S5_SD_S8_SB_S5_SD_SB_S5_PS7_21rocsparse_index_base_SF_SF_SF_bbb,"axG",@progbits,_ZN9rocsparseL41csrgemm_numeric_fill_block_per_row_kernelILj512ELj32ELj1024ELj137ELj32Ell21rocsparse_complex_numIdEEEvT5_PKS3_S5_NS_24const_host_device_scalarIT6_EEPKT4_S5_PKS7_SB_S5_SD_S8_SB_S5_SD_SB_S5_PS7_21rocsparse_index_base_SF_SF_SF_bbb,comdat
	.globl	_ZN9rocsparseL41csrgemm_numeric_fill_block_per_row_kernelILj512ELj32ELj1024ELj137ELj32Ell21rocsparse_complex_numIdEEEvT5_PKS3_S5_NS_24const_host_device_scalarIT6_EEPKT4_S5_PKS7_SB_S5_SD_S8_SB_S5_SD_SB_S5_PS7_21rocsparse_index_base_SF_SF_SF_bbb ; -- Begin function _ZN9rocsparseL41csrgemm_numeric_fill_block_per_row_kernelILj512ELj32ELj1024ELj137ELj32Ell21rocsparse_complex_numIdEEEvT5_PKS3_S5_NS_24const_host_device_scalarIT6_EEPKT4_S5_PKS7_SB_S5_SD_S8_SB_S5_SD_SB_S5_PS7_21rocsparse_index_base_SF_SF_SF_bbb
	.p2align	8
	.type	_ZN9rocsparseL41csrgemm_numeric_fill_block_per_row_kernelILj512ELj32ELj1024ELj137ELj32Ell21rocsparse_complex_numIdEEEvT5_PKS3_S5_NS_24const_host_device_scalarIT6_EEPKT4_S5_PKS7_SB_S5_SD_S8_SB_S5_SD_SB_S5_PS7_21rocsparse_index_base_SF_SF_SF_bbb,@function
_ZN9rocsparseL41csrgemm_numeric_fill_block_per_row_kernelILj512ELj32ELj1024ELj137ELj32Ell21rocsparse_complex_numIdEEEvT5_PKS3_S5_NS_24const_host_device_scalarIT6_EEPKT4_S5_PKS7_SB_S5_SD_S8_SB_S5_SD_SB_S5_PS7_21rocsparse_index_base_SF_SF_SF_bbb: ; @_ZN9rocsparseL41csrgemm_numeric_fill_block_per_row_kernelILj512ELj32ELj1024ELj137ELj32Ell21rocsparse_complex_numIdEEEvT5_PKS3_S5_NS_24const_host_device_scalarIT6_EEPKT4_S5_PKS7_SB_S5_SD_S8_SB_S5_SD_SB_S5_PS7_21rocsparse_index_base_SF_SF_SF_bbb
; %bb.0:
	s_clause 0x3
	s_load_b32 s3, s[0:1], 0xa8
	s_load_b128 s[8:11], s[0:1], 0x18
	s_load_b128 s[4:7], s[0:1], 0x58
	;; [unrolled: 1-line block ×3, first 2 shown]
	v_mov_b64_e32 v[6:7], 0
	v_mov_b64_e32 v[12:13], 0
	v_mov_b64_e32 v[14:15], 0
	v_mbcnt_lo_u32_b32 v39, -1, 0
	s_wait_kmcnt 0x0
	s_bitcmp1_b32 s3, 0
	v_mov_b64_e32 v[2:3], s[8:9]
	s_cselect_b32 s36, -1, 0
	s_bitcmp1_b32 s3, 16
	v_mov_b64_e32 v[4:5], s[4:5]
	s_cselect_b32 s2, -1, 0
	s_clause 0x1
	scratch_store_b64 off, v[2:3], off offset:16
	scratch_store_b64 off, v[4:5], off offset:24
	s_xor_b32 s12, s2, -1
	s_bitcmp0_b32 s3, 0
	v_cndmask_b32_e64 v1, 0, 1, s12
	s_delay_alu instid0(VALU_DEP_1)
	v_cmp_ne_u32_e32 vcc_lo, 1, v1
	s_cbranch_scc1 .LBB146_3
; %bb.1:
	s_wait_xcnt 0x1
	v_dual_mov_b32 v2, 16 :: v_dual_lshlrev_b32 v3, 20, v39
	v_mov_b64_e32 v[14:15], s[10:11]
	s_and_b32 vcc_lo, exec_lo, vcc_lo
	s_delay_alu instid0(VALU_DEP_2) | instskip(NEXT) | instid1(VALU_DEP_1)
	v_add_nc_u64_e32 v[2:3], src_flat_scratch_base_lo, v[2:3]
	v_cndmask_b32_e64 v3, s9, v3, s2
	s_delay_alu instid0(VALU_DEP_2)
	v_cndmask_b32_e64 v2, s8, v2, s2
	flat_load_b64 v[12:13], v[2:3]
	s_cbranch_vccnz .LBB146_3
; %bb.2:
	v_mov_b32_e32 v1, 0
	flat_load_b64 v[14:15], v1, s[8:9] offset:8
.LBB146_3:
	s_load_b64 s[34:35], s[0:1], 0x8
	v_mov_b64_e32 v[8:9], 0
	s_bitcmp1_b32 s3, 8
	s_cselect_b32 s33, -1, 0
	s_bfe_u32 s3, s3, 0x10008
	s_delay_alu instid0(SALU_CYCLE_1)
	s_cmp_eq_u32 s3, 0
	s_cbranch_scc1 .LBB146_6
; %bb.4:
	v_dual_mov_b32 v2, 24 :: v_dual_lshlrev_b32 v3, 20, v39
	v_mov_b64_e32 v[6:7], s[6:7]
	s_and_not1_b32 vcc_lo, exec_lo, s12
	s_delay_alu instid0(VALU_DEP_2) | instskip(NEXT) | instid1(VALU_DEP_1)
	v_add_nc_u64_e32 v[2:3], src_flat_scratch_base_lo, v[2:3]
	v_cndmask_b32_e64 v3, s5, v3, s2
	s_delay_alu instid0(VALU_DEP_2)
	v_cndmask_b32_e64 v2, s4, v2, s2
	flat_load_b64 v[8:9], v[2:3]
	s_cbranch_vccnz .LBB146_6
; %bb.5:
	v_mov_b32_e32 v1, 0
	flat_load_b64 v[6:7], v1, s[4:5] offset:8
.LBB146_6:
	s_clause 0x5
	s_load_b64 s[30:31], s[0:1], 0x0
	s_load_b64 s[2:3], s[0:1], 0x10
	;; [unrolled: 1-line block ×3, first 2 shown]
	s_load_b256 s[12:19], s[0:1], 0x68
	s_load_b128 s[24:27], s[0:1], 0x48
	s_load_b256 s[4:11], s[0:1], 0x28
	v_or_b32_e32 v36, 0xfffffe00, v0
	v_lshlrev_b32_e32 v1, 4, v0
	s_wait_xcnt 0x0
	s_mov_b32 s0, 0
	v_lshl_add_u32 v37, v0, 3, 0
	s_mov_b32 s1, s0
	v_mov_b32_e32 v16, v36
	v_add3_u32 v38, v1, 0, 0x2000
	s_mov_b32 s38, s0
	s_mov_b32 s39, s0
	v_mov_b64_e32 v[2:3], s[0:1]
	v_mov_b64_e32 v[4:5], s[38:39]
	v_dual_mov_b32 v1, v37 :: v_dual_mov_b32 v17, v38
	s_wait_kmcnt 0x0
	v_mov_b64_e32 v[10:11], s[30:31]
.LBB146_7:                              ; =>This Inner Loop Header: Depth=1
	v_add_co_u32 v16, s1, 0x200, v16
	s_xor_b32 s1, s1, -1
	ds_store_b64 v1, v[10:11]
	ds_store_2addr_b64 v17, v[2:3], v[4:5] offset1:1
	v_add_nc_u32_e32 v17, 0x2000, v17
	v_add_nc_u32_e32 v1, 0x1000, v1
	s_and_b32 s1, exec_lo, s1
	s_delay_alu instid0(SALU_CYCLE_1) | instskip(NEXT) | instid1(SALU_CYCLE_1)
	s_or_b32 s0, s1, s0
	s_and_not1_b32 exec_lo, exec_lo, s0
	s_cbranch_execnz .LBB146_7
; %bb.8:
	s_or_b32 exec_lo, exec_lo, s0
	s_wait_storecnt 0x0
	s_wait_loadcnt_dscnt 0x0
	s_barrier_signal -1
	s_barrier_wait -1
	s_load_b64 s[0:1], s[34:35], 0x0
	s_wait_xcnt 0x0
	s_bfe_u32 s34, ttmp6, 0x4000c
	s_and_b32 s35, ttmp6, 15
	s_add_co_i32 s34, s34, 1
	s_getreg_b32 s37, hwreg(HW_REG_IB_STS2, 6, 4)
	s_mul_i32 s34, ttmp9, s34
	v_lshrrev_b32_e32 v10, 5, v0
	s_add_co_i32 s35, s35, s34
	s_wait_kmcnt 0x0
	s_lshl_b64 s[0:1], s[0:1], 3
	s_cmp_eq_u32 s37, 0
	s_add_nc_u64 s[0:1], s[2:3], s[0:1]
	s_cselect_b32 s2, ttmp9, s35
	s_and_b32 vcc_lo, exec_lo, s36
	s_load_b64 s[34:35], s[0:1], s2 offset:0x0 scale_offset
	s_wait_xcnt 0x0
	s_mov_b32 s1, 0
	s_cbranch_vccz .LBB146_28
; %bb.9:
	s_wait_kmcnt 0x0
	s_lshl_b64 s[2:3], s[34:35], 3
	v_mov_b32_e32 v11, 0
	s_add_nc_u64 s[2:3], s[4:5], s[2:3]
	s_mov_b32 s0, s20
	s_load_b128 s[36:39], s[2:3], 0x0
	s_mov_b32 s20, exec_lo
	v_sub_nc_u64_e64 v[2:3], v[10:11], s[0:1]
	s_wait_kmcnt 0x0
	s_delay_alu instid0(VALU_DEP_1)
	v_add_nc_u64_e32 v[16:17], s[36:37], v[2:3]
	s_sub_nc_u64 s[2:3], s[38:39], s[0:1]
	s_delay_alu instid0(VALU_DEP_1) | instid1(SALU_CYCLE_1)
	v_cmpx_gt_i64_e64 s[2:3], v[16:17]
	s_cbranch_execz .LBB146_27
; %bb.10:
	v_dual_mov_b32 v3, v11 :: v_dual_bitop2_b32 v2, 31, v0 bitop3:0x40
	s_mov_b32 s5, 0
	s_mov_b32 s4, s21
	;; [unrolled: 1-line block ×3, first 2 shown]
	s_delay_alu instid0(VALU_DEP_1)
	v_sub_nc_u64_e64 v[18:19], v[2:3], s[4:5]
	s_branch .LBB146_12
.LBB146_11:                             ;   in Loop: Header=BB146_12 Depth=1
	s_or_b32 exec_lo, exec_lo, s36
	v_add_nc_u64_e32 v[16:17], 16, v[16:17]
	s_delay_alu instid0(VALU_DEP_1) | instskip(SKIP_1) | instid1(SALU_CYCLE_1)
	v_cmp_le_i64_e32 vcc_lo, s[2:3], v[16:17]
	s_or_b32 s21, vcc_lo, s21
	s_and_not1_b32 exec_lo, exec_lo, s21
	s_cbranch_execz .LBB146_27
.LBB146_12:                             ; =>This Loop Header: Depth=1
                                        ;     Child Loop BB146_16 Depth 2
                                        ;       Child Loop BB146_19 Depth 3
	v_lshl_add_u64 v[2:3], v[16:17], 3, s[6:7]
	s_mov_b32 s36, exec_lo
	global_load_b64 v[2:3], v[2:3], off
	s_wait_loadcnt 0x0
	s_wait_xcnt 0x0
	v_sub_nc_u64_e64 v[2:3], v[2:3], s[0:1]
	s_delay_alu instid0(VALU_DEP_1)
	v_lshl_add_u64 v[2:3], v[2:3], 3, s[10:11]
	global_load_b128 v[2:5], v[2:3], off
	s_wait_loadcnt 0x0
	v_sub_nc_u64_e64 v[20:21], v[4:5], s[4:5]
	v_add_nc_u64_e32 v[22:23], v[2:3], v[18:19]
	s_wait_xcnt 0x0
	s_delay_alu instid0(VALU_DEP_1)
	v_cmpx_lt_i64_e64 v[22:23], v[20:21]
	s_cbranch_execz .LBB146_11
; %bb.13:                               ;   in Loop: Header=BB146_12 Depth=1
	v_lshl_add_u64 v[2:3], v[16:17], 4, s[8:9]
	s_mov_b32 s37, 0
	global_load_b128 v[2:5], v[2:3], off
	s_wait_loadcnt 0x0
	v_mul_f64_e64 v[24:25], v[4:5], -v[14:15]
	v_mul_f64_e32 v[26:27], v[12:13], v[4:5]
	s_delay_alu instid0(VALU_DEP_2) | instskip(NEXT) | instid1(VALU_DEP_2)
	v_fmac_f64_e32 v[24:25], v[12:13], v[2:3]
	v_fmac_f64_e32 v[26:27], v[14:15], v[2:3]
	s_branch .LBB146_16
.LBB146_14:                             ;   in Loop: Header=BB146_16 Depth=2
	s_or_b32 exec_lo, exec_lo, s39
.LBB146_15:                             ;   in Loop: Header=BB146_16 Depth=2
	s_delay_alu instid0(SALU_CYCLE_1)
	s_or_b32 exec_lo, exec_lo, s38
	s_wait_loadcnt 0x0
	v_mul_f64_e64 v[30:31], v[4:5], -v[26:27]
	v_mul_f64_e32 v[4:5], v[24:25], v[4:5]
	v_lshl_add_u32 v1, v28, 4, 0
	v_add_nc_u64_e32 v[22:23], 32, v[22:23]
	s_delay_alu instid0(VALU_DEP_1)
	v_cmp_ge_i64_e32 vcc_lo, v[22:23], v[20:21]
	s_or_b32 s37, vcc_lo, s37
	v_fmac_f64_e32 v[30:31], v[24:25], v[2:3]
	v_fmac_f64_e32 v[4:5], v[26:27], v[2:3]
	ds_add_f64 v1, v[30:31] offset:8192
	ds_add_f64 v1, v[4:5] offset:8200
	s_and_not1_b32 exec_lo, exec_lo, s37
	s_cbranch_execz .LBB146_11
.LBB146_16:                             ;   Parent Loop BB146_12 Depth=1
                                        ; =>  This Loop Header: Depth=2
                                        ;       Child Loop BB146_19 Depth 3
	s_wait_xcnt 0x0
	v_lshl_add_u64 v[2:3], v[22:23], 3, s[24:25]
	s_mov_b32 s38, exec_lo
	global_load_b64 v[28:29], v[2:3], off
	s_wait_xcnt 0x0
	v_lshl_add_u64 v[2:3], v[22:23], 4, s[26:27]
	global_load_b128 v[2:5], v[2:3], off
	s_wait_loadcnt 0x1
	v_sub_nc_u64_e64 v[30:31], v[28:29], s[4:5]
	s_delay_alu instid0(VALU_DEP_1) | instskip(NEXT) | instid1(VALU_DEP_1)
	v_mul_lo_u32 v1, 0x89, v30
	v_and_b32_e32 v28, 0x3ff, v1
	s_delay_alu instid0(VALU_DEP_1)
	v_lshl_add_u32 v1, v28, 3, 0
	ds_load_b64 v[34:35], v1
	s_wait_dscnt 0x0
	s_wait_xcnt 0x0
	v_cmpx_ne_u64_e64 v[34:35], v[30:31]
	s_cbranch_execz .LBB146_15
; %bb.17:                               ;   in Loop: Header=BB146_16 Depth=2
	s_mov_b32 s39, 0
                                        ; implicit-def: $sgpr40
                                        ; implicit-def: $sgpr41
	s_branch .LBB146_19
.LBB146_18:                             ;   in Loop: Header=BB146_19 Depth=3
	s_or_b32 exec_lo, exec_lo, s44
	s_delay_alu instid0(SALU_CYCLE_1) | instskip(NEXT) | instid1(SALU_CYCLE_1)
	s_and_b32 s42, exec_lo, s43
	s_or_b32 s39, s42, s39
	s_and_not1_b32 s40, s40, exec_lo
	s_and_b32 s42, s41, exec_lo
	s_delay_alu instid0(SALU_CYCLE_1)
	s_or_b32 s40, s40, s42
	s_and_not1_b32 exec_lo, exec_lo, s39
	s_cbranch_execz .LBB146_25
.LBB146_19:                             ;   Parent Loop BB146_12 Depth=1
                                        ;     Parent Loop BB146_16 Depth=2
                                        ; =>    This Inner Loop Header: Depth=3
	v_mov_b64_e32 v[32:33], v[28:29]
	s_mov_b32 s42, 0
	s_mov_b32 s43, exec_lo
                                        ; implicit-def: $vgpr28_vgpr29
	v_cmpx_ne_u64_e64 s[30:31], v[34:35]
	s_xor_b32 s43, exec_lo, s43
; %bb.20:                               ;   in Loop: Header=BB146_19 Depth=3
	s_delay_alu instid0(VALU_DEP_2) | instskip(SKIP_1) | instid1(VALU_DEP_1)
	v_add_nc_u32_e32 v1, 1, v32
	s_mov_b32 s42, exec_lo
	v_and_b32_e32 v28, 0x3ff, v1
                                        ; implicit-def: $vgpr1
; %bb.21:                               ;   in Loop: Header=BB146_19 Depth=3
	s_and_not1_saveexec_b32 s43, s43
	s_cbranch_execz .LBB146_23
; %bb.22:                               ;   in Loop: Header=BB146_19 Depth=3
	v_mov_b64_e32 v[28:29], s[30:31]
	s_and_not1_b32 s42, s42, exec_lo
	ds_cmpstore_rtn_b64 v[28:29], v1, v[30:31], v[28:29]
	s_wait_dscnt 0x0
	v_cmp_ne_u64_e32 vcc_lo, s[30:31], v[28:29]
	v_mov_b64_e32 v[28:29], v[32:33]
	s_and_b32 s44, vcc_lo, exec_lo
	s_delay_alu instid0(SALU_CYCLE_1)
	s_or_b32 s42, s42, s44
.LBB146_23:                             ;   in Loop: Header=BB146_19 Depth=3
	s_or_b32 exec_lo, exec_lo, s43
	s_mov_b32 s43, -1
	s_or_b32 s41, s41, exec_lo
                                        ; implicit-def: $vgpr1
                                        ; implicit-def: $vgpr34_vgpr35
	s_and_saveexec_b32 s44, s42
	s_cbranch_execz .LBB146_18
; %bb.24:                               ;   in Loop: Header=BB146_19 Depth=3
	v_lshl_add_u32 v1, v28, 3, 0
	s_and_not1_b32 s41, s41, exec_lo
	ds_load_b64 v[34:35], v1
	s_wait_dscnt 0x0
	v_cmp_eq_u64_e32 vcc_lo, v[34:35], v[30:31]
	s_or_not1_b32 s43, vcc_lo, exec_lo
	s_branch .LBB146_18
.LBB146_25:                             ;   in Loop: Header=BB146_16 Depth=2
	s_or_b32 exec_lo, exec_lo, s39
	s_and_saveexec_b32 s39, s40
	s_delay_alu instid0(SALU_CYCLE_1)
	s_xor_b32 s39, exec_lo, s39
	s_cbranch_execz .LBB146_14
; %bb.26:                               ;   in Loop: Header=BB146_16 Depth=2
	v_mov_b32_e32 v28, v32
	s_branch .LBB146_14
.LBB146_27:
	s_or_b32 exec_lo, exec_lo, s20
.LBB146_28:
	s_delay_alu instid0(SALU_CYCLE_1)
	s_and_not1_b32 vcc_lo, exec_lo, s33
	s_cbranch_vccnz .LBB146_45
; %bb.29:
	s_wait_kmcnt 0x0
	s_lshl_b64 s[0:1], s[34:35], 3
	v_mov_b32_e32 v1, 0
	s_add_nc_u64 s[0:1], s[12:13], s[0:1]
	s_load_b128 s[4:7], s[0:1], 0x0
	s_wait_xcnt 0x0
	s_mov_b32 s1, 0
	s_mov_b32 s0, s23
	s_delay_alu instid0(SALU_CYCLE_1) | instskip(SKIP_1) | instid1(VALU_DEP_1)
	v_sub_nc_u64_e64 v[2:3], v[0:1], s[0:1]
	s_wait_kmcnt 0x0
	v_add_nc_u64_e32 v[12:13], s[4:5], v[2:3]
	s_sub_nc_u64 s[2:3], s[6:7], s[0:1]
	s_mov_b32 s4, exec_lo
	s_delay_alu instid0(VALU_DEP_1)
	v_cmpx_gt_i64_e64 s[2:3], v[12:13]
	s_cbranch_execz .LBB146_44
; %bb.30:
	s_mov_b32 s5, s1
	s_branch .LBB146_33
.LBB146_31:                             ;   in Loop: Header=BB146_33 Depth=1
	s_or_b32 exec_lo, exec_lo, s7
.LBB146_32:                             ;   in Loop: Header=BB146_33 Depth=1
	s_delay_alu instid0(SALU_CYCLE_1)
	s_or_b32 exec_lo, exec_lo, s6
	s_wait_loadcnt 0x0
	v_mul_f64_e64 v[16:17], v[4:5], -v[6:7]
	v_mul_f64_e32 v[4:5], v[8:9], v[4:5]
	v_lshl_add_u32 v1, v14, 4, 0
	v_add_nc_u64_e32 v[12:13], 0x200, v[12:13]
	s_delay_alu instid0(VALU_DEP_1)
	v_cmp_le_i64_e32 vcc_lo, s[2:3], v[12:13]
	s_or_b32 s5, vcc_lo, s5
	v_fmac_f64_e32 v[16:17], v[8:9], v[2:3]
	v_fmac_f64_e32 v[4:5], v[6:7], v[2:3]
	ds_add_f64 v1, v[16:17] offset:8192
	ds_add_f64 v1, v[4:5] offset:8200
	s_and_not1_b32 exec_lo, exec_lo, s5
	s_cbranch_execz .LBB146_44
.LBB146_33:                             ; =>This Loop Header: Depth=1
                                        ;     Child Loop BB146_36 Depth 2
	v_lshl_add_u64 v[2:3], v[12:13], 3, s[14:15]
	s_mov_b32 s6, exec_lo
	global_load_b64 v[14:15], v[2:3], off
	s_wait_xcnt 0x0
	v_lshl_add_u64 v[2:3], v[12:13], 4, s[16:17]
	global_load_b128 v[2:5], v[2:3], off
	s_wait_loadcnt 0x1
	v_sub_nc_u64_e64 v[16:17], v[14:15], s[0:1]
	s_delay_alu instid0(VALU_DEP_1) | instskip(NEXT) | instid1(VALU_DEP_1)
	v_mul_lo_u32 v1, 0x89, v16
	v_and_b32_e32 v14, 0x3ff, v1
	s_delay_alu instid0(VALU_DEP_1)
	v_lshl_add_u32 v1, v14, 3, 0
	ds_load_b64 v[20:21], v1
	s_wait_dscnt 0x0
	s_wait_xcnt 0x0
	v_cmpx_ne_u64_e64 v[20:21], v[16:17]
	s_cbranch_execz .LBB146_32
; %bb.34:                               ;   in Loop: Header=BB146_33 Depth=1
	s_mov_b32 s7, 0
                                        ; implicit-def: $sgpr8
                                        ; implicit-def: $sgpr9
	s_branch .LBB146_36
.LBB146_35:                             ;   in Loop: Header=BB146_36 Depth=2
	s_or_b32 exec_lo, exec_lo, s12
	s_delay_alu instid0(SALU_CYCLE_1) | instskip(NEXT) | instid1(SALU_CYCLE_1)
	s_and_b32 s10, exec_lo, s11
	s_or_b32 s7, s10, s7
	s_and_not1_b32 s8, s8, exec_lo
	s_and_b32 s10, s9, exec_lo
	s_delay_alu instid0(SALU_CYCLE_1)
	s_or_b32 s8, s8, s10
	s_and_not1_b32 exec_lo, exec_lo, s7
	s_cbranch_execz .LBB146_42
.LBB146_36:                             ;   Parent Loop BB146_33 Depth=1
                                        ; =>  This Inner Loop Header: Depth=2
	v_mov_b64_e32 v[18:19], v[14:15]
	s_mov_b32 s10, 0
	s_mov_b32 s11, exec_lo
                                        ; implicit-def: $vgpr14_vgpr15
	v_cmpx_ne_u64_e64 s[30:31], v[20:21]
	s_xor_b32 s11, exec_lo, s11
; %bb.37:                               ;   in Loop: Header=BB146_36 Depth=2
	s_delay_alu instid0(VALU_DEP_2) | instskip(SKIP_1) | instid1(VALU_DEP_1)
	v_add_nc_u32_e32 v1, 1, v18
	s_mov_b32 s10, exec_lo
	v_and_b32_e32 v14, 0x3ff, v1
                                        ; implicit-def: $vgpr1
; %bb.38:                               ;   in Loop: Header=BB146_36 Depth=2
	s_and_not1_saveexec_b32 s11, s11
	s_cbranch_execz .LBB146_40
; %bb.39:                               ;   in Loop: Header=BB146_36 Depth=2
	v_mov_b64_e32 v[14:15], s[30:31]
	s_and_not1_b32 s10, s10, exec_lo
	ds_cmpstore_rtn_b64 v[14:15], v1, v[16:17], v[14:15]
	s_wait_dscnt 0x0
	v_cmp_ne_u64_e32 vcc_lo, s[30:31], v[14:15]
	v_mov_b64_e32 v[14:15], v[18:19]
	s_and_b32 s12, vcc_lo, exec_lo
	s_delay_alu instid0(SALU_CYCLE_1)
	s_or_b32 s10, s10, s12
.LBB146_40:                             ;   in Loop: Header=BB146_36 Depth=2
	s_or_b32 exec_lo, exec_lo, s11
	s_mov_b32 s11, -1
	s_or_b32 s9, s9, exec_lo
                                        ; implicit-def: $vgpr1
                                        ; implicit-def: $vgpr20_vgpr21
	s_and_saveexec_b32 s12, s10
	s_cbranch_execz .LBB146_35
; %bb.41:                               ;   in Loop: Header=BB146_36 Depth=2
	v_lshl_add_u32 v1, v14, 3, 0
	s_and_not1_b32 s9, s9, exec_lo
	ds_load_b64 v[20:21], v1
	s_wait_dscnt 0x0
	v_cmp_eq_u64_e32 vcc_lo, v[20:21], v[16:17]
	s_or_not1_b32 s11, vcc_lo, exec_lo
	s_branch .LBB146_35
.LBB146_42:                             ;   in Loop: Header=BB146_33 Depth=1
	s_or_b32 exec_lo, exec_lo, s7
	s_and_saveexec_b32 s7, s8
	s_delay_alu instid0(SALU_CYCLE_1)
	s_xor_b32 s7, exec_lo, s7
	s_cbranch_execz .LBB146_31
; %bb.43:                               ;   in Loop: Header=BB146_33 Depth=1
	v_mov_b32_e32 v14, v18
	s_branch .LBB146_31
.LBB146_44:
	s_or_b32 exec_lo, exec_lo, s4
.LBB146_45:
	v_dual_mov_b32 v3, 0 :: v_dual_bitop2_b32 v2, 31, v39 bitop3:0x14
	v_mov_b64_e32 v[6:7], 0
	v_lshl_add_u32 v1, v10, 3, 0
	v_cmp_lt_u32_e64 s0, 31, v0
	s_delay_alu instid0(VALU_DEP_4)
	v_lshrrev_b32_e64 v4, v2, -1
	v_cmp_lt_u32_e64 s1, 63, v0
	v_cmp_lt_u32_e64 s2, 0x5f, v0
	v_cmp_lt_u32_e64 s3, 0x7f, v0
	v_cmp_lt_u32_e64 s4, 0x9f, v0
	v_cmp_lt_u32_e64 s5, 0xbf, v0
	v_cmp_lt_u32_e64 s6, 0xdf, v0
	v_cmp_lt_u32_e64 s7, 0xff, v0
	v_cmp_lt_u32_e64 s8, 0x11f, v0
	v_cmp_lt_u32_e64 s9, 0x13f, v0
	v_cmp_lt_u32_e64 s10, 0x15f, v0
	v_cmp_lt_u32_e64 s11, 0x17f, v0
	v_cmp_lt_u32_e64 s12, 0x19f, v0
	v_cmp_lt_u32_e64 s13, 0x1bf, v0
	v_cmp_lt_u32_e64 s14, 0x1df, v0
	s_mov_b32 s16, 0
	s_wait_dscnt 0x0
	v_cmp_eq_u32_e32 vcc_lo, 0x1ff, v0
	s_barrier_signal -1
	s_barrier_wait -1
	s_branch .LBB146_47
.LBB146_46:                             ;   in Loop: Header=BB146_47 Depth=1
	s_or_b32 exec_lo, exec_lo, s15
	s_wait_dscnt 0x0
	s_barrier_signal -1
	s_barrier_wait -1
	ds_load_b64 v[8:9], v3 offset:24696
	v_add_co_u32 v36, s15, 0x200, v36
	s_xor_b32 s15, s15, -1
	v_add_nc_u32_e32 v38, 0x2000, v38
	v_add_nc_u32_e32 v37, 0x1000, v37
	s_and_b32 s15, exec_lo, s15
	s_delay_alu instid0(SALU_CYCLE_1)
	s_or_b32 s16, s15, s16
	s_wait_dscnt 0x0
	v_add_nc_u64_e32 v[6:7], v[8:9], v[6:7]
	s_and_not1_b32 exec_lo, exec_lo, s16
	s_cbranch_execz .LBB146_81
.LBB146_47:                             ; =>This Inner Loop Header: Depth=1
	ds_load_b64 v[8:9], v37
	ds_load_2addr_b64 v[10:13], v38 offset1:1
	s_wait_dscnt 0x1
	v_cmp_gt_i64_e64 s15, s[30:31], v[8:9]
	s_wait_dscnt 0x0
	scratch_store_b128 off, v[10:13], off
	s_wait_storecnt 0x0
	s_barrier_signal -1
	s_barrier_wait -1
	s_bcnt1_i32_b32 s17, s15
	s_delay_alu instid0(SALU_CYCLE_1) | instskip(SKIP_1) | instid1(VALU_DEP_1)
	v_dual_mov_b32 v2, s17 :: v_dual_bitop2_b32 v5, s15, v4 bitop3:0x40
	s_wait_xcnt 0x0
	v_bcnt_u32_b32 v10, v5, 0
	ds_store_b64 v1, v[2:3] offset:24576
	s_wait_dscnt 0x0
	s_barrier_signal -1
	s_barrier_wait -1
	s_and_saveexec_b32 s17, s0
	s_cbranch_execnz .LBB146_64
; %bb.48:                               ;   in Loop: Header=BB146_47 Depth=1
	s_or_b32 exec_lo, exec_lo, s17
	s_and_saveexec_b32 s17, s1
	s_cbranch_execnz .LBB146_65
.LBB146_49:                             ;   in Loop: Header=BB146_47 Depth=1
	s_or_b32 exec_lo, exec_lo, s17
	s_and_saveexec_b32 s17, s2
	s_cbranch_execnz .LBB146_66
.LBB146_50:                             ;   in Loop: Header=BB146_47 Depth=1
	s_or_b32 exec_lo, exec_lo, s17
	s_and_saveexec_b32 s17, s3
	s_cbranch_execnz .LBB146_67
.LBB146_51:                             ;   in Loop: Header=BB146_47 Depth=1
	s_or_b32 exec_lo, exec_lo, s17
	s_and_saveexec_b32 s17, s4
	s_cbranch_execnz .LBB146_68
.LBB146_52:                             ;   in Loop: Header=BB146_47 Depth=1
	s_or_b32 exec_lo, exec_lo, s17
	s_and_saveexec_b32 s17, s5
	s_cbranch_execnz .LBB146_69
.LBB146_53:                             ;   in Loop: Header=BB146_47 Depth=1
	s_or_b32 exec_lo, exec_lo, s17
	s_and_saveexec_b32 s17, s6
	s_cbranch_execnz .LBB146_70
.LBB146_54:                             ;   in Loop: Header=BB146_47 Depth=1
	s_or_b32 exec_lo, exec_lo, s17
	s_and_saveexec_b32 s17, s7
	s_cbranch_execnz .LBB146_71
.LBB146_55:                             ;   in Loop: Header=BB146_47 Depth=1
	s_or_b32 exec_lo, exec_lo, s17
	s_and_saveexec_b32 s17, s8
	s_cbranch_execnz .LBB146_72
.LBB146_56:                             ;   in Loop: Header=BB146_47 Depth=1
	s_or_b32 exec_lo, exec_lo, s17
	s_and_saveexec_b32 s17, s9
	s_cbranch_execnz .LBB146_73
.LBB146_57:                             ;   in Loop: Header=BB146_47 Depth=1
	s_or_b32 exec_lo, exec_lo, s17
	s_and_saveexec_b32 s17, s10
	s_cbranch_execnz .LBB146_74
.LBB146_58:                             ;   in Loop: Header=BB146_47 Depth=1
	s_or_b32 exec_lo, exec_lo, s17
	s_and_saveexec_b32 s17, s11
	s_cbranch_execnz .LBB146_75
.LBB146_59:                             ;   in Loop: Header=BB146_47 Depth=1
	s_or_b32 exec_lo, exec_lo, s17
	s_and_saveexec_b32 s17, s12
	s_cbranch_execnz .LBB146_76
.LBB146_60:                             ;   in Loop: Header=BB146_47 Depth=1
	s_or_b32 exec_lo, exec_lo, s17
	s_and_saveexec_b32 s17, s13
	s_cbranch_execnz .LBB146_77
.LBB146_61:                             ;   in Loop: Header=BB146_47 Depth=1
	s_or_b32 exec_lo, exec_lo, s17
	s_and_saveexec_b32 s17, s14
	s_cbranch_execnz .LBB146_78
.LBB146_62:                             ;   in Loop: Header=BB146_47 Depth=1
	s_or_b32 exec_lo, exec_lo, s17
	v_ashrrev_i32_e32 v11, 31, v10
	s_and_saveexec_b32 s17, s15
	s_cbranch_execnz .LBB146_79
.LBB146_63:                             ;   in Loop: Header=BB146_47 Depth=1
	s_or_b32 exec_lo, exec_lo, s17
	s_and_saveexec_b32 s15, vcc_lo
	s_cbranch_execz .LBB146_46
	s_branch .LBB146_80
.LBB146_64:                             ;   in Loop: Header=BB146_47 Depth=1
	ds_load_b32 v2, v3 offset:24576
	s_wait_dscnt 0x0
	v_add_nc_u32_e32 v10, v2, v10
	s_or_b32 exec_lo, exec_lo, s17
	s_and_saveexec_b32 s17, s1
	s_cbranch_execz .LBB146_49
.LBB146_65:                             ;   in Loop: Header=BB146_47 Depth=1
	ds_load_b32 v2, v3 offset:24584
	s_wait_dscnt 0x0
	v_add_nc_u32_e32 v10, v10, v2
	s_or_b32 exec_lo, exec_lo, s17
	s_and_saveexec_b32 s17, s2
	s_cbranch_execz .LBB146_50
.LBB146_66:                             ;   in Loop: Header=BB146_47 Depth=1
	ds_load_b32 v2, v3 offset:24592
	s_wait_dscnt 0x0
	v_add_nc_u32_e32 v10, v10, v2
	s_or_b32 exec_lo, exec_lo, s17
	s_and_saveexec_b32 s17, s3
	s_cbranch_execz .LBB146_51
.LBB146_67:                             ;   in Loop: Header=BB146_47 Depth=1
	ds_load_b32 v2, v3 offset:24600
	s_wait_dscnt 0x0
	v_add_nc_u32_e32 v10, v10, v2
	s_or_b32 exec_lo, exec_lo, s17
	s_and_saveexec_b32 s17, s4
	s_cbranch_execz .LBB146_52
.LBB146_68:                             ;   in Loop: Header=BB146_47 Depth=1
	ds_load_b32 v2, v3 offset:24608
	s_wait_dscnt 0x0
	v_add_nc_u32_e32 v10, v10, v2
	s_or_b32 exec_lo, exec_lo, s17
	s_and_saveexec_b32 s17, s5
	s_cbranch_execz .LBB146_53
.LBB146_69:                             ;   in Loop: Header=BB146_47 Depth=1
	ds_load_b32 v2, v3 offset:24616
	s_wait_dscnt 0x0
	v_add_nc_u32_e32 v10, v10, v2
	s_or_b32 exec_lo, exec_lo, s17
	s_and_saveexec_b32 s17, s6
	s_cbranch_execz .LBB146_54
.LBB146_70:                             ;   in Loop: Header=BB146_47 Depth=1
	ds_load_b32 v2, v3 offset:24624
	s_wait_dscnt 0x0
	v_add_nc_u32_e32 v10, v10, v2
	s_or_b32 exec_lo, exec_lo, s17
	s_and_saveexec_b32 s17, s7
	s_cbranch_execz .LBB146_55
.LBB146_71:                             ;   in Loop: Header=BB146_47 Depth=1
	ds_load_b32 v2, v3 offset:24632
	s_wait_dscnt 0x0
	v_add_nc_u32_e32 v10, v10, v2
	s_or_b32 exec_lo, exec_lo, s17
	s_and_saveexec_b32 s17, s8
	s_cbranch_execz .LBB146_56
.LBB146_72:                             ;   in Loop: Header=BB146_47 Depth=1
	ds_load_b32 v2, v3 offset:24640
	s_wait_dscnt 0x0
	v_add_nc_u32_e32 v10, v10, v2
	s_or_b32 exec_lo, exec_lo, s17
	s_and_saveexec_b32 s17, s9
	s_cbranch_execz .LBB146_57
.LBB146_73:                             ;   in Loop: Header=BB146_47 Depth=1
	ds_load_b32 v2, v3 offset:24648
	s_wait_dscnt 0x0
	v_add_nc_u32_e32 v10, v10, v2
	s_or_b32 exec_lo, exec_lo, s17
	s_and_saveexec_b32 s17, s10
	s_cbranch_execz .LBB146_58
.LBB146_74:                             ;   in Loop: Header=BB146_47 Depth=1
	ds_load_b32 v2, v3 offset:24656
	s_wait_dscnt 0x0
	v_add_nc_u32_e32 v10, v10, v2
	s_or_b32 exec_lo, exec_lo, s17
	s_and_saveexec_b32 s17, s11
	s_cbranch_execz .LBB146_59
.LBB146_75:                             ;   in Loop: Header=BB146_47 Depth=1
	ds_load_b32 v2, v3 offset:24664
	s_wait_dscnt 0x0
	v_add_nc_u32_e32 v10, v10, v2
	s_or_b32 exec_lo, exec_lo, s17
	s_and_saveexec_b32 s17, s12
	s_cbranch_execz .LBB146_60
.LBB146_76:                             ;   in Loop: Header=BB146_47 Depth=1
	ds_load_b32 v2, v3 offset:24672
	s_wait_dscnt 0x0
	v_add_nc_u32_e32 v10, v10, v2
	s_or_b32 exec_lo, exec_lo, s17
	s_and_saveexec_b32 s17, s13
	s_cbranch_execz .LBB146_61
.LBB146_77:                             ;   in Loop: Header=BB146_47 Depth=1
	ds_load_b32 v2, v3 offset:24680
	s_wait_dscnt 0x0
	v_add_nc_u32_e32 v10, v10, v2
	s_or_b32 exec_lo, exec_lo, s17
	s_and_saveexec_b32 s17, s14
	s_cbranch_execz .LBB146_62
.LBB146_78:                             ;   in Loop: Header=BB146_47 Depth=1
	ds_load_b32 v2, v3 offset:24688
	s_wait_dscnt 0x0
	v_add_nc_u32_e32 v10, v10, v2
	s_or_b32 exec_lo, exec_lo, s17
	s_delay_alu instid0(VALU_DEP_1)
	v_ashrrev_i32_e32 v11, 31, v10
	s_and_saveexec_b32 s17, s15
	s_cbranch_execz .LBB146_63
.LBB146_79:                             ;   in Loop: Header=BB146_47 Depth=1
	scratch_load_b128 v[12:15], off, off
	v_add3_u32 v2, v6, -1, v10
	v_add_lshl_u32 v5, v6, v10, 4
	s_delay_alu instid0(VALU_DEP_2) | instskip(NEXT) | instid1(VALU_DEP_2)
	v_lshl_add_u32 v2, v2, 3, 0
	v_add3_u32 v5, 0, v5, 0x1ff0
	ds_store_b64 v2, v[8:9]
	s_wait_loadcnt 0x0
	ds_store_2addr_b64 v5, v[12:13], v[14:15] offset1:1
	s_or_b32 exec_lo, exec_lo, s17
	s_and_saveexec_b32 s15, vcc_lo
	s_cbranch_execz .LBB146_46
.LBB146_80:                             ;   in Loop: Header=BB146_47 Depth=1
	ds_store_b64 v3, v[10:11] offset:24696
	s_branch .LBB146_46
.LBB146_81:
	s_or_b32 exec_lo, exec_lo, s16
	s_wait_kmcnt 0x0
	s_lshl_b64 s[0:1], s[34:35], 3
	v_mov_b32_e32 v1, 0
	s_add_nc_u64 s[4:5], s[18:19], s[0:1]
	s_mov_b32 s6, exec_lo
	s_load_b128 s[0:3], s[4:5], 0x0
	s_wait_kmcnt 0x0
	s_sub_nc_u64 s[4:5], s[2:3], s[0:1]
	s_delay_alu instid0(SALU_CYCLE_1)
	v_cmpx_gt_i64_e64 s[4:5], v[0:1]
	s_cbranch_execz .LBB146_91
; %bb.82:
	s_sub_nc_u64 s[8:9], s[0:1], s[2:3]
	s_and_b64 s[6:7], s[4:5], 7
	v_cmp_lt_u64_e64 s10, s[8:9], -7
	s_and_b64 s[2:3], s[4:5], -8
	s_mov_b32 s23, 0
	s_cmp_lg_u64 s[6:7], 0
	s_sub_nc_u64 s[0:1], s[0:1], s[22:23]
	s_cselect_b32 s11, -1, 0
	s_mov_b32 s12, 0
	s_branch .LBB146_84
.LBB146_83:                             ;   in Loop: Header=BB146_84 Depth=1
	s_wait_dscnt 0x0
	v_lshlrev_b32_e32 v2, 3, v0
	v_add_nc_u64_e32 v[0:1], 0x200, v[0:1]
	s_delay_alu instid0(VALU_DEP_2) | instskip(NEXT) | instid1(VALU_DEP_2)
	v_add3_u32 v2, v6, v2, 0x2000
	v_cmp_le_i64_e32 vcc_lo, s[4:5], v[0:1]
	ds_load_2addr_b64 v[6:9], v2 offset1:1
	v_lshl_add_u64 v[2:3], v[4:5], 4, s[28:29]
	s_or_b32 s12, vcc_lo, s12
	s_wait_dscnt 0x0
	global_store_b128 v[2:3], v[6:9], off
	s_wait_xcnt 0x0
	s_and_not1_b32 exec_lo, exec_lo, s12
	s_cbranch_execz .LBB146_91
.LBB146_84:                             ; =>This Loop Header: Depth=1
                                        ;     Child Loop BB146_86 Depth 2
                                        ;     Child Loop BB146_90 Depth 2
	v_lshl_add_u32 v6, v0, 3, 0
	v_mov_b64_e32 v[4:5], s[0:1]
	s_and_not1_b32 vcc_lo, exec_lo, s10
	s_mov_b64 s[8:9], 0
	ds_load_b64 v[2:3], v6
	s_cbranch_vccnz .LBB146_88
; %bb.85:                               ;   in Loop: Header=BB146_84 Depth=1
	v_mov_b64_e32 v[4:5], s[0:1]
	s_mov_b32 s13, 0
.LBB146_86:                             ;   Parent Loop BB146_84 Depth=1
                                        ; =>  This Inner Loop Header: Depth=2
	s_delay_alu instid0(SALU_CYCLE_1)
	v_dual_mov_b32 v7, s13 :: v_dual_mov_b32 v17, s23
	s_add_nc_u64 s[8:9], s[8:9], 8
	s_add_co_i32 s13, s13, 64
	s_cmp_eq_u64 s[2:3], s[8:9]
	ds_load_2addr_b64 v[8:11], v7 offset1:1
	ds_load_2addr_b64 v[12:15], v7 offset0:2 offset1:3
	s_wait_dscnt 0x1
	v_cmp_gt_i64_e32 vcc_lo, v[2:3], v[8:9]
	v_cndmask_b32_e64 v16, 0, 1, vcc_lo
	v_cmp_gt_i64_e32 vcc_lo, v[2:3], v[10:11]
	ds_load_2addr_b64 v[8:11], v7 offset0:4 offset1:5
	v_add_nc_u64_e32 v[4:5], v[4:5], v[16:17]
	v_cndmask_b32_e64 v18, 0, 1, vcc_lo
	s_wait_dscnt 0x1
	v_cmp_gt_i64_e32 vcc_lo, v[2:3], v[12:13]
	v_cndmask_b32_e64 v16, 0, 1, vcc_lo
	v_cmp_gt_i64_e32 vcc_lo, v[2:3], v[14:15]
	ds_load_2addr_b64 v[12:15], v7 offset0:6 offset1:7
	v_mov_b32_e32 v19, s23
	s_delay_alu instid0(VALU_DEP_1) | instskip(SKIP_4) | instid1(VALU_DEP_4)
	v_add_nc_u64_e32 v[4:5], v[4:5], v[18:19]
	v_cndmask_b32_e64 v18, 0, 1, vcc_lo
	s_wait_dscnt 0x1
	v_cmp_gt_i64_e32 vcc_lo, v[2:3], v[8:9]
	v_mov_b32_e32 v9, s23
	v_add_nc_u64_e32 v[4:5], v[4:5], v[16:17]
	v_cndmask_b32_e64 v16, 0, 1, vcc_lo
	v_cmp_gt_i64_e32 vcc_lo, v[2:3], v[10:11]
	v_mov_b32_e32 v11, s23
	s_delay_alu instid0(VALU_DEP_4) | instskip(SKIP_3) | instid1(VALU_DEP_3)
	v_add_nc_u64_e32 v[4:5], v[4:5], v[18:19]
	v_cndmask_b32_e64 v8, 0, 1, vcc_lo
	s_wait_dscnt 0x0
	v_cmp_gt_i64_e32 vcc_lo, v[2:3], v[12:13]
	v_add_nc_u64_e32 v[4:5], v[4:5], v[16:17]
	v_cndmask_b32_e64 v10, 0, 1, vcc_lo
	v_cmp_gt_i64_e32 vcc_lo, v[2:3], v[14:15]
	s_delay_alu instid0(VALU_DEP_3) | instskip(SKIP_1) | instid1(VALU_DEP_2)
	v_add_nc_u64_e32 v[4:5], v[4:5], v[8:9]
	v_cndmask_b32_e64 v8, 0, 1, vcc_lo
	v_add_nc_u64_e32 v[4:5], v[4:5], v[10:11]
	s_delay_alu instid0(VALU_DEP_1)
	v_add_nc_u64_e32 v[4:5], v[4:5], v[8:9]
	s_cbranch_scc0 .LBB146_86
; %bb.87:                               ;   in Loop: Header=BB146_84 Depth=1
	s_mov_b64 s[8:9], s[2:3]
.LBB146_88:                             ;   in Loop: Header=BB146_84 Depth=1
	s_and_not1_b32 vcc_lo, exec_lo, s11
	s_cbranch_vccnz .LBB146_83
; %bb.89:                               ;   in Loop: Header=BB146_84 Depth=1
	s_lshl_b32 s8, s8, 3
	s_delay_alu instid0(SALU_CYCLE_1)
	s_add_co_i32 s13, s8, 0
	s_mov_b64 s[8:9], s[6:7]
.LBB146_90:                             ;   Parent Loop BB146_84 Depth=1
                                        ; =>  This Inner Loop Header: Depth=2
	v_dual_mov_b32 v7, s13 :: v_dual_mov_b32 v11, s23
	s_add_nc_u64 s[8:9], s[8:9], -1
	s_add_co_i32 s13, s13, 8
	s_cmp_lg_u64 s[8:9], 0
	ds_load_b64 v[8:9], v7
	s_wait_dscnt 0x0
	v_cmp_gt_i64_e32 vcc_lo, v[2:3], v[8:9]
	v_cndmask_b32_e64 v10, 0, 1, vcc_lo
	s_delay_alu instid0(VALU_DEP_1)
	v_add_nc_u64_e32 v[4:5], v[4:5], v[10:11]
	s_cbranch_scc1 .LBB146_90
	s_branch .LBB146_83
.LBB146_91:
	s_endpgm
	.section	.rodata,"a",@progbits
	.p2align	6, 0x0
	.amdhsa_kernel _ZN9rocsparseL41csrgemm_numeric_fill_block_per_row_kernelILj512ELj32ELj1024ELj137ELj32Ell21rocsparse_complex_numIdEEEvT5_PKS3_S5_NS_24const_host_device_scalarIT6_EEPKT4_S5_PKS7_SB_S5_SD_S8_SB_S5_SD_SB_S5_PS7_21rocsparse_index_base_SF_SF_SF_bbb
		.amdhsa_group_segment_fixed_size 0
		.amdhsa_private_segment_fixed_size 40
		.amdhsa_kernarg_size 172
		.amdhsa_user_sgpr_count 2
		.amdhsa_user_sgpr_dispatch_ptr 0
		.amdhsa_user_sgpr_queue_ptr 0
		.amdhsa_user_sgpr_kernarg_segment_ptr 1
		.amdhsa_user_sgpr_dispatch_id 0
		.amdhsa_user_sgpr_kernarg_preload_length 0
		.amdhsa_user_sgpr_kernarg_preload_offset 0
		.amdhsa_user_sgpr_private_segment_size 0
		.amdhsa_wavefront_size32 1
		.amdhsa_uses_dynamic_stack 0
		.amdhsa_enable_private_segment 1
		.amdhsa_system_sgpr_workgroup_id_x 1
		.amdhsa_system_sgpr_workgroup_id_y 0
		.amdhsa_system_sgpr_workgroup_id_z 0
		.amdhsa_system_sgpr_workgroup_info 0
		.amdhsa_system_vgpr_workitem_id 0
		.amdhsa_next_free_vgpr 40
		.amdhsa_next_free_sgpr 45
		.amdhsa_named_barrier_count 0
		.amdhsa_reserve_vcc 1
		.amdhsa_float_round_mode_32 0
		.amdhsa_float_round_mode_16_64 0
		.amdhsa_float_denorm_mode_32 3
		.amdhsa_float_denorm_mode_16_64 3
		.amdhsa_fp16_overflow 0
		.amdhsa_memory_ordered 1
		.amdhsa_forward_progress 1
		.amdhsa_inst_pref_size 29
		.amdhsa_round_robin_scheduling 0
		.amdhsa_exception_fp_ieee_invalid_op 0
		.amdhsa_exception_fp_denorm_src 0
		.amdhsa_exception_fp_ieee_div_zero 0
		.amdhsa_exception_fp_ieee_overflow 0
		.amdhsa_exception_fp_ieee_underflow 0
		.amdhsa_exception_fp_ieee_inexact 0
		.amdhsa_exception_int_div_zero 0
	.end_amdhsa_kernel
	.section	.text._ZN9rocsparseL41csrgemm_numeric_fill_block_per_row_kernelILj512ELj32ELj1024ELj137ELj32Ell21rocsparse_complex_numIdEEEvT5_PKS3_S5_NS_24const_host_device_scalarIT6_EEPKT4_S5_PKS7_SB_S5_SD_S8_SB_S5_SD_SB_S5_PS7_21rocsparse_index_base_SF_SF_SF_bbb,"axG",@progbits,_ZN9rocsparseL41csrgemm_numeric_fill_block_per_row_kernelILj512ELj32ELj1024ELj137ELj32Ell21rocsparse_complex_numIdEEEvT5_PKS3_S5_NS_24const_host_device_scalarIT6_EEPKT4_S5_PKS7_SB_S5_SD_S8_SB_S5_SD_SB_S5_PS7_21rocsparse_index_base_SF_SF_SF_bbb,comdat
.Lfunc_end146:
	.size	_ZN9rocsparseL41csrgemm_numeric_fill_block_per_row_kernelILj512ELj32ELj1024ELj137ELj32Ell21rocsparse_complex_numIdEEEvT5_PKS3_S5_NS_24const_host_device_scalarIT6_EEPKT4_S5_PKS7_SB_S5_SD_S8_SB_S5_SD_SB_S5_PS7_21rocsparse_index_base_SF_SF_SF_bbb, .Lfunc_end146-_ZN9rocsparseL41csrgemm_numeric_fill_block_per_row_kernelILj512ELj32ELj1024ELj137ELj32Ell21rocsparse_complex_numIdEEEvT5_PKS3_S5_NS_24const_host_device_scalarIT6_EEPKT4_S5_PKS7_SB_S5_SD_S8_SB_S5_SD_SB_S5_PS7_21rocsparse_index_base_SF_SF_SF_bbb
                                        ; -- End function
	.set _ZN9rocsparseL41csrgemm_numeric_fill_block_per_row_kernelILj512ELj32ELj1024ELj137ELj32Ell21rocsparse_complex_numIdEEEvT5_PKS3_S5_NS_24const_host_device_scalarIT6_EEPKT4_S5_PKS7_SB_S5_SD_S8_SB_S5_SD_SB_S5_PS7_21rocsparse_index_base_SF_SF_SF_bbb.num_vgpr, 40
	.set _ZN9rocsparseL41csrgemm_numeric_fill_block_per_row_kernelILj512ELj32ELj1024ELj137ELj32Ell21rocsparse_complex_numIdEEEvT5_PKS3_S5_NS_24const_host_device_scalarIT6_EEPKT4_S5_PKS7_SB_S5_SD_S8_SB_S5_SD_SB_S5_PS7_21rocsparse_index_base_SF_SF_SF_bbb.num_agpr, 0
	.set _ZN9rocsparseL41csrgemm_numeric_fill_block_per_row_kernelILj512ELj32ELj1024ELj137ELj32Ell21rocsparse_complex_numIdEEEvT5_PKS3_S5_NS_24const_host_device_scalarIT6_EEPKT4_S5_PKS7_SB_S5_SD_S8_SB_S5_SD_SB_S5_PS7_21rocsparse_index_base_SF_SF_SF_bbb.numbered_sgpr, 45
	.set _ZN9rocsparseL41csrgemm_numeric_fill_block_per_row_kernelILj512ELj32ELj1024ELj137ELj32Ell21rocsparse_complex_numIdEEEvT5_PKS3_S5_NS_24const_host_device_scalarIT6_EEPKT4_S5_PKS7_SB_S5_SD_S8_SB_S5_SD_SB_S5_PS7_21rocsparse_index_base_SF_SF_SF_bbb.num_named_barrier, 0
	.set _ZN9rocsparseL41csrgemm_numeric_fill_block_per_row_kernelILj512ELj32ELj1024ELj137ELj32Ell21rocsparse_complex_numIdEEEvT5_PKS3_S5_NS_24const_host_device_scalarIT6_EEPKT4_S5_PKS7_SB_S5_SD_S8_SB_S5_SD_SB_S5_PS7_21rocsparse_index_base_SF_SF_SF_bbb.private_seg_size, 40
	.set _ZN9rocsparseL41csrgemm_numeric_fill_block_per_row_kernelILj512ELj32ELj1024ELj137ELj32Ell21rocsparse_complex_numIdEEEvT5_PKS3_S5_NS_24const_host_device_scalarIT6_EEPKT4_S5_PKS7_SB_S5_SD_S8_SB_S5_SD_SB_S5_PS7_21rocsparse_index_base_SF_SF_SF_bbb.uses_vcc, 1
	.set _ZN9rocsparseL41csrgemm_numeric_fill_block_per_row_kernelILj512ELj32ELj1024ELj137ELj32Ell21rocsparse_complex_numIdEEEvT5_PKS3_S5_NS_24const_host_device_scalarIT6_EEPKT4_S5_PKS7_SB_S5_SD_S8_SB_S5_SD_SB_S5_PS7_21rocsparse_index_base_SF_SF_SF_bbb.uses_flat_scratch, 1
	.set _ZN9rocsparseL41csrgemm_numeric_fill_block_per_row_kernelILj512ELj32ELj1024ELj137ELj32Ell21rocsparse_complex_numIdEEEvT5_PKS3_S5_NS_24const_host_device_scalarIT6_EEPKT4_S5_PKS7_SB_S5_SD_S8_SB_S5_SD_SB_S5_PS7_21rocsparse_index_base_SF_SF_SF_bbb.has_dyn_sized_stack, 0
	.set _ZN9rocsparseL41csrgemm_numeric_fill_block_per_row_kernelILj512ELj32ELj1024ELj137ELj32Ell21rocsparse_complex_numIdEEEvT5_PKS3_S5_NS_24const_host_device_scalarIT6_EEPKT4_S5_PKS7_SB_S5_SD_S8_SB_S5_SD_SB_S5_PS7_21rocsparse_index_base_SF_SF_SF_bbb.has_recursion, 0
	.set _ZN9rocsparseL41csrgemm_numeric_fill_block_per_row_kernelILj512ELj32ELj1024ELj137ELj32Ell21rocsparse_complex_numIdEEEvT5_PKS3_S5_NS_24const_host_device_scalarIT6_EEPKT4_S5_PKS7_SB_S5_SD_S8_SB_S5_SD_SB_S5_PS7_21rocsparse_index_base_SF_SF_SF_bbb.has_indirect_call, 0
	.section	.AMDGPU.csdata,"",@progbits
; Kernel info:
; codeLenInByte = 3640
; TotalNumSgprs: 47
; NumVgprs: 40
; ScratchSize: 40
; MemoryBound: 0
; FloatMode: 240
; IeeeMode: 1
; LDSByteSize: 0 bytes/workgroup (compile time only)
; SGPRBlocks: 0
; VGPRBlocks: 2
; NumSGPRsForWavesPerEU: 47
; NumVGPRsForWavesPerEU: 40
; NamedBarCnt: 0
; Occupancy: 16
; WaveLimiterHint : 1
; COMPUTE_PGM_RSRC2:SCRATCH_EN: 1
; COMPUTE_PGM_RSRC2:USER_SGPR: 2
; COMPUTE_PGM_RSRC2:TRAP_HANDLER: 0
; COMPUTE_PGM_RSRC2:TGID_X_EN: 1
; COMPUTE_PGM_RSRC2:TGID_Y_EN: 0
; COMPUTE_PGM_RSRC2:TGID_Z_EN: 0
; COMPUTE_PGM_RSRC2:TIDIG_COMP_CNT: 0
	.section	.text._ZN9rocsparseL41csrgemm_numeric_fill_block_per_row_kernelILj512ELj32ELj1024ELj137ELj64Ell21rocsparse_complex_numIdEEEvT5_PKS3_S5_NS_24const_host_device_scalarIT6_EEPKT4_S5_PKS7_SB_S5_SD_S8_SB_S5_SD_SB_S5_PS7_21rocsparse_index_base_SF_SF_SF_bbb,"axG",@progbits,_ZN9rocsparseL41csrgemm_numeric_fill_block_per_row_kernelILj512ELj32ELj1024ELj137ELj64Ell21rocsparse_complex_numIdEEEvT5_PKS3_S5_NS_24const_host_device_scalarIT6_EEPKT4_S5_PKS7_SB_S5_SD_S8_SB_S5_SD_SB_S5_PS7_21rocsparse_index_base_SF_SF_SF_bbb,comdat
	.globl	_ZN9rocsparseL41csrgemm_numeric_fill_block_per_row_kernelILj512ELj32ELj1024ELj137ELj64Ell21rocsparse_complex_numIdEEEvT5_PKS3_S5_NS_24const_host_device_scalarIT6_EEPKT4_S5_PKS7_SB_S5_SD_S8_SB_S5_SD_SB_S5_PS7_21rocsparse_index_base_SF_SF_SF_bbb ; -- Begin function _ZN9rocsparseL41csrgemm_numeric_fill_block_per_row_kernelILj512ELj32ELj1024ELj137ELj64Ell21rocsparse_complex_numIdEEEvT5_PKS3_S5_NS_24const_host_device_scalarIT6_EEPKT4_S5_PKS7_SB_S5_SD_S8_SB_S5_SD_SB_S5_PS7_21rocsparse_index_base_SF_SF_SF_bbb
	.p2align	8
	.type	_ZN9rocsparseL41csrgemm_numeric_fill_block_per_row_kernelILj512ELj32ELj1024ELj137ELj64Ell21rocsparse_complex_numIdEEEvT5_PKS3_S5_NS_24const_host_device_scalarIT6_EEPKT4_S5_PKS7_SB_S5_SD_S8_SB_S5_SD_SB_S5_PS7_21rocsparse_index_base_SF_SF_SF_bbb,@function
_ZN9rocsparseL41csrgemm_numeric_fill_block_per_row_kernelILj512ELj32ELj1024ELj137ELj64Ell21rocsparse_complex_numIdEEEvT5_PKS3_S5_NS_24const_host_device_scalarIT6_EEPKT4_S5_PKS7_SB_S5_SD_S8_SB_S5_SD_SB_S5_PS7_21rocsparse_index_base_SF_SF_SF_bbb: ; @_ZN9rocsparseL41csrgemm_numeric_fill_block_per_row_kernelILj512ELj32ELj1024ELj137ELj64Ell21rocsparse_complex_numIdEEEvT5_PKS3_S5_NS_24const_host_device_scalarIT6_EEPKT4_S5_PKS7_SB_S5_SD_S8_SB_S5_SD_SB_S5_PS7_21rocsparse_index_base_SF_SF_SF_bbb
; %bb.0:
	s_clause 0x3
	s_load_b32 s3, s[0:1], 0xa8
	s_load_b128 s[8:11], s[0:1], 0x18
	s_load_b128 s[4:7], s[0:1], 0x58
	;; [unrolled: 1-line block ×3, first 2 shown]
	v_mov_b64_e32 v[6:7], 0
	v_mov_b64_e32 v[10:11], 0
	;; [unrolled: 1-line block ×3, first 2 shown]
	v_mbcnt_lo_u32_b32 v37, -1, 0
	s_wait_kmcnt 0x0
	s_bitcmp1_b32 s3, 0
	v_mov_b64_e32 v[2:3], s[8:9]
	s_cselect_b32 s36, -1, 0
	s_bitcmp1_b32 s3, 16
	v_mov_b64_e32 v[4:5], s[4:5]
	s_cselect_b32 s2, -1, 0
	s_clause 0x1
	scratch_store_b64 off, v[2:3], off offset:16
	scratch_store_b64 off, v[4:5], off offset:24
	s_xor_b32 s12, s2, -1
	s_bitcmp0_b32 s3, 0
	v_cndmask_b32_e64 v1, 0, 1, s12
	s_delay_alu instid0(VALU_DEP_1)
	v_cmp_ne_u32_e32 vcc_lo, 1, v1
	s_cbranch_scc1 .LBB147_3
; %bb.1:
	s_wait_xcnt 0x1
	v_dual_mov_b32 v2, 16 :: v_dual_lshlrev_b32 v3, 20, v37
	v_mov_b64_e32 v[12:13], s[10:11]
	s_and_b32 vcc_lo, exec_lo, vcc_lo
	s_delay_alu instid0(VALU_DEP_2) | instskip(NEXT) | instid1(VALU_DEP_1)
	v_add_nc_u64_e32 v[2:3], src_flat_scratch_base_lo, v[2:3]
	v_cndmask_b32_e64 v3, s9, v3, s2
	s_delay_alu instid0(VALU_DEP_2)
	v_cndmask_b32_e64 v2, s8, v2, s2
	flat_load_b64 v[10:11], v[2:3]
	s_cbranch_vccnz .LBB147_3
; %bb.2:
	v_mov_b32_e32 v1, 0
	flat_load_b64 v[12:13], v1, s[8:9] offset:8
.LBB147_3:
	s_load_b64 s[34:35], s[0:1], 0x8
	v_mov_b64_e32 v[8:9], 0
	s_bitcmp1_b32 s3, 8
	s_cselect_b32 s33, -1, 0
	s_bfe_u32 s3, s3, 0x10008
	s_delay_alu instid0(SALU_CYCLE_1)
	s_cmp_eq_u32 s3, 0
	s_cbranch_scc1 .LBB147_6
; %bb.4:
	v_dual_mov_b32 v2, 24 :: v_dual_lshlrev_b32 v3, 20, v37
	v_mov_b64_e32 v[6:7], s[6:7]
	s_and_not1_b32 vcc_lo, exec_lo, s12
	s_delay_alu instid0(VALU_DEP_2) | instskip(NEXT) | instid1(VALU_DEP_1)
	v_add_nc_u64_e32 v[2:3], src_flat_scratch_base_lo, v[2:3]
	v_cndmask_b32_e64 v3, s5, v3, s2
	s_delay_alu instid0(VALU_DEP_2)
	v_cndmask_b32_e64 v2, s4, v2, s2
	flat_load_b64 v[8:9], v[2:3]
	s_cbranch_vccnz .LBB147_6
; %bb.5:
	v_mov_b32_e32 v1, 0
	flat_load_b64 v[6:7], v1, s[4:5] offset:8
.LBB147_6:
	s_clause 0x5
	s_load_b64 s[30:31], s[0:1], 0x0
	s_load_b64 s[2:3], s[0:1], 0x10
	;; [unrolled: 1-line block ×3, first 2 shown]
	s_load_b256 s[4:11], s[0:1], 0x68
	s_load_b128 s[24:27], s[0:1], 0x48
	s_load_b256 s[12:19], s[0:1], 0x28
	v_or_b32_e32 v34, 0xfffffe00, v0
	v_lshlrev_b32_e32 v1, 4, v0
	s_wait_xcnt 0x0
	s_mov_b32 s0, 0
	v_lshl_add_u32 v35, v0, 3, 0
	s_mov_b32 s1, s0
	v_mov_b32_e32 v16, v34
	v_add3_u32 v36, v1, 0, 0x2000
	s_mov_b32 s38, s0
	s_mov_b32 s39, s0
	v_mov_b64_e32 v[2:3], s[0:1]
	v_mov_b64_e32 v[4:5], s[38:39]
	v_dual_mov_b32 v1, v35 :: v_dual_mov_b32 v17, v36
	s_wait_kmcnt 0x0
	v_mov_b64_e32 v[14:15], s[30:31]
.LBB147_7:                              ; =>This Inner Loop Header: Depth=1
	v_add_co_u32 v16, s1, 0x200, v16
	s_xor_b32 s1, s1, -1
	ds_store_b64 v1, v[14:15]
	ds_store_2addr_b64 v17, v[2:3], v[4:5] offset1:1
	v_add_nc_u32_e32 v17, 0x2000, v17
	v_add_nc_u32_e32 v1, 0x1000, v1
	s_and_b32 s1, exec_lo, s1
	s_delay_alu instid0(SALU_CYCLE_1) | instskip(NEXT) | instid1(SALU_CYCLE_1)
	s_or_b32 s0, s1, s0
	s_and_not1_b32 exec_lo, exec_lo, s0
	s_cbranch_execnz .LBB147_7
; %bb.8:
	s_or_b32 exec_lo, exec_lo, s0
	s_wait_storecnt 0x0
	s_wait_loadcnt_dscnt 0x0
	s_barrier_signal -1
	s_barrier_wait -1
	s_load_b64 s[0:1], s[34:35], 0x0
	s_wait_xcnt 0x0
	s_bfe_u32 s34, ttmp6, 0x4000c
	s_and_b32 s35, ttmp6, 15
	s_add_co_i32 s34, s34, 1
	s_getreg_b32 s37, hwreg(HW_REG_IB_STS2, 6, 4)
	s_mul_i32 s34, ttmp9, s34
	s_delay_alu instid0(SALU_CYCLE_1)
	s_add_co_i32 s35, s35, s34
	s_wait_kmcnt 0x0
	s_lshl_b64 s[0:1], s[0:1], 3
	s_cmp_eq_u32 s37, 0
	s_add_nc_u64 s[0:1], s[2:3], s[0:1]
	s_cselect_b32 s2, ttmp9, s35
	s_and_b32 vcc_lo, exec_lo, s36
	s_load_b64 s[34:35], s[0:1], s2 offset:0x0 scale_offset
	s_wait_xcnt 0x0
	s_mov_b32 s1, 0
	s_cbranch_vccz .LBB147_28
; %bb.9:
	s_wait_kmcnt 0x0
	s_lshl_b64 s[2:3], s[34:35], 3
	v_dual_mov_b32 v3, 0 :: v_dual_lshrrev_b32 v2, 5, v0
	s_add_nc_u64 s[2:3], s[12:13], s[2:3]
	s_mov_b32 s0, s20
	s_load_b128 s[36:39], s[2:3], 0x0
	s_mov_b32 s20, exec_lo
	v_sub_nc_u64_e64 v[4:5], v[2:3], s[0:1]
	s_wait_kmcnt 0x0
	s_delay_alu instid0(VALU_DEP_1)
	v_add_nc_u64_e32 v[14:15], s[36:37], v[4:5]
	s_sub_nc_u64 s[2:3], s[38:39], s[0:1]
	s_delay_alu instid0(VALU_DEP_1) | instid1(SALU_CYCLE_1)
	v_cmpx_gt_i64_e64 s[2:3], v[14:15]
	s_cbranch_execz .LBB147_27
; %bb.10:
	v_and_b32_e32 v2, 31, v0
	s_mov_b32 s13, 0
	s_mov_b32 s12, s21
	;; [unrolled: 1-line block ×3, first 2 shown]
	s_delay_alu instid0(VALU_DEP_1)
	v_sub_nc_u64_e64 v[16:17], v[2:3], s[12:13]
	s_branch .LBB147_12
.LBB147_11:                             ;   in Loop: Header=BB147_12 Depth=1
	s_or_b32 exec_lo, exec_lo, s36
	v_add_nc_u64_e32 v[14:15], 16, v[14:15]
	s_delay_alu instid0(VALU_DEP_1) | instskip(SKIP_1) | instid1(SALU_CYCLE_1)
	v_cmp_le_i64_e32 vcc_lo, s[2:3], v[14:15]
	s_or_b32 s21, vcc_lo, s21
	s_and_not1_b32 exec_lo, exec_lo, s21
	s_cbranch_execz .LBB147_27
.LBB147_12:                             ; =>This Loop Header: Depth=1
                                        ;     Child Loop BB147_16 Depth 2
                                        ;       Child Loop BB147_19 Depth 3
	v_lshl_add_u64 v[2:3], v[14:15], 3, s[14:15]
	s_mov_b32 s36, exec_lo
	global_load_b64 v[2:3], v[2:3], off
	s_wait_loadcnt 0x0
	s_wait_xcnt 0x0
	v_sub_nc_u64_e64 v[2:3], v[2:3], s[0:1]
	s_delay_alu instid0(VALU_DEP_1)
	v_lshl_add_u64 v[2:3], v[2:3], 3, s[18:19]
	global_load_b128 v[2:5], v[2:3], off
	s_wait_loadcnt 0x0
	v_sub_nc_u64_e64 v[18:19], v[4:5], s[12:13]
	v_add_nc_u64_e32 v[20:21], v[2:3], v[16:17]
	s_wait_xcnt 0x0
	s_delay_alu instid0(VALU_DEP_1)
	v_cmpx_lt_i64_e64 v[20:21], v[18:19]
	s_cbranch_execz .LBB147_11
; %bb.13:                               ;   in Loop: Header=BB147_12 Depth=1
	v_lshl_add_u64 v[2:3], v[14:15], 4, s[16:17]
	s_mov_b32 s37, 0
	global_load_b128 v[2:5], v[2:3], off
	s_wait_loadcnt 0x0
	v_mul_f64_e64 v[22:23], v[4:5], -v[12:13]
	v_mul_f64_e32 v[24:25], v[10:11], v[4:5]
	s_delay_alu instid0(VALU_DEP_2) | instskip(NEXT) | instid1(VALU_DEP_2)
	v_fmac_f64_e32 v[22:23], v[10:11], v[2:3]
	v_fmac_f64_e32 v[24:25], v[12:13], v[2:3]
	s_branch .LBB147_16
.LBB147_14:                             ;   in Loop: Header=BB147_16 Depth=2
	s_or_b32 exec_lo, exec_lo, s39
.LBB147_15:                             ;   in Loop: Header=BB147_16 Depth=2
	s_delay_alu instid0(SALU_CYCLE_1)
	s_or_b32 exec_lo, exec_lo, s38
	s_wait_loadcnt 0x0
	v_mul_f64_e64 v[28:29], v[4:5], -v[24:25]
	v_mul_f64_e32 v[4:5], v[22:23], v[4:5]
	v_lshl_add_u32 v1, v26, 4, 0
	v_add_nc_u64_e32 v[20:21], 32, v[20:21]
	s_delay_alu instid0(VALU_DEP_1)
	v_cmp_ge_i64_e32 vcc_lo, v[20:21], v[18:19]
	s_or_b32 s37, vcc_lo, s37
	v_fmac_f64_e32 v[28:29], v[22:23], v[2:3]
	v_fmac_f64_e32 v[4:5], v[24:25], v[2:3]
	ds_add_f64 v1, v[28:29] offset:8192
	ds_add_f64 v1, v[4:5] offset:8200
	s_and_not1_b32 exec_lo, exec_lo, s37
	s_cbranch_execz .LBB147_11
.LBB147_16:                             ;   Parent Loop BB147_12 Depth=1
                                        ; =>  This Loop Header: Depth=2
                                        ;       Child Loop BB147_19 Depth 3
	s_wait_xcnt 0x0
	v_lshl_add_u64 v[2:3], v[20:21], 3, s[24:25]
	s_mov_b32 s38, exec_lo
	global_load_b64 v[26:27], v[2:3], off
	s_wait_xcnt 0x0
	v_lshl_add_u64 v[2:3], v[20:21], 4, s[26:27]
	global_load_b128 v[2:5], v[2:3], off
	s_wait_loadcnt 0x1
	v_sub_nc_u64_e64 v[28:29], v[26:27], s[12:13]
	s_delay_alu instid0(VALU_DEP_1) | instskip(NEXT) | instid1(VALU_DEP_1)
	v_mul_lo_u32 v1, 0x89, v28
	v_and_b32_e32 v26, 0x3ff, v1
	s_delay_alu instid0(VALU_DEP_1)
	v_lshl_add_u32 v1, v26, 3, 0
	ds_load_b64 v[32:33], v1
	s_wait_dscnt 0x0
	s_wait_xcnt 0x0
	v_cmpx_ne_u64_e64 v[32:33], v[28:29]
	s_cbranch_execz .LBB147_15
; %bb.17:                               ;   in Loop: Header=BB147_16 Depth=2
	s_mov_b32 s39, 0
                                        ; implicit-def: $sgpr40
                                        ; implicit-def: $sgpr41
	s_branch .LBB147_19
.LBB147_18:                             ;   in Loop: Header=BB147_19 Depth=3
	s_or_b32 exec_lo, exec_lo, s44
	s_delay_alu instid0(SALU_CYCLE_1) | instskip(NEXT) | instid1(SALU_CYCLE_1)
	s_and_b32 s42, exec_lo, s43
	s_or_b32 s39, s42, s39
	s_and_not1_b32 s40, s40, exec_lo
	s_and_b32 s42, s41, exec_lo
	s_delay_alu instid0(SALU_CYCLE_1)
	s_or_b32 s40, s40, s42
	s_and_not1_b32 exec_lo, exec_lo, s39
	s_cbranch_execz .LBB147_25
.LBB147_19:                             ;   Parent Loop BB147_12 Depth=1
                                        ;     Parent Loop BB147_16 Depth=2
                                        ; =>    This Inner Loop Header: Depth=3
	v_mov_b64_e32 v[30:31], v[26:27]
	s_mov_b32 s42, 0
	s_mov_b32 s43, exec_lo
                                        ; implicit-def: $vgpr26_vgpr27
	v_cmpx_ne_u64_e64 s[30:31], v[32:33]
	s_xor_b32 s43, exec_lo, s43
; %bb.20:                               ;   in Loop: Header=BB147_19 Depth=3
	s_delay_alu instid0(VALU_DEP_2) | instskip(SKIP_1) | instid1(VALU_DEP_1)
	v_add_nc_u32_e32 v1, 1, v30
	s_mov_b32 s42, exec_lo
	v_and_b32_e32 v26, 0x3ff, v1
                                        ; implicit-def: $vgpr1
; %bb.21:                               ;   in Loop: Header=BB147_19 Depth=3
	s_and_not1_saveexec_b32 s43, s43
	s_cbranch_execz .LBB147_23
; %bb.22:                               ;   in Loop: Header=BB147_19 Depth=3
	v_mov_b64_e32 v[26:27], s[30:31]
	s_and_not1_b32 s42, s42, exec_lo
	ds_cmpstore_rtn_b64 v[26:27], v1, v[28:29], v[26:27]
	s_wait_dscnt 0x0
	v_cmp_ne_u64_e32 vcc_lo, s[30:31], v[26:27]
	v_mov_b64_e32 v[26:27], v[30:31]
	s_and_b32 s44, vcc_lo, exec_lo
	s_delay_alu instid0(SALU_CYCLE_1)
	s_or_b32 s42, s42, s44
.LBB147_23:                             ;   in Loop: Header=BB147_19 Depth=3
	s_or_b32 exec_lo, exec_lo, s43
	s_mov_b32 s43, -1
	s_or_b32 s41, s41, exec_lo
                                        ; implicit-def: $vgpr1
                                        ; implicit-def: $vgpr32_vgpr33
	s_and_saveexec_b32 s44, s42
	s_cbranch_execz .LBB147_18
; %bb.24:                               ;   in Loop: Header=BB147_19 Depth=3
	v_lshl_add_u32 v1, v26, 3, 0
	s_and_not1_b32 s41, s41, exec_lo
	ds_load_b64 v[32:33], v1
	s_wait_dscnt 0x0
	v_cmp_eq_u64_e32 vcc_lo, v[32:33], v[28:29]
	s_or_not1_b32 s43, vcc_lo, exec_lo
	s_branch .LBB147_18
.LBB147_25:                             ;   in Loop: Header=BB147_16 Depth=2
	s_or_b32 exec_lo, exec_lo, s39
	s_and_saveexec_b32 s39, s40
	s_delay_alu instid0(SALU_CYCLE_1)
	s_xor_b32 s39, exec_lo, s39
	s_cbranch_execz .LBB147_14
; %bb.26:                               ;   in Loop: Header=BB147_16 Depth=2
	v_mov_b32_e32 v26, v30
	s_branch .LBB147_14
.LBB147_27:
	s_or_b32 exec_lo, exec_lo, s20
.LBB147_28:
	s_delay_alu instid0(SALU_CYCLE_1)
	s_and_not1_b32 vcc_lo, exec_lo, s33
	s_cbranch_vccnz .LBB147_45
; %bb.29:
	s_wait_kmcnt 0x0
	s_lshl_b64 s[0:1], s[34:35], 3
	v_mov_b32_e32 v1, 0
	s_add_nc_u64 s[0:1], s[4:5], s[0:1]
	s_mov_b32 s4, exec_lo
	s_load_b128 s[12:15], s[0:1], 0x0
	s_wait_xcnt 0x0
	s_mov_b32 s1, 0
	s_mov_b32 s0, s23
	s_delay_alu instid0(SALU_CYCLE_1) | instskip(SKIP_1) | instid1(VALU_DEP_1)
	v_sub_nc_u64_e64 v[2:3], v[0:1], s[0:1]
	s_wait_kmcnt 0x0
	v_add_nc_u64_e32 v[10:11], s[12:13], v[2:3]
	s_sub_nc_u64 s[2:3], s[14:15], s[0:1]
	s_delay_alu instid0(VALU_DEP_1) | instid1(SALU_CYCLE_1)
	v_cmpx_gt_i64_e64 s[2:3], v[10:11]
	s_cbranch_execz .LBB147_44
; %bb.30:
	s_mov_b32 s5, s1
	s_branch .LBB147_33
.LBB147_31:                             ;   in Loop: Header=BB147_33 Depth=1
	s_or_b32 exec_lo, exec_lo, s13
.LBB147_32:                             ;   in Loop: Header=BB147_33 Depth=1
	s_delay_alu instid0(SALU_CYCLE_1)
	s_or_b32 exec_lo, exec_lo, s12
	s_wait_loadcnt 0x0
	v_mul_f64_e64 v[14:15], v[4:5], -v[6:7]
	v_mul_f64_e32 v[4:5], v[8:9], v[4:5]
	v_lshl_add_u32 v1, v12, 4, 0
	v_add_nc_u64_e32 v[10:11], 0x200, v[10:11]
	s_delay_alu instid0(VALU_DEP_1)
	v_cmp_le_i64_e32 vcc_lo, s[2:3], v[10:11]
	s_or_b32 s5, vcc_lo, s5
	v_fmac_f64_e32 v[14:15], v[8:9], v[2:3]
	v_fmac_f64_e32 v[4:5], v[6:7], v[2:3]
	ds_add_f64 v1, v[14:15] offset:8192
	ds_add_f64 v1, v[4:5] offset:8200
	s_and_not1_b32 exec_lo, exec_lo, s5
	s_cbranch_execz .LBB147_44
.LBB147_33:                             ; =>This Loop Header: Depth=1
                                        ;     Child Loop BB147_36 Depth 2
	v_lshl_add_u64 v[2:3], v[10:11], 3, s[6:7]
	s_mov_b32 s12, exec_lo
	global_load_b64 v[12:13], v[2:3], off
	s_wait_xcnt 0x0
	v_lshl_add_u64 v[2:3], v[10:11], 4, s[8:9]
	global_load_b128 v[2:5], v[2:3], off
	s_wait_loadcnt 0x1
	v_sub_nc_u64_e64 v[14:15], v[12:13], s[0:1]
	s_delay_alu instid0(VALU_DEP_1) | instskip(NEXT) | instid1(VALU_DEP_1)
	v_mul_lo_u32 v1, 0x89, v14
	v_and_b32_e32 v12, 0x3ff, v1
	s_delay_alu instid0(VALU_DEP_1)
	v_lshl_add_u32 v1, v12, 3, 0
	ds_load_b64 v[18:19], v1
	s_wait_dscnt 0x0
	s_wait_xcnt 0x0
	v_cmpx_ne_u64_e64 v[18:19], v[14:15]
	s_cbranch_execz .LBB147_32
; %bb.34:                               ;   in Loop: Header=BB147_33 Depth=1
	s_mov_b32 s13, 0
                                        ; implicit-def: $sgpr14
                                        ; implicit-def: $sgpr15
	s_branch .LBB147_36
.LBB147_35:                             ;   in Loop: Header=BB147_36 Depth=2
	s_or_b32 exec_lo, exec_lo, s18
	s_delay_alu instid0(SALU_CYCLE_1) | instskip(NEXT) | instid1(SALU_CYCLE_1)
	s_and_b32 s16, exec_lo, s17
	s_or_b32 s13, s16, s13
	s_and_not1_b32 s14, s14, exec_lo
	s_and_b32 s16, s15, exec_lo
	s_delay_alu instid0(SALU_CYCLE_1)
	s_or_b32 s14, s14, s16
	s_and_not1_b32 exec_lo, exec_lo, s13
	s_cbranch_execz .LBB147_42
.LBB147_36:                             ;   Parent Loop BB147_33 Depth=1
                                        ; =>  This Inner Loop Header: Depth=2
	v_mov_b64_e32 v[16:17], v[12:13]
	s_mov_b32 s16, 0
	s_mov_b32 s17, exec_lo
                                        ; implicit-def: $vgpr12_vgpr13
	v_cmpx_ne_u64_e64 s[30:31], v[18:19]
	s_xor_b32 s17, exec_lo, s17
; %bb.37:                               ;   in Loop: Header=BB147_36 Depth=2
	s_delay_alu instid0(VALU_DEP_2) | instskip(SKIP_1) | instid1(VALU_DEP_1)
	v_add_nc_u32_e32 v1, 1, v16
	s_mov_b32 s16, exec_lo
	v_and_b32_e32 v12, 0x3ff, v1
                                        ; implicit-def: $vgpr1
; %bb.38:                               ;   in Loop: Header=BB147_36 Depth=2
	s_and_not1_saveexec_b32 s17, s17
	s_cbranch_execz .LBB147_40
; %bb.39:                               ;   in Loop: Header=BB147_36 Depth=2
	v_mov_b64_e32 v[12:13], s[30:31]
	s_and_not1_b32 s16, s16, exec_lo
	ds_cmpstore_rtn_b64 v[12:13], v1, v[14:15], v[12:13]
	s_wait_dscnt 0x0
	v_cmp_ne_u64_e32 vcc_lo, s[30:31], v[12:13]
	v_mov_b64_e32 v[12:13], v[16:17]
	s_and_b32 s18, vcc_lo, exec_lo
	s_delay_alu instid0(SALU_CYCLE_1)
	s_or_b32 s16, s16, s18
.LBB147_40:                             ;   in Loop: Header=BB147_36 Depth=2
	s_or_b32 exec_lo, exec_lo, s17
	s_mov_b32 s17, -1
	s_or_b32 s15, s15, exec_lo
                                        ; implicit-def: $vgpr1
                                        ; implicit-def: $vgpr18_vgpr19
	s_and_saveexec_b32 s18, s16
	s_cbranch_execz .LBB147_35
; %bb.41:                               ;   in Loop: Header=BB147_36 Depth=2
	v_lshl_add_u32 v1, v12, 3, 0
	s_and_not1_b32 s15, s15, exec_lo
	ds_load_b64 v[18:19], v1
	s_wait_dscnt 0x0
	v_cmp_eq_u64_e32 vcc_lo, v[18:19], v[14:15]
	s_or_not1_b32 s17, vcc_lo, exec_lo
	s_branch .LBB147_35
.LBB147_42:                             ;   in Loop: Header=BB147_33 Depth=1
	s_or_b32 exec_lo, exec_lo, s13
	s_and_saveexec_b32 s13, s14
	s_delay_alu instid0(SALU_CYCLE_1)
	s_xor_b32 s13, exec_lo, s13
	s_cbranch_execz .LBB147_31
; %bb.43:                               ;   in Loop: Header=BB147_33 Depth=1
	v_mov_b32_e32 v12, v16
	s_branch .LBB147_31
.LBB147_44:
	s_or_b32 exec_lo, exec_lo, s4
.LBB147_45:
	v_dual_lshrrev_b32 v1, 3, v0 :: v_dual_bitop2_b32 v2, 31, v37 bitop3:0x14
	v_mov_b32_e32 v3, 0
	v_mov_b64_e32 v[6:7], 0
	v_cmp_lt_u32_e64 s0, 63, v0
	s_delay_alu instid0(VALU_DEP_4)
	v_and_b32_e32 v1, 56, v1
	v_cmp_lt_u32_e64 s1, 0x7f, v0
	v_cmp_lt_u32_e64 s2, 0xbf, v0
	v_lshrrev_b32_e64 v4, v2, -1
	v_cmp_lt_u32_e64 s3, 0xff, v0
	v_add_nc_u32_e32 v1, 0, v1
	v_cmp_lt_u32_e64 s4, 0x13f, v0
	v_cmp_lt_u32_e64 s5, 0x17f, v0
	;; [unrolled: 1-line block ×3, first 2 shown]
	s_mov_b32 s8, 0
	s_wait_dscnt 0x0
	v_cmp_eq_u32_e32 vcc_lo, 0x1ff, v0
	s_barrier_signal -1
	s_barrier_wait -1
	s_branch .LBB147_47
.LBB147_46:                             ;   in Loop: Header=BB147_47 Depth=1
	s_or_b32 exec_lo, exec_lo, s7
	s_wait_dscnt 0x0
	s_barrier_signal -1
	s_barrier_wait -1
	ds_load_b64 v[8:9], v3 offset:24632
	v_add_co_u32 v34, s7, 0x200, v34
	s_xor_b32 s7, s7, -1
	v_add_nc_u32_e32 v36, 0x2000, v36
	v_add_nc_u32_e32 v35, 0x1000, v35
	s_and_b32 s7, exec_lo, s7
	s_delay_alu instid0(SALU_CYCLE_1)
	s_or_b32 s8, s7, s8
	s_wait_dscnt 0x0
	v_add_nc_u64_e32 v[6:7], v[8:9], v[6:7]
	s_and_not1_b32 exec_lo, exec_lo, s8
	s_cbranch_execz .LBB147_65
.LBB147_47:                             ; =>This Inner Loop Header: Depth=1
	ds_load_b64 v[8:9], v35
	ds_load_2addr_b64 v[10:13], v36 offset1:1
	s_wait_dscnt 0x1
	v_cmp_gt_i64_e64 s7, s[30:31], v[8:9]
	s_wait_dscnt 0x0
	scratch_store_b128 off, v[10:13], off
	s_wait_storecnt 0x0
	s_barrier_signal -1
	s_barrier_wait -1
	s_bcnt1_i32_b32 s9, s7
	s_delay_alu instid0(SALU_CYCLE_1) | instskip(SKIP_1) | instid1(VALU_DEP_1)
	v_dual_mov_b32 v2, s9 :: v_dual_bitop2_b32 v5, s7, v4 bitop3:0x40
	s_wait_xcnt 0x0
	v_bcnt_u32_b32 v10, v5, 0
	ds_store_b64 v1, v[2:3] offset:24576
	s_wait_dscnt 0x0
	s_barrier_signal -1
	s_barrier_wait -1
	s_and_saveexec_b32 s9, s0
	s_cbranch_execnz .LBB147_56
; %bb.48:                               ;   in Loop: Header=BB147_47 Depth=1
	s_or_b32 exec_lo, exec_lo, s9
	s_and_saveexec_b32 s9, s1
	s_cbranch_execnz .LBB147_57
.LBB147_49:                             ;   in Loop: Header=BB147_47 Depth=1
	s_or_b32 exec_lo, exec_lo, s9
	s_and_saveexec_b32 s9, s2
	s_cbranch_execnz .LBB147_58
.LBB147_50:                             ;   in Loop: Header=BB147_47 Depth=1
	s_or_b32 exec_lo, exec_lo, s9
	s_and_saveexec_b32 s9, s3
	s_cbranch_execnz .LBB147_59
.LBB147_51:                             ;   in Loop: Header=BB147_47 Depth=1
	s_or_b32 exec_lo, exec_lo, s9
	s_and_saveexec_b32 s9, s4
	s_cbranch_execnz .LBB147_60
.LBB147_52:                             ;   in Loop: Header=BB147_47 Depth=1
	s_or_b32 exec_lo, exec_lo, s9
	s_and_saveexec_b32 s9, s5
	s_cbranch_execnz .LBB147_61
.LBB147_53:                             ;   in Loop: Header=BB147_47 Depth=1
	s_or_b32 exec_lo, exec_lo, s9
	s_and_saveexec_b32 s9, s6
	s_cbranch_execnz .LBB147_62
.LBB147_54:                             ;   in Loop: Header=BB147_47 Depth=1
	s_or_b32 exec_lo, exec_lo, s9
	v_ashrrev_i32_e32 v11, 31, v10
	s_and_saveexec_b32 s9, s7
	s_cbranch_execnz .LBB147_63
.LBB147_55:                             ;   in Loop: Header=BB147_47 Depth=1
	s_or_b32 exec_lo, exec_lo, s9
	s_and_saveexec_b32 s7, vcc_lo
	s_cbranch_execz .LBB147_46
	s_branch .LBB147_64
.LBB147_56:                             ;   in Loop: Header=BB147_47 Depth=1
	ds_load_b32 v2, v3 offset:24576
	s_wait_dscnt 0x0
	v_add_nc_u32_e32 v10, v2, v10
	s_or_b32 exec_lo, exec_lo, s9
	s_and_saveexec_b32 s9, s1
	s_cbranch_execz .LBB147_49
.LBB147_57:                             ;   in Loop: Header=BB147_47 Depth=1
	ds_load_b32 v2, v3 offset:24584
	s_wait_dscnt 0x0
	v_add_nc_u32_e32 v10, v10, v2
	s_or_b32 exec_lo, exec_lo, s9
	s_and_saveexec_b32 s9, s2
	s_cbranch_execz .LBB147_50
.LBB147_58:                             ;   in Loop: Header=BB147_47 Depth=1
	ds_load_b32 v2, v3 offset:24592
	s_wait_dscnt 0x0
	v_add_nc_u32_e32 v10, v10, v2
	s_or_b32 exec_lo, exec_lo, s9
	s_and_saveexec_b32 s9, s3
	s_cbranch_execz .LBB147_51
.LBB147_59:                             ;   in Loop: Header=BB147_47 Depth=1
	ds_load_b32 v2, v3 offset:24600
	s_wait_dscnt 0x0
	v_add_nc_u32_e32 v10, v10, v2
	s_or_b32 exec_lo, exec_lo, s9
	s_and_saveexec_b32 s9, s4
	s_cbranch_execz .LBB147_52
.LBB147_60:                             ;   in Loop: Header=BB147_47 Depth=1
	ds_load_b32 v2, v3 offset:24608
	s_wait_dscnt 0x0
	v_add_nc_u32_e32 v10, v10, v2
	s_or_b32 exec_lo, exec_lo, s9
	s_and_saveexec_b32 s9, s5
	s_cbranch_execz .LBB147_53
.LBB147_61:                             ;   in Loop: Header=BB147_47 Depth=1
	ds_load_b32 v2, v3 offset:24616
	s_wait_dscnt 0x0
	v_add_nc_u32_e32 v10, v10, v2
	s_or_b32 exec_lo, exec_lo, s9
	s_and_saveexec_b32 s9, s6
	s_cbranch_execz .LBB147_54
.LBB147_62:                             ;   in Loop: Header=BB147_47 Depth=1
	ds_load_b32 v2, v3 offset:24624
	s_wait_dscnt 0x0
	v_add_nc_u32_e32 v10, v10, v2
	s_or_b32 exec_lo, exec_lo, s9
	s_delay_alu instid0(VALU_DEP_1)
	v_ashrrev_i32_e32 v11, 31, v10
	s_and_saveexec_b32 s9, s7
	s_cbranch_execz .LBB147_55
.LBB147_63:                             ;   in Loop: Header=BB147_47 Depth=1
	scratch_load_b128 v[12:15], off, off
	v_add3_u32 v2, v6, -1, v10
	v_add_lshl_u32 v5, v6, v10, 4
	s_delay_alu instid0(VALU_DEP_2) | instskip(NEXT) | instid1(VALU_DEP_2)
	v_lshl_add_u32 v2, v2, 3, 0
	v_add3_u32 v5, 0, v5, 0x1ff0
	ds_store_b64 v2, v[8:9]
	s_wait_loadcnt 0x0
	ds_store_2addr_b64 v5, v[12:13], v[14:15] offset1:1
	s_or_b32 exec_lo, exec_lo, s9
	s_and_saveexec_b32 s7, vcc_lo
	s_cbranch_execz .LBB147_46
.LBB147_64:                             ;   in Loop: Header=BB147_47 Depth=1
	ds_store_b64 v3, v[10:11] offset:24632
	s_branch .LBB147_46
.LBB147_65:
	s_or_b32 exec_lo, exec_lo, s8
	s_wait_kmcnt 0x0
	s_lshl_b64 s[0:1], s[34:35], 3
	v_mov_b32_e32 v1, 0
	s_add_nc_u64 s[4:5], s[10:11], s[0:1]
	s_mov_b32 s6, exec_lo
	s_load_b128 s[0:3], s[4:5], 0x0
	s_wait_kmcnt 0x0
	s_sub_nc_u64 s[4:5], s[2:3], s[0:1]
	s_delay_alu instid0(SALU_CYCLE_1)
	v_cmpx_gt_i64_e64 s[4:5], v[0:1]
	s_cbranch_execz .LBB147_75
; %bb.66:
	s_sub_nc_u64 s[8:9], s[0:1], s[2:3]
	s_and_b64 s[6:7], s[4:5], 7
	v_cmp_lt_u64_e64 s10, s[8:9], -7
	s_and_b64 s[2:3], s[4:5], -8
	s_mov_b32 s23, 0
	s_cmp_lg_u64 s[6:7], 0
	s_sub_nc_u64 s[0:1], s[0:1], s[22:23]
	s_cselect_b32 s11, -1, 0
	s_mov_b32 s12, 0
	s_branch .LBB147_68
.LBB147_67:                             ;   in Loop: Header=BB147_68 Depth=1
	s_wait_dscnt 0x0
	v_lshlrev_b32_e32 v2, 3, v0
	v_add_nc_u64_e32 v[0:1], 0x200, v[0:1]
	s_delay_alu instid0(VALU_DEP_2) | instskip(NEXT) | instid1(VALU_DEP_2)
	v_add3_u32 v2, v6, v2, 0x2000
	v_cmp_le_i64_e32 vcc_lo, s[4:5], v[0:1]
	ds_load_2addr_b64 v[6:9], v2 offset1:1
	v_lshl_add_u64 v[2:3], v[4:5], 4, s[28:29]
	s_or_b32 s12, vcc_lo, s12
	s_wait_dscnt 0x0
	global_store_b128 v[2:3], v[6:9], off
	s_wait_xcnt 0x0
	s_and_not1_b32 exec_lo, exec_lo, s12
	s_cbranch_execz .LBB147_75
.LBB147_68:                             ; =>This Loop Header: Depth=1
                                        ;     Child Loop BB147_70 Depth 2
                                        ;     Child Loop BB147_74 Depth 2
	v_lshl_add_u32 v6, v0, 3, 0
	v_mov_b64_e32 v[4:5], s[0:1]
	s_and_not1_b32 vcc_lo, exec_lo, s10
	s_mov_b64 s[8:9], 0
	ds_load_b64 v[2:3], v6
	s_cbranch_vccnz .LBB147_72
; %bb.69:                               ;   in Loop: Header=BB147_68 Depth=1
	v_mov_b64_e32 v[4:5], s[0:1]
	s_mov_b32 s13, 0
.LBB147_70:                             ;   Parent Loop BB147_68 Depth=1
                                        ; =>  This Inner Loop Header: Depth=2
	s_delay_alu instid0(SALU_CYCLE_1)
	v_dual_mov_b32 v7, s13 :: v_dual_mov_b32 v17, s23
	s_add_nc_u64 s[8:9], s[8:9], 8
	s_add_co_i32 s13, s13, 64
	s_cmp_eq_u64 s[2:3], s[8:9]
	ds_load_2addr_b64 v[8:11], v7 offset1:1
	ds_load_2addr_b64 v[12:15], v7 offset0:2 offset1:3
	s_wait_dscnt 0x1
	v_cmp_gt_i64_e32 vcc_lo, v[2:3], v[8:9]
	v_cndmask_b32_e64 v16, 0, 1, vcc_lo
	v_cmp_gt_i64_e32 vcc_lo, v[2:3], v[10:11]
	ds_load_2addr_b64 v[8:11], v7 offset0:4 offset1:5
	v_add_nc_u64_e32 v[4:5], v[4:5], v[16:17]
	v_cndmask_b32_e64 v18, 0, 1, vcc_lo
	s_wait_dscnt 0x1
	v_cmp_gt_i64_e32 vcc_lo, v[2:3], v[12:13]
	v_cndmask_b32_e64 v16, 0, 1, vcc_lo
	v_cmp_gt_i64_e32 vcc_lo, v[2:3], v[14:15]
	ds_load_2addr_b64 v[12:15], v7 offset0:6 offset1:7
	v_mov_b32_e32 v19, s23
	s_delay_alu instid0(VALU_DEP_1) | instskip(SKIP_4) | instid1(VALU_DEP_4)
	v_add_nc_u64_e32 v[4:5], v[4:5], v[18:19]
	v_cndmask_b32_e64 v18, 0, 1, vcc_lo
	s_wait_dscnt 0x1
	v_cmp_gt_i64_e32 vcc_lo, v[2:3], v[8:9]
	v_mov_b32_e32 v9, s23
	v_add_nc_u64_e32 v[4:5], v[4:5], v[16:17]
	v_cndmask_b32_e64 v16, 0, 1, vcc_lo
	v_cmp_gt_i64_e32 vcc_lo, v[2:3], v[10:11]
	v_mov_b32_e32 v11, s23
	s_delay_alu instid0(VALU_DEP_4) | instskip(SKIP_3) | instid1(VALU_DEP_3)
	v_add_nc_u64_e32 v[4:5], v[4:5], v[18:19]
	v_cndmask_b32_e64 v8, 0, 1, vcc_lo
	s_wait_dscnt 0x0
	v_cmp_gt_i64_e32 vcc_lo, v[2:3], v[12:13]
	v_add_nc_u64_e32 v[4:5], v[4:5], v[16:17]
	v_cndmask_b32_e64 v10, 0, 1, vcc_lo
	v_cmp_gt_i64_e32 vcc_lo, v[2:3], v[14:15]
	s_delay_alu instid0(VALU_DEP_3) | instskip(SKIP_1) | instid1(VALU_DEP_2)
	v_add_nc_u64_e32 v[4:5], v[4:5], v[8:9]
	v_cndmask_b32_e64 v8, 0, 1, vcc_lo
	v_add_nc_u64_e32 v[4:5], v[4:5], v[10:11]
	s_delay_alu instid0(VALU_DEP_1)
	v_add_nc_u64_e32 v[4:5], v[4:5], v[8:9]
	s_cbranch_scc0 .LBB147_70
; %bb.71:                               ;   in Loop: Header=BB147_68 Depth=1
	s_mov_b64 s[8:9], s[2:3]
.LBB147_72:                             ;   in Loop: Header=BB147_68 Depth=1
	s_and_not1_b32 vcc_lo, exec_lo, s11
	s_cbranch_vccnz .LBB147_67
; %bb.73:                               ;   in Loop: Header=BB147_68 Depth=1
	s_lshl_b32 s8, s8, 3
	s_delay_alu instid0(SALU_CYCLE_1)
	s_add_co_i32 s13, s8, 0
	s_mov_b64 s[8:9], s[6:7]
.LBB147_74:                             ;   Parent Loop BB147_68 Depth=1
                                        ; =>  This Inner Loop Header: Depth=2
	v_dual_mov_b32 v7, s13 :: v_dual_mov_b32 v11, s23
	s_add_nc_u64 s[8:9], s[8:9], -1
	s_add_co_i32 s13, s13, 8
	s_cmp_lg_u64 s[8:9], 0
	ds_load_b64 v[8:9], v7
	s_wait_dscnt 0x0
	v_cmp_gt_i64_e32 vcc_lo, v[2:3], v[8:9]
	v_cndmask_b32_e64 v10, 0, 1, vcc_lo
	s_delay_alu instid0(VALU_DEP_1)
	v_add_nc_u64_e32 v[4:5], v[4:5], v[10:11]
	s_cbranch_scc1 .LBB147_74
	s_branch .LBB147_67
.LBB147_75:
	s_endpgm
	.section	.rodata,"a",@progbits
	.p2align	6, 0x0
	.amdhsa_kernel _ZN9rocsparseL41csrgemm_numeric_fill_block_per_row_kernelILj512ELj32ELj1024ELj137ELj64Ell21rocsparse_complex_numIdEEEvT5_PKS3_S5_NS_24const_host_device_scalarIT6_EEPKT4_S5_PKS7_SB_S5_SD_S8_SB_S5_SD_SB_S5_PS7_21rocsparse_index_base_SF_SF_SF_bbb
		.amdhsa_group_segment_fixed_size 0
		.amdhsa_private_segment_fixed_size 40
		.amdhsa_kernarg_size 172
		.amdhsa_user_sgpr_count 2
		.amdhsa_user_sgpr_dispatch_ptr 0
		.amdhsa_user_sgpr_queue_ptr 0
		.amdhsa_user_sgpr_kernarg_segment_ptr 1
		.amdhsa_user_sgpr_dispatch_id 0
		.amdhsa_user_sgpr_kernarg_preload_length 0
		.amdhsa_user_sgpr_kernarg_preload_offset 0
		.amdhsa_user_sgpr_private_segment_size 0
		.amdhsa_wavefront_size32 1
		.amdhsa_uses_dynamic_stack 0
		.amdhsa_enable_private_segment 1
		.amdhsa_system_sgpr_workgroup_id_x 1
		.amdhsa_system_sgpr_workgroup_id_y 0
		.amdhsa_system_sgpr_workgroup_id_z 0
		.amdhsa_system_sgpr_workgroup_info 0
		.amdhsa_system_vgpr_workitem_id 0
		.amdhsa_next_free_vgpr 38
		.amdhsa_next_free_sgpr 45
		.amdhsa_named_barrier_count 0
		.amdhsa_reserve_vcc 1
		.amdhsa_float_round_mode_32 0
		.amdhsa_float_round_mode_16_64 0
		.amdhsa_float_denorm_mode_32 3
		.amdhsa_float_denorm_mode_16_64 3
		.amdhsa_fp16_overflow 0
		.amdhsa_memory_ordered 1
		.amdhsa_forward_progress 1
		.amdhsa_inst_pref_size 26
		.amdhsa_round_robin_scheduling 0
		.amdhsa_exception_fp_ieee_invalid_op 0
		.amdhsa_exception_fp_denorm_src 0
		.amdhsa_exception_fp_ieee_div_zero 0
		.amdhsa_exception_fp_ieee_overflow 0
		.amdhsa_exception_fp_ieee_underflow 0
		.amdhsa_exception_fp_ieee_inexact 0
		.amdhsa_exception_int_div_zero 0
	.end_amdhsa_kernel
	.section	.text._ZN9rocsparseL41csrgemm_numeric_fill_block_per_row_kernelILj512ELj32ELj1024ELj137ELj64Ell21rocsparse_complex_numIdEEEvT5_PKS3_S5_NS_24const_host_device_scalarIT6_EEPKT4_S5_PKS7_SB_S5_SD_S8_SB_S5_SD_SB_S5_PS7_21rocsparse_index_base_SF_SF_SF_bbb,"axG",@progbits,_ZN9rocsparseL41csrgemm_numeric_fill_block_per_row_kernelILj512ELj32ELj1024ELj137ELj64Ell21rocsparse_complex_numIdEEEvT5_PKS3_S5_NS_24const_host_device_scalarIT6_EEPKT4_S5_PKS7_SB_S5_SD_S8_SB_S5_SD_SB_S5_PS7_21rocsparse_index_base_SF_SF_SF_bbb,comdat
.Lfunc_end147:
	.size	_ZN9rocsparseL41csrgemm_numeric_fill_block_per_row_kernelILj512ELj32ELj1024ELj137ELj64Ell21rocsparse_complex_numIdEEEvT5_PKS3_S5_NS_24const_host_device_scalarIT6_EEPKT4_S5_PKS7_SB_S5_SD_S8_SB_S5_SD_SB_S5_PS7_21rocsparse_index_base_SF_SF_SF_bbb, .Lfunc_end147-_ZN9rocsparseL41csrgemm_numeric_fill_block_per_row_kernelILj512ELj32ELj1024ELj137ELj64Ell21rocsparse_complex_numIdEEEvT5_PKS3_S5_NS_24const_host_device_scalarIT6_EEPKT4_S5_PKS7_SB_S5_SD_S8_SB_S5_SD_SB_S5_PS7_21rocsparse_index_base_SF_SF_SF_bbb
                                        ; -- End function
	.set _ZN9rocsparseL41csrgemm_numeric_fill_block_per_row_kernelILj512ELj32ELj1024ELj137ELj64Ell21rocsparse_complex_numIdEEEvT5_PKS3_S5_NS_24const_host_device_scalarIT6_EEPKT4_S5_PKS7_SB_S5_SD_S8_SB_S5_SD_SB_S5_PS7_21rocsparse_index_base_SF_SF_SF_bbb.num_vgpr, 38
	.set _ZN9rocsparseL41csrgemm_numeric_fill_block_per_row_kernelILj512ELj32ELj1024ELj137ELj64Ell21rocsparse_complex_numIdEEEvT5_PKS3_S5_NS_24const_host_device_scalarIT6_EEPKT4_S5_PKS7_SB_S5_SD_S8_SB_S5_SD_SB_S5_PS7_21rocsparse_index_base_SF_SF_SF_bbb.num_agpr, 0
	.set _ZN9rocsparseL41csrgemm_numeric_fill_block_per_row_kernelILj512ELj32ELj1024ELj137ELj64Ell21rocsparse_complex_numIdEEEvT5_PKS3_S5_NS_24const_host_device_scalarIT6_EEPKT4_S5_PKS7_SB_S5_SD_S8_SB_S5_SD_SB_S5_PS7_21rocsparse_index_base_SF_SF_SF_bbb.numbered_sgpr, 45
	.set _ZN9rocsparseL41csrgemm_numeric_fill_block_per_row_kernelILj512ELj32ELj1024ELj137ELj64Ell21rocsparse_complex_numIdEEEvT5_PKS3_S5_NS_24const_host_device_scalarIT6_EEPKT4_S5_PKS7_SB_S5_SD_S8_SB_S5_SD_SB_S5_PS7_21rocsparse_index_base_SF_SF_SF_bbb.num_named_barrier, 0
	.set _ZN9rocsparseL41csrgemm_numeric_fill_block_per_row_kernelILj512ELj32ELj1024ELj137ELj64Ell21rocsparse_complex_numIdEEEvT5_PKS3_S5_NS_24const_host_device_scalarIT6_EEPKT4_S5_PKS7_SB_S5_SD_S8_SB_S5_SD_SB_S5_PS7_21rocsparse_index_base_SF_SF_SF_bbb.private_seg_size, 40
	.set _ZN9rocsparseL41csrgemm_numeric_fill_block_per_row_kernelILj512ELj32ELj1024ELj137ELj64Ell21rocsparse_complex_numIdEEEvT5_PKS3_S5_NS_24const_host_device_scalarIT6_EEPKT4_S5_PKS7_SB_S5_SD_S8_SB_S5_SD_SB_S5_PS7_21rocsparse_index_base_SF_SF_SF_bbb.uses_vcc, 1
	.set _ZN9rocsparseL41csrgemm_numeric_fill_block_per_row_kernelILj512ELj32ELj1024ELj137ELj64Ell21rocsparse_complex_numIdEEEvT5_PKS3_S5_NS_24const_host_device_scalarIT6_EEPKT4_S5_PKS7_SB_S5_SD_S8_SB_S5_SD_SB_S5_PS7_21rocsparse_index_base_SF_SF_SF_bbb.uses_flat_scratch, 1
	.set _ZN9rocsparseL41csrgemm_numeric_fill_block_per_row_kernelILj512ELj32ELj1024ELj137ELj64Ell21rocsparse_complex_numIdEEEvT5_PKS3_S5_NS_24const_host_device_scalarIT6_EEPKT4_S5_PKS7_SB_S5_SD_S8_SB_S5_SD_SB_S5_PS7_21rocsparse_index_base_SF_SF_SF_bbb.has_dyn_sized_stack, 0
	.set _ZN9rocsparseL41csrgemm_numeric_fill_block_per_row_kernelILj512ELj32ELj1024ELj137ELj64Ell21rocsparse_complex_numIdEEEvT5_PKS3_S5_NS_24const_host_device_scalarIT6_EEPKT4_S5_PKS7_SB_S5_SD_S8_SB_S5_SD_SB_S5_PS7_21rocsparse_index_base_SF_SF_SF_bbb.has_recursion, 0
	.set _ZN9rocsparseL41csrgemm_numeric_fill_block_per_row_kernelILj512ELj32ELj1024ELj137ELj64Ell21rocsparse_complex_numIdEEEvT5_PKS3_S5_NS_24const_host_device_scalarIT6_EEPKT4_S5_PKS7_SB_S5_SD_S8_SB_S5_SD_SB_S5_PS7_21rocsparse_index_base_SF_SF_SF_bbb.has_indirect_call, 0
	.section	.AMDGPU.csdata,"",@progbits
; Kernel info:
; codeLenInByte = 3228
; TotalNumSgprs: 47
; NumVgprs: 38
; ScratchSize: 40
; MemoryBound: 0
; FloatMode: 240
; IeeeMode: 1
; LDSByteSize: 0 bytes/workgroup (compile time only)
; SGPRBlocks: 0
; VGPRBlocks: 2
; NumSGPRsForWavesPerEU: 47
; NumVGPRsForWavesPerEU: 38
; NamedBarCnt: 0
; Occupancy: 16
; WaveLimiterHint : 1
; COMPUTE_PGM_RSRC2:SCRATCH_EN: 1
; COMPUTE_PGM_RSRC2:USER_SGPR: 2
; COMPUTE_PGM_RSRC2:TRAP_HANDLER: 0
; COMPUTE_PGM_RSRC2:TGID_X_EN: 1
; COMPUTE_PGM_RSRC2:TGID_Y_EN: 0
; COMPUTE_PGM_RSRC2:TGID_Z_EN: 0
; COMPUTE_PGM_RSRC2:TIDIG_COMP_CNT: 0
	.section	.text._ZN9rocsparseL41csrgemm_numeric_fill_block_per_row_kernelILj1024ELj32ELj2048ELj137ELj32Ell21rocsparse_complex_numIdEEEvT5_PKS3_S5_NS_24const_host_device_scalarIT6_EEPKT4_S5_PKS7_SB_S5_SD_S8_SB_S5_SD_SB_S5_PS7_21rocsparse_index_base_SF_SF_SF_bbb,"axG",@progbits,_ZN9rocsparseL41csrgemm_numeric_fill_block_per_row_kernelILj1024ELj32ELj2048ELj137ELj32Ell21rocsparse_complex_numIdEEEvT5_PKS3_S5_NS_24const_host_device_scalarIT6_EEPKT4_S5_PKS7_SB_S5_SD_S8_SB_S5_SD_SB_S5_PS7_21rocsparse_index_base_SF_SF_SF_bbb,comdat
	.globl	_ZN9rocsparseL41csrgemm_numeric_fill_block_per_row_kernelILj1024ELj32ELj2048ELj137ELj32Ell21rocsparse_complex_numIdEEEvT5_PKS3_S5_NS_24const_host_device_scalarIT6_EEPKT4_S5_PKS7_SB_S5_SD_S8_SB_S5_SD_SB_S5_PS7_21rocsparse_index_base_SF_SF_SF_bbb ; -- Begin function _ZN9rocsparseL41csrgemm_numeric_fill_block_per_row_kernelILj1024ELj32ELj2048ELj137ELj32Ell21rocsparse_complex_numIdEEEvT5_PKS3_S5_NS_24const_host_device_scalarIT6_EEPKT4_S5_PKS7_SB_S5_SD_S8_SB_S5_SD_SB_S5_PS7_21rocsparse_index_base_SF_SF_SF_bbb
	.p2align	8
	.type	_ZN9rocsparseL41csrgemm_numeric_fill_block_per_row_kernelILj1024ELj32ELj2048ELj137ELj32Ell21rocsparse_complex_numIdEEEvT5_PKS3_S5_NS_24const_host_device_scalarIT6_EEPKT4_S5_PKS7_SB_S5_SD_S8_SB_S5_SD_SB_S5_PS7_21rocsparse_index_base_SF_SF_SF_bbb,@function
_ZN9rocsparseL41csrgemm_numeric_fill_block_per_row_kernelILj1024ELj32ELj2048ELj137ELj32Ell21rocsparse_complex_numIdEEEvT5_PKS3_S5_NS_24const_host_device_scalarIT6_EEPKT4_S5_PKS7_SB_S5_SD_S8_SB_S5_SD_SB_S5_PS7_21rocsparse_index_base_SF_SF_SF_bbb: ; @_ZN9rocsparseL41csrgemm_numeric_fill_block_per_row_kernelILj1024ELj32ELj2048ELj137ELj32Ell21rocsparse_complex_numIdEEEvT5_PKS3_S5_NS_24const_host_device_scalarIT6_EEPKT4_S5_PKS7_SB_S5_SD_S8_SB_S5_SD_SB_S5_PS7_21rocsparse_index_base_SF_SF_SF_bbb
; %bb.0:
	s_clause 0x3
	s_load_b32 s3, s[0:1], 0xa8
	s_load_b128 s[8:11], s[0:1], 0x18
	s_load_b128 s[4:7], s[0:1], 0x58
	;; [unrolled: 1-line block ×3, first 2 shown]
	v_mov_b64_e32 v[6:7], 0
	v_mov_b64_e32 v[12:13], 0
	;; [unrolled: 1-line block ×3, first 2 shown]
	v_mbcnt_lo_u32_b32 v39, -1, 0
	s_wait_kmcnt 0x0
	s_bitcmp1_b32 s3, 0
	v_mov_b64_e32 v[2:3], s[8:9]
	s_cselect_b32 s19, -1, 0
	s_bitcmp1_b32 s3, 16
	v_mov_b64_e32 v[4:5], s[4:5]
	s_cselect_b32 s2, -1, 0
	s_clause 0x1
	scratch_store_b64 off, v[2:3], off offset:16
	scratch_store_b64 off, v[4:5], off offset:24
	s_xor_b32 s12, s2, -1
	s_bitcmp0_b32 s3, 0
	v_cndmask_b32_e64 v1, 0, 1, s12
	s_delay_alu instid0(VALU_DEP_1)
	v_cmp_ne_u32_e32 vcc_lo, 1, v1
	s_cbranch_scc1 .LBB148_3
; %bb.1:
	s_wait_xcnt 0x1
	v_dual_mov_b32 v2, 16 :: v_dual_lshlrev_b32 v3, 20, v39
	v_mov_b64_e32 v[14:15], s[10:11]
	s_and_b32 vcc_lo, exec_lo, vcc_lo
	s_delay_alu instid0(VALU_DEP_2) | instskip(NEXT) | instid1(VALU_DEP_1)
	v_add_nc_u64_e32 v[2:3], src_flat_scratch_base_lo, v[2:3]
	v_cndmask_b32_e64 v3, s9, v3, s2
	s_delay_alu instid0(VALU_DEP_2)
	v_cndmask_b32_e64 v2, s8, v2, s2
	flat_load_b64 v[12:13], v[2:3]
	s_cbranch_vccnz .LBB148_3
; %bb.2:
	v_mov_b32_e32 v1, 0
	flat_load_b64 v[14:15], v1, s[8:9] offset:8
.LBB148_3:
	s_load_b64 s[16:17], s[0:1], 0x8
	v_mov_b64_e32 v[8:9], 0
	s_bitcmp1_b32 s3, 8
	s_cselect_b32 s18, -1, 0
	s_bfe_u32 s3, s3, 0x10008
	s_delay_alu instid0(SALU_CYCLE_1)
	s_cmp_eq_u32 s3, 0
	s_cbranch_scc1 .LBB148_6
; %bb.4:
	v_dual_mov_b32 v2, 24 :: v_dual_lshlrev_b32 v3, 20, v39
	v_mov_b64_e32 v[6:7], s[6:7]
	s_and_not1_b32 vcc_lo, exec_lo, s12
	s_delay_alu instid0(VALU_DEP_2) | instskip(NEXT) | instid1(VALU_DEP_1)
	v_add_nc_u64_e32 v[2:3], src_flat_scratch_base_lo, v[2:3]
	v_cndmask_b32_e64 v3, s5, v3, s2
	s_delay_alu instid0(VALU_DEP_2)
	v_cndmask_b32_e64 v2, s4, v2, s2
	flat_load_b64 v[8:9], v[2:3]
	s_cbranch_vccnz .LBB148_6
; %bb.5:
	v_mov_b32_e32 v1, 0
	flat_load_b64 v[6:7], v1, s[4:5] offset:8
.LBB148_6:
	s_clause 0x5
	s_load_b64 s[48:49], s[0:1], 0x0
	s_load_b64 s[2:3], s[0:1], 0x10
	;; [unrolled: 1-line block ×3, first 2 shown]
	s_load_b256 s[36:43], s[0:1], 0x68
	s_load_b128 s[12:15], s[0:1], 0x48
	s_load_b256 s[4:11], s[0:1], 0x28
	v_or_b32_e32 v36, 0xfffffc00, v0
	v_lshlrev_b32_e32 v1, 4, v0
	s_wait_xcnt 0x0
	s_mov_b32 s0, 0
	v_lshl_add_u32 v37, v0, 3, 0
	s_mov_b32 s1, s0
	v_mov_b32_e32 v16, v36
	v_add3_u32 v38, v1, 0, 0x4000
	s_mov_b32 s20, s0
	s_mov_b32 s21, s0
	v_mov_b64_e32 v[2:3], s[0:1]
	v_mov_b64_e32 v[4:5], s[20:21]
	v_dual_mov_b32 v1, v37 :: v_dual_mov_b32 v17, v38
	s_wait_kmcnt 0x0
	v_mov_b64_e32 v[10:11], s[48:49]
.LBB148_7:                              ; =>This Inner Loop Header: Depth=1
	v_add_co_u32 v16, s1, 0x400, v16
	s_xor_b32 s1, s1, -1
	ds_store_b64 v1, v[10:11]
	ds_store_2addr_b64 v17, v[2:3], v[4:5] offset1:1
	v_add_nc_u32_e32 v17, 0x4000, v17
	v_add_nc_u32_e32 v1, 0x2000, v1
	s_and_b32 s1, exec_lo, s1
	s_delay_alu instid0(SALU_CYCLE_1) | instskip(NEXT) | instid1(SALU_CYCLE_1)
	s_or_b32 s0, s1, s0
	s_and_not1_b32 exec_lo, exec_lo, s0
	s_cbranch_execnz .LBB148_7
; %bb.8:
	s_or_b32 exec_lo, exec_lo, s0
	s_wait_storecnt 0x0
	s_wait_loadcnt_dscnt 0x0
	s_barrier_signal -1
	s_barrier_wait -1
	s_load_b64 s[0:1], s[16:17], 0x0
	s_wait_xcnt 0x0
	s_bfe_u32 s16, ttmp6, 0x4000c
	s_and_b32 s17, ttmp6, 15
	s_add_co_i32 s16, s16, 1
	s_getreg_b32 s20, hwreg(HW_REG_IB_STS2, 6, 4)
	s_mul_i32 s16, ttmp9, s16
	v_lshrrev_b32_e32 v10, 5, v0
	s_add_co_i32 s17, s17, s16
	s_wait_kmcnt 0x0
	s_lshl_b64 s[0:1], s[0:1], 3
	s_cmp_eq_u32 s20, 0
	s_add_nc_u64 s[0:1], s[2:3], s[0:1]
	s_cselect_b32 s2, ttmp9, s17
	s_and_b32 vcc_lo, exec_lo, s19
	s_load_b64 s[50:51], s[0:1], s2 offset:0x0 scale_offset
	s_wait_xcnt 0x0
	s_mov_b32 s1, 0
	s_cbranch_vccz .LBB148_28
; %bb.9:
	s_wait_kmcnt 0x0
	s_lshl_b64 s[2:3], s[50:51], 3
	v_mov_b32_e32 v11, 0
	s_add_nc_u64 s[2:3], s[4:5], s[2:3]
	s_mov_b32 s0, s44
	s_load_b128 s[20:23], s[2:3], 0x0
	s_mov_b32 s16, exec_lo
	v_sub_nc_u64_e64 v[2:3], v[10:11], s[0:1]
	s_wait_kmcnt 0x0
	s_delay_alu instid0(VALU_DEP_1)
	v_add_nc_u64_e32 v[16:17], s[20:21], v[2:3]
	s_sub_nc_u64 s[2:3], s[22:23], s[0:1]
	s_delay_alu instid0(VALU_DEP_1) | instid1(SALU_CYCLE_1)
	v_cmpx_gt_i64_e64 s[2:3], v[16:17]
	s_cbranch_execz .LBB148_27
; %bb.10:
	v_dual_mov_b32 v3, v11 :: v_dual_bitop2_b32 v2, 31, v0 bitop3:0x40
	s_mov_b32 s5, 0
	s_mov_b32 s4, s45
	;; [unrolled: 1-line block ×3, first 2 shown]
	s_delay_alu instid0(VALU_DEP_1)
	v_sub_nc_u64_e64 v[18:19], v[2:3], s[4:5]
	s_branch .LBB148_12
.LBB148_11:                             ;   in Loop: Header=BB148_12 Depth=1
	s_or_b32 exec_lo, exec_lo, s19
	v_add_nc_u64_e32 v[16:17], 32, v[16:17]
	s_delay_alu instid0(VALU_DEP_1) | instskip(SKIP_1) | instid1(SALU_CYCLE_1)
	v_cmp_le_i64_e32 vcc_lo, s[2:3], v[16:17]
	s_or_b32 s17, vcc_lo, s17
	s_and_not1_b32 exec_lo, exec_lo, s17
	s_cbranch_execz .LBB148_27
.LBB148_12:                             ; =>This Loop Header: Depth=1
                                        ;     Child Loop BB148_16 Depth 2
                                        ;       Child Loop BB148_19 Depth 3
	v_lshl_add_u64 v[2:3], v[16:17], 3, s[6:7]
	s_mov_b32 s19, exec_lo
	global_load_b64 v[2:3], v[2:3], off
	s_wait_loadcnt 0x0
	s_wait_xcnt 0x0
	v_sub_nc_u64_e64 v[2:3], v[2:3], s[0:1]
	s_delay_alu instid0(VALU_DEP_1)
	v_lshl_add_u64 v[2:3], v[2:3], 3, s[10:11]
	global_load_b128 v[2:5], v[2:3], off
	s_wait_loadcnt 0x0
	v_sub_nc_u64_e64 v[20:21], v[4:5], s[4:5]
	v_add_nc_u64_e32 v[22:23], v[2:3], v[18:19]
	s_wait_xcnt 0x0
	s_delay_alu instid0(VALU_DEP_1)
	v_cmpx_lt_i64_e64 v[22:23], v[20:21]
	s_cbranch_execz .LBB148_11
; %bb.13:                               ;   in Loop: Header=BB148_12 Depth=1
	v_lshl_add_u64 v[2:3], v[16:17], 4, s[8:9]
	s_mov_b32 s20, 0
	global_load_b128 v[2:5], v[2:3], off
	s_wait_loadcnt 0x0
	v_mul_f64_e64 v[24:25], v[4:5], -v[14:15]
	v_mul_f64_e32 v[26:27], v[12:13], v[4:5]
	s_delay_alu instid0(VALU_DEP_2) | instskip(NEXT) | instid1(VALU_DEP_2)
	v_fmac_f64_e32 v[24:25], v[12:13], v[2:3]
	v_fmac_f64_e32 v[26:27], v[14:15], v[2:3]
	s_branch .LBB148_16
.LBB148_14:                             ;   in Loop: Header=BB148_16 Depth=2
	s_or_b32 exec_lo, exec_lo, s22
.LBB148_15:                             ;   in Loop: Header=BB148_16 Depth=2
	s_delay_alu instid0(SALU_CYCLE_1)
	s_or_b32 exec_lo, exec_lo, s21
	s_wait_loadcnt 0x0
	v_mul_f64_e64 v[30:31], v[4:5], -v[26:27]
	v_mul_f64_e32 v[4:5], v[24:25], v[4:5]
	v_lshl_add_u32 v1, v28, 4, 0
	v_add_nc_u64_e32 v[22:23], 32, v[22:23]
	s_delay_alu instid0(VALU_DEP_1)
	v_cmp_ge_i64_e32 vcc_lo, v[22:23], v[20:21]
	s_or_b32 s20, vcc_lo, s20
	v_fmac_f64_e32 v[30:31], v[24:25], v[2:3]
	v_fmac_f64_e32 v[4:5], v[26:27], v[2:3]
	ds_add_f64 v1, v[30:31] offset:16384
	ds_add_f64 v1, v[4:5] offset:16392
	s_and_not1_b32 exec_lo, exec_lo, s20
	s_cbranch_execz .LBB148_11
.LBB148_16:                             ;   Parent Loop BB148_12 Depth=1
                                        ; =>  This Loop Header: Depth=2
                                        ;       Child Loop BB148_19 Depth 3
	s_wait_xcnt 0x0
	v_lshl_add_u64 v[2:3], v[22:23], 3, s[12:13]
	s_mov_b32 s21, exec_lo
	global_load_b64 v[28:29], v[2:3], off
	s_wait_xcnt 0x0
	v_lshl_add_u64 v[2:3], v[22:23], 4, s[14:15]
	global_load_b128 v[2:5], v[2:3], off
	s_wait_loadcnt 0x1
	v_sub_nc_u64_e64 v[30:31], v[28:29], s[4:5]
	s_delay_alu instid0(VALU_DEP_1) | instskip(NEXT) | instid1(VALU_DEP_1)
	v_mul_lo_u32 v1, 0x89, v30
	v_and_b32_e32 v28, 0x7ff, v1
	s_delay_alu instid0(VALU_DEP_1)
	v_lshl_add_u32 v1, v28, 3, 0
	ds_load_b64 v[34:35], v1
	s_wait_dscnt 0x0
	s_wait_xcnt 0x0
	v_cmpx_ne_u64_e64 v[34:35], v[30:31]
	s_cbranch_execz .LBB148_15
; %bb.17:                               ;   in Loop: Header=BB148_16 Depth=2
	s_mov_b32 s22, 0
                                        ; implicit-def: $sgpr23
                                        ; implicit-def: $sgpr24
	s_branch .LBB148_19
.LBB148_18:                             ;   in Loop: Header=BB148_19 Depth=3
	s_or_b32 exec_lo, exec_lo, s27
	s_delay_alu instid0(SALU_CYCLE_1) | instskip(NEXT) | instid1(SALU_CYCLE_1)
	s_and_b32 s25, exec_lo, s26
	s_or_b32 s22, s25, s22
	s_and_not1_b32 s23, s23, exec_lo
	s_and_b32 s25, s24, exec_lo
	s_delay_alu instid0(SALU_CYCLE_1)
	s_or_b32 s23, s23, s25
	s_and_not1_b32 exec_lo, exec_lo, s22
	s_cbranch_execz .LBB148_25
.LBB148_19:                             ;   Parent Loop BB148_12 Depth=1
                                        ;     Parent Loop BB148_16 Depth=2
                                        ; =>    This Inner Loop Header: Depth=3
	v_mov_b64_e32 v[32:33], v[28:29]
	s_mov_b32 s25, 0
	s_mov_b32 s26, exec_lo
                                        ; implicit-def: $vgpr28_vgpr29
	v_cmpx_ne_u64_e64 s[48:49], v[34:35]
	s_xor_b32 s26, exec_lo, s26
; %bb.20:                               ;   in Loop: Header=BB148_19 Depth=3
	s_delay_alu instid0(VALU_DEP_2) | instskip(SKIP_1) | instid1(VALU_DEP_1)
	v_add_nc_u32_e32 v1, 1, v32
	s_mov_b32 s25, exec_lo
	v_and_b32_e32 v28, 0x7ff, v1
                                        ; implicit-def: $vgpr1
; %bb.21:                               ;   in Loop: Header=BB148_19 Depth=3
	s_and_not1_saveexec_b32 s26, s26
	s_cbranch_execz .LBB148_23
; %bb.22:                               ;   in Loop: Header=BB148_19 Depth=3
	v_mov_b64_e32 v[28:29], s[48:49]
	s_and_not1_b32 s25, s25, exec_lo
	ds_cmpstore_rtn_b64 v[28:29], v1, v[30:31], v[28:29]
	s_wait_dscnt 0x0
	v_cmp_ne_u64_e32 vcc_lo, s[48:49], v[28:29]
	v_mov_b64_e32 v[28:29], v[32:33]
	s_and_b32 s27, vcc_lo, exec_lo
	s_delay_alu instid0(SALU_CYCLE_1)
	s_or_b32 s25, s25, s27
.LBB148_23:                             ;   in Loop: Header=BB148_19 Depth=3
	s_or_b32 exec_lo, exec_lo, s26
	s_mov_b32 s26, -1
	s_or_b32 s24, s24, exec_lo
                                        ; implicit-def: $vgpr1
                                        ; implicit-def: $vgpr34_vgpr35
	s_and_saveexec_b32 s27, s25
	s_cbranch_execz .LBB148_18
; %bb.24:                               ;   in Loop: Header=BB148_19 Depth=3
	v_lshl_add_u32 v1, v28, 3, 0
	s_and_not1_b32 s24, s24, exec_lo
	ds_load_b64 v[34:35], v1
	s_wait_dscnt 0x0
	v_cmp_eq_u64_e32 vcc_lo, v[34:35], v[30:31]
	s_or_not1_b32 s26, vcc_lo, exec_lo
	s_branch .LBB148_18
.LBB148_25:                             ;   in Loop: Header=BB148_16 Depth=2
	s_or_b32 exec_lo, exec_lo, s22
	s_and_saveexec_b32 s22, s23
	s_delay_alu instid0(SALU_CYCLE_1)
	s_xor_b32 s22, exec_lo, s22
	s_cbranch_execz .LBB148_14
; %bb.26:                               ;   in Loop: Header=BB148_16 Depth=2
	v_mov_b32_e32 v28, v32
	s_branch .LBB148_14
.LBB148_27:
	s_or_b32 exec_lo, exec_lo, s16
.LBB148_28:
	s_delay_alu instid0(SALU_CYCLE_1)
	s_and_not1_b32 vcc_lo, exec_lo, s18
	s_cbranch_vccnz .LBB148_45
; %bb.29:
	s_wait_kmcnt 0x0
	s_lshl_b64 s[0:1], s[50:51], 3
	v_mov_b32_e32 v1, 0
	s_add_nc_u64 s[0:1], s[36:37], s[0:1]
	s_load_b128 s[4:7], s[0:1], 0x0
	s_wait_xcnt 0x0
	s_mov_b32 s1, 0
	s_mov_b32 s0, s47
	s_delay_alu instid0(SALU_CYCLE_1) | instskip(SKIP_1) | instid1(VALU_DEP_1)
	v_sub_nc_u64_e64 v[2:3], v[0:1], s[0:1]
	s_wait_kmcnt 0x0
	v_add_nc_u64_e32 v[12:13], s[4:5], v[2:3]
	s_sub_nc_u64 s[2:3], s[6:7], s[0:1]
	s_mov_b32 s4, exec_lo
	s_delay_alu instid0(VALU_DEP_1)
	v_cmpx_gt_i64_e64 s[2:3], v[12:13]
	s_cbranch_execz .LBB148_44
; %bb.30:
	s_mov_b32 s5, s1
	s_branch .LBB148_33
.LBB148_31:                             ;   in Loop: Header=BB148_33 Depth=1
	s_or_b32 exec_lo, exec_lo, s7
.LBB148_32:                             ;   in Loop: Header=BB148_33 Depth=1
	s_delay_alu instid0(SALU_CYCLE_1)
	s_or_b32 exec_lo, exec_lo, s6
	s_wait_loadcnt 0x0
	v_mul_f64_e64 v[16:17], v[4:5], -v[6:7]
	v_mul_f64_e32 v[4:5], v[8:9], v[4:5]
	v_lshl_add_u32 v1, v14, 4, 0
	v_add_nc_u64_e32 v[12:13], 0x400, v[12:13]
	s_delay_alu instid0(VALU_DEP_1)
	v_cmp_le_i64_e32 vcc_lo, s[2:3], v[12:13]
	s_or_b32 s5, vcc_lo, s5
	v_fmac_f64_e32 v[16:17], v[8:9], v[2:3]
	v_fmac_f64_e32 v[4:5], v[6:7], v[2:3]
	ds_add_f64 v1, v[16:17] offset:16384
	ds_add_f64 v1, v[4:5] offset:16392
	s_and_not1_b32 exec_lo, exec_lo, s5
	s_cbranch_execz .LBB148_44
.LBB148_33:                             ; =>This Loop Header: Depth=1
                                        ;     Child Loop BB148_36 Depth 2
	v_lshl_add_u64 v[2:3], v[12:13], 3, s[38:39]
	s_mov_b32 s6, exec_lo
	global_load_b64 v[14:15], v[2:3], off
	s_wait_xcnt 0x0
	v_lshl_add_u64 v[2:3], v[12:13], 4, s[40:41]
	global_load_b128 v[2:5], v[2:3], off
	s_wait_loadcnt 0x1
	v_sub_nc_u64_e64 v[16:17], v[14:15], s[0:1]
	s_delay_alu instid0(VALU_DEP_1) | instskip(NEXT) | instid1(VALU_DEP_1)
	v_mul_lo_u32 v1, 0x89, v16
	v_and_b32_e32 v14, 0x7ff, v1
	s_delay_alu instid0(VALU_DEP_1)
	v_lshl_add_u32 v1, v14, 3, 0
	ds_load_b64 v[20:21], v1
	s_wait_dscnt 0x0
	s_wait_xcnt 0x0
	v_cmpx_ne_u64_e64 v[20:21], v[16:17]
	s_cbranch_execz .LBB148_32
; %bb.34:                               ;   in Loop: Header=BB148_33 Depth=1
	s_mov_b32 s7, 0
                                        ; implicit-def: $sgpr8
                                        ; implicit-def: $sgpr9
	s_branch .LBB148_36
.LBB148_35:                             ;   in Loop: Header=BB148_36 Depth=2
	s_or_b32 exec_lo, exec_lo, s12
	s_delay_alu instid0(SALU_CYCLE_1) | instskip(NEXT) | instid1(SALU_CYCLE_1)
	s_and_b32 s10, exec_lo, s11
	s_or_b32 s7, s10, s7
	s_and_not1_b32 s8, s8, exec_lo
	s_and_b32 s10, s9, exec_lo
	s_delay_alu instid0(SALU_CYCLE_1)
	s_or_b32 s8, s8, s10
	s_and_not1_b32 exec_lo, exec_lo, s7
	s_cbranch_execz .LBB148_42
.LBB148_36:                             ;   Parent Loop BB148_33 Depth=1
                                        ; =>  This Inner Loop Header: Depth=2
	v_mov_b64_e32 v[18:19], v[14:15]
	s_mov_b32 s10, 0
	s_mov_b32 s11, exec_lo
                                        ; implicit-def: $vgpr14_vgpr15
	v_cmpx_ne_u64_e64 s[48:49], v[20:21]
	s_xor_b32 s11, exec_lo, s11
; %bb.37:                               ;   in Loop: Header=BB148_36 Depth=2
	s_delay_alu instid0(VALU_DEP_2) | instskip(SKIP_1) | instid1(VALU_DEP_1)
	v_add_nc_u32_e32 v1, 1, v18
	s_mov_b32 s10, exec_lo
	v_and_b32_e32 v14, 0x7ff, v1
                                        ; implicit-def: $vgpr1
; %bb.38:                               ;   in Loop: Header=BB148_36 Depth=2
	s_and_not1_saveexec_b32 s11, s11
	s_cbranch_execz .LBB148_40
; %bb.39:                               ;   in Loop: Header=BB148_36 Depth=2
	v_mov_b64_e32 v[14:15], s[48:49]
	s_and_not1_b32 s10, s10, exec_lo
	ds_cmpstore_rtn_b64 v[14:15], v1, v[16:17], v[14:15]
	s_wait_dscnt 0x0
	v_cmp_ne_u64_e32 vcc_lo, s[48:49], v[14:15]
	v_mov_b64_e32 v[14:15], v[18:19]
	s_and_b32 s12, vcc_lo, exec_lo
	s_delay_alu instid0(SALU_CYCLE_1)
	s_or_b32 s10, s10, s12
.LBB148_40:                             ;   in Loop: Header=BB148_36 Depth=2
	s_or_b32 exec_lo, exec_lo, s11
	s_mov_b32 s11, -1
	s_or_b32 s9, s9, exec_lo
                                        ; implicit-def: $vgpr1
                                        ; implicit-def: $vgpr20_vgpr21
	s_and_saveexec_b32 s12, s10
	s_cbranch_execz .LBB148_35
; %bb.41:                               ;   in Loop: Header=BB148_36 Depth=2
	v_lshl_add_u32 v1, v14, 3, 0
	s_and_not1_b32 s9, s9, exec_lo
	ds_load_b64 v[20:21], v1
	s_wait_dscnt 0x0
	v_cmp_eq_u64_e32 vcc_lo, v[20:21], v[16:17]
	s_or_not1_b32 s11, vcc_lo, exec_lo
	s_branch .LBB148_35
.LBB148_42:                             ;   in Loop: Header=BB148_33 Depth=1
	s_or_b32 exec_lo, exec_lo, s7
	s_and_saveexec_b32 s7, s8
	s_delay_alu instid0(SALU_CYCLE_1)
	s_xor_b32 s7, exec_lo, s7
	s_cbranch_execz .LBB148_31
; %bb.43:                               ;   in Loop: Header=BB148_33 Depth=1
	v_mov_b32_e32 v14, v18
	s_branch .LBB148_31
.LBB148_44:
	s_or_b32 exec_lo, exec_lo, s4
.LBB148_45:
	v_dual_mov_b32 v3, 0 :: v_dual_bitop2_b32 v2, 31, v39 bitop3:0x14
	v_mov_b64_e32 v[6:7], 0
	v_lshl_add_u32 v1, v10, 3, 0
	v_cmp_lt_u32_e64 s0, 31, v0
	s_delay_alu instid0(VALU_DEP_4)
	v_lshrrev_b32_e64 v4, v2, -1
	v_cmp_lt_u32_e64 s1, 63, v0
	v_cmp_lt_u32_e64 s2, 0x5f, v0
	;; [unrolled: 1-line block ×30, first 2 shown]
	s_mov_b32 s33, 0
	s_wait_dscnt 0x0
	v_cmp_eq_u32_e32 vcc_lo, 0x3ff, v0
	s_barrier_signal -1
	s_barrier_wait -1
	s_branch .LBB148_47
.LBB148_46:                             ;   in Loop: Header=BB148_47 Depth=1
	s_or_b32 exec_lo, exec_lo, s31
	s_wait_dscnt 0x0
	s_barrier_signal -1
	s_barrier_wait -1
	ds_load_b64 v[8:9], v3 offset:49400
	v_add_co_u32 v36, s31, 0x400, v36
	s_xor_b32 s31, s31, -1
	v_add_nc_u32_e32 v38, 0x4000, v38
	v_add_nc_u32_e32 v37, 0x2000, v37
	s_and_b32 s31, exec_lo, s31
	s_delay_alu instid0(SALU_CYCLE_1)
	s_or_b32 s33, s31, s33
	s_wait_dscnt 0x0
	v_add_nc_u64_e32 v[6:7], v[8:9], v[6:7]
	s_and_not1_b32 exec_lo, exec_lo, s33
	s_cbranch_execz .LBB148_113
.LBB148_47:                             ; =>This Inner Loop Header: Depth=1
	ds_load_b64 v[8:9], v37
	ds_load_2addr_b64 v[10:13], v38 offset1:1
	s_wait_dscnt 0x1
	v_cmp_gt_i64_e64 s31, s[48:49], v[8:9]
	s_wait_dscnt 0x0
	scratch_store_b128 off, v[10:13], off
	s_wait_storecnt 0x0
	s_barrier_signal -1
	s_barrier_wait -1
	s_bcnt1_i32_b32 s36, s31
	s_delay_alu instid0(SALU_CYCLE_1) | instskip(SKIP_1) | instid1(VALU_DEP_1)
	v_dual_mov_b32 v2, s36 :: v_dual_bitop2_b32 v5, s31, v4 bitop3:0x40
	s_wait_xcnt 0x0
	v_bcnt_u32_b32 v10, v5, 0
	ds_store_b64 v1, v[2:3] offset:49152
	s_wait_dscnt 0x0
	s_barrier_signal -1
	s_barrier_wait -1
	s_and_saveexec_b32 s36, s0
	s_cbranch_execnz .LBB148_80
; %bb.48:                               ;   in Loop: Header=BB148_47 Depth=1
	s_or_b32 exec_lo, exec_lo, s36
	s_and_saveexec_b32 s36, s1
	s_cbranch_execnz .LBB148_81
.LBB148_49:                             ;   in Loop: Header=BB148_47 Depth=1
	s_or_b32 exec_lo, exec_lo, s36
	s_and_saveexec_b32 s36, s2
	s_cbranch_execnz .LBB148_82
.LBB148_50:                             ;   in Loop: Header=BB148_47 Depth=1
	s_or_b32 exec_lo, exec_lo, s36
	s_and_saveexec_b32 s36, s3
	s_cbranch_execnz .LBB148_83
.LBB148_51:                             ;   in Loop: Header=BB148_47 Depth=1
	s_or_b32 exec_lo, exec_lo, s36
	s_and_saveexec_b32 s36, s4
	s_cbranch_execnz .LBB148_84
.LBB148_52:                             ;   in Loop: Header=BB148_47 Depth=1
	s_or_b32 exec_lo, exec_lo, s36
	s_and_saveexec_b32 s36, s5
	s_cbranch_execnz .LBB148_85
.LBB148_53:                             ;   in Loop: Header=BB148_47 Depth=1
	s_or_b32 exec_lo, exec_lo, s36
	s_and_saveexec_b32 s36, s6
	s_cbranch_execnz .LBB148_86
.LBB148_54:                             ;   in Loop: Header=BB148_47 Depth=1
	s_or_b32 exec_lo, exec_lo, s36
	s_and_saveexec_b32 s36, s7
	s_cbranch_execnz .LBB148_87
.LBB148_55:                             ;   in Loop: Header=BB148_47 Depth=1
	s_or_b32 exec_lo, exec_lo, s36
	s_and_saveexec_b32 s36, s8
	s_cbranch_execnz .LBB148_88
.LBB148_56:                             ;   in Loop: Header=BB148_47 Depth=1
	s_or_b32 exec_lo, exec_lo, s36
	s_and_saveexec_b32 s36, s9
	s_cbranch_execnz .LBB148_89
.LBB148_57:                             ;   in Loop: Header=BB148_47 Depth=1
	s_or_b32 exec_lo, exec_lo, s36
	s_and_saveexec_b32 s36, s10
	s_cbranch_execnz .LBB148_90
.LBB148_58:                             ;   in Loop: Header=BB148_47 Depth=1
	s_or_b32 exec_lo, exec_lo, s36
	s_and_saveexec_b32 s36, s11
	s_cbranch_execnz .LBB148_91
.LBB148_59:                             ;   in Loop: Header=BB148_47 Depth=1
	s_or_b32 exec_lo, exec_lo, s36
	s_and_saveexec_b32 s36, s12
	s_cbranch_execnz .LBB148_92
.LBB148_60:                             ;   in Loop: Header=BB148_47 Depth=1
	s_or_b32 exec_lo, exec_lo, s36
	s_and_saveexec_b32 s36, s13
	s_cbranch_execnz .LBB148_93
.LBB148_61:                             ;   in Loop: Header=BB148_47 Depth=1
	s_or_b32 exec_lo, exec_lo, s36
	s_and_saveexec_b32 s36, s14
	s_cbranch_execnz .LBB148_94
.LBB148_62:                             ;   in Loop: Header=BB148_47 Depth=1
	s_or_b32 exec_lo, exec_lo, s36
	s_and_saveexec_b32 s36, s15
	s_cbranch_execnz .LBB148_95
.LBB148_63:                             ;   in Loop: Header=BB148_47 Depth=1
	s_or_b32 exec_lo, exec_lo, s36
	s_and_saveexec_b32 s36, s16
	s_cbranch_execnz .LBB148_96
.LBB148_64:                             ;   in Loop: Header=BB148_47 Depth=1
	s_or_b32 exec_lo, exec_lo, s36
	s_and_saveexec_b32 s36, s17
	s_cbranch_execnz .LBB148_97
.LBB148_65:                             ;   in Loop: Header=BB148_47 Depth=1
	s_or_b32 exec_lo, exec_lo, s36
	s_and_saveexec_b32 s36, s18
	s_cbranch_execnz .LBB148_98
.LBB148_66:                             ;   in Loop: Header=BB148_47 Depth=1
	s_or_b32 exec_lo, exec_lo, s36
	s_and_saveexec_b32 s36, s19
	s_cbranch_execnz .LBB148_99
.LBB148_67:                             ;   in Loop: Header=BB148_47 Depth=1
	s_or_b32 exec_lo, exec_lo, s36
	s_and_saveexec_b32 s36, s20
	s_cbranch_execnz .LBB148_100
.LBB148_68:                             ;   in Loop: Header=BB148_47 Depth=1
	s_or_b32 exec_lo, exec_lo, s36
	s_and_saveexec_b32 s36, s21
	s_cbranch_execnz .LBB148_101
.LBB148_69:                             ;   in Loop: Header=BB148_47 Depth=1
	s_or_b32 exec_lo, exec_lo, s36
	s_and_saveexec_b32 s36, s22
	s_cbranch_execnz .LBB148_102
.LBB148_70:                             ;   in Loop: Header=BB148_47 Depth=1
	s_or_b32 exec_lo, exec_lo, s36
	s_and_saveexec_b32 s36, s23
	s_cbranch_execnz .LBB148_103
.LBB148_71:                             ;   in Loop: Header=BB148_47 Depth=1
	s_or_b32 exec_lo, exec_lo, s36
	s_and_saveexec_b32 s36, s24
	s_cbranch_execnz .LBB148_104
.LBB148_72:                             ;   in Loop: Header=BB148_47 Depth=1
	s_or_b32 exec_lo, exec_lo, s36
	s_and_saveexec_b32 s36, s25
	s_cbranch_execnz .LBB148_105
.LBB148_73:                             ;   in Loop: Header=BB148_47 Depth=1
	s_or_b32 exec_lo, exec_lo, s36
	s_and_saveexec_b32 s36, s26
	s_cbranch_execnz .LBB148_106
.LBB148_74:                             ;   in Loop: Header=BB148_47 Depth=1
	s_or_b32 exec_lo, exec_lo, s36
	s_and_saveexec_b32 s36, s27
	s_cbranch_execnz .LBB148_107
.LBB148_75:                             ;   in Loop: Header=BB148_47 Depth=1
	s_or_b32 exec_lo, exec_lo, s36
	s_and_saveexec_b32 s36, s28
	s_cbranch_execnz .LBB148_108
.LBB148_76:                             ;   in Loop: Header=BB148_47 Depth=1
	s_or_b32 exec_lo, exec_lo, s36
	s_and_saveexec_b32 s36, s29
	s_cbranch_execnz .LBB148_109
.LBB148_77:                             ;   in Loop: Header=BB148_47 Depth=1
	s_or_b32 exec_lo, exec_lo, s36
	s_and_saveexec_b32 s36, s30
	s_cbranch_execnz .LBB148_110
.LBB148_78:                             ;   in Loop: Header=BB148_47 Depth=1
	s_or_b32 exec_lo, exec_lo, s36
	v_ashrrev_i32_e32 v11, 31, v10
	s_and_saveexec_b32 s36, s31
	s_cbranch_execnz .LBB148_111
.LBB148_79:                             ;   in Loop: Header=BB148_47 Depth=1
	s_or_b32 exec_lo, exec_lo, s36
	s_and_saveexec_b32 s31, vcc_lo
	s_cbranch_execz .LBB148_46
	s_branch .LBB148_112
.LBB148_80:                             ;   in Loop: Header=BB148_47 Depth=1
	ds_load_b32 v2, v3 offset:49152
	s_wait_dscnt 0x0
	v_add_nc_u32_e32 v10, v2, v10
	s_or_b32 exec_lo, exec_lo, s36
	s_and_saveexec_b32 s36, s1
	s_cbranch_execz .LBB148_49
.LBB148_81:                             ;   in Loop: Header=BB148_47 Depth=1
	ds_load_b32 v2, v3 offset:49160
	s_wait_dscnt 0x0
	v_add_nc_u32_e32 v10, v10, v2
	s_or_b32 exec_lo, exec_lo, s36
	s_and_saveexec_b32 s36, s2
	s_cbranch_execz .LBB148_50
.LBB148_82:                             ;   in Loop: Header=BB148_47 Depth=1
	ds_load_b32 v2, v3 offset:49168
	s_wait_dscnt 0x0
	v_add_nc_u32_e32 v10, v10, v2
	s_or_b32 exec_lo, exec_lo, s36
	s_and_saveexec_b32 s36, s3
	s_cbranch_execz .LBB148_51
.LBB148_83:                             ;   in Loop: Header=BB148_47 Depth=1
	ds_load_b32 v2, v3 offset:49176
	s_wait_dscnt 0x0
	v_add_nc_u32_e32 v10, v10, v2
	s_or_b32 exec_lo, exec_lo, s36
	s_and_saveexec_b32 s36, s4
	s_cbranch_execz .LBB148_52
.LBB148_84:                             ;   in Loop: Header=BB148_47 Depth=1
	ds_load_b32 v2, v3 offset:49184
	s_wait_dscnt 0x0
	v_add_nc_u32_e32 v10, v10, v2
	s_or_b32 exec_lo, exec_lo, s36
	s_and_saveexec_b32 s36, s5
	s_cbranch_execz .LBB148_53
.LBB148_85:                             ;   in Loop: Header=BB148_47 Depth=1
	ds_load_b32 v2, v3 offset:49192
	s_wait_dscnt 0x0
	v_add_nc_u32_e32 v10, v10, v2
	s_or_b32 exec_lo, exec_lo, s36
	s_and_saveexec_b32 s36, s6
	s_cbranch_execz .LBB148_54
.LBB148_86:                             ;   in Loop: Header=BB148_47 Depth=1
	ds_load_b32 v2, v3 offset:49200
	s_wait_dscnt 0x0
	v_add_nc_u32_e32 v10, v10, v2
	s_or_b32 exec_lo, exec_lo, s36
	s_and_saveexec_b32 s36, s7
	s_cbranch_execz .LBB148_55
.LBB148_87:                             ;   in Loop: Header=BB148_47 Depth=1
	ds_load_b32 v2, v3 offset:49208
	s_wait_dscnt 0x0
	v_add_nc_u32_e32 v10, v10, v2
	s_or_b32 exec_lo, exec_lo, s36
	s_and_saveexec_b32 s36, s8
	s_cbranch_execz .LBB148_56
.LBB148_88:                             ;   in Loop: Header=BB148_47 Depth=1
	ds_load_b32 v2, v3 offset:49216
	s_wait_dscnt 0x0
	v_add_nc_u32_e32 v10, v10, v2
	s_or_b32 exec_lo, exec_lo, s36
	s_and_saveexec_b32 s36, s9
	s_cbranch_execz .LBB148_57
.LBB148_89:                             ;   in Loop: Header=BB148_47 Depth=1
	ds_load_b32 v2, v3 offset:49224
	s_wait_dscnt 0x0
	v_add_nc_u32_e32 v10, v10, v2
	s_or_b32 exec_lo, exec_lo, s36
	s_and_saveexec_b32 s36, s10
	s_cbranch_execz .LBB148_58
.LBB148_90:                             ;   in Loop: Header=BB148_47 Depth=1
	ds_load_b32 v2, v3 offset:49232
	s_wait_dscnt 0x0
	v_add_nc_u32_e32 v10, v10, v2
	s_or_b32 exec_lo, exec_lo, s36
	s_and_saveexec_b32 s36, s11
	s_cbranch_execz .LBB148_59
.LBB148_91:                             ;   in Loop: Header=BB148_47 Depth=1
	ds_load_b32 v2, v3 offset:49240
	s_wait_dscnt 0x0
	v_add_nc_u32_e32 v10, v10, v2
	s_or_b32 exec_lo, exec_lo, s36
	s_and_saveexec_b32 s36, s12
	s_cbranch_execz .LBB148_60
.LBB148_92:                             ;   in Loop: Header=BB148_47 Depth=1
	ds_load_b32 v2, v3 offset:49248
	s_wait_dscnt 0x0
	v_add_nc_u32_e32 v10, v10, v2
	s_or_b32 exec_lo, exec_lo, s36
	s_and_saveexec_b32 s36, s13
	s_cbranch_execz .LBB148_61
.LBB148_93:                             ;   in Loop: Header=BB148_47 Depth=1
	ds_load_b32 v2, v3 offset:49256
	s_wait_dscnt 0x0
	v_add_nc_u32_e32 v10, v10, v2
	s_or_b32 exec_lo, exec_lo, s36
	s_and_saveexec_b32 s36, s14
	s_cbranch_execz .LBB148_62
.LBB148_94:                             ;   in Loop: Header=BB148_47 Depth=1
	ds_load_b32 v2, v3 offset:49264
	s_wait_dscnt 0x0
	v_add_nc_u32_e32 v10, v10, v2
	s_or_b32 exec_lo, exec_lo, s36
	s_and_saveexec_b32 s36, s15
	s_cbranch_execz .LBB148_63
.LBB148_95:                             ;   in Loop: Header=BB148_47 Depth=1
	ds_load_b32 v2, v3 offset:49272
	s_wait_dscnt 0x0
	v_add_nc_u32_e32 v10, v10, v2
	s_or_b32 exec_lo, exec_lo, s36
	s_and_saveexec_b32 s36, s16
	s_cbranch_execz .LBB148_64
.LBB148_96:                             ;   in Loop: Header=BB148_47 Depth=1
	ds_load_b32 v2, v3 offset:49280
	s_wait_dscnt 0x0
	v_add_nc_u32_e32 v10, v10, v2
	s_or_b32 exec_lo, exec_lo, s36
	s_and_saveexec_b32 s36, s17
	s_cbranch_execz .LBB148_65
.LBB148_97:                             ;   in Loop: Header=BB148_47 Depth=1
	ds_load_b32 v2, v3 offset:49288
	s_wait_dscnt 0x0
	v_add_nc_u32_e32 v10, v10, v2
	s_or_b32 exec_lo, exec_lo, s36
	s_and_saveexec_b32 s36, s18
	s_cbranch_execz .LBB148_66
.LBB148_98:                             ;   in Loop: Header=BB148_47 Depth=1
	ds_load_b32 v2, v3 offset:49296
	s_wait_dscnt 0x0
	v_add_nc_u32_e32 v10, v10, v2
	s_or_b32 exec_lo, exec_lo, s36
	s_and_saveexec_b32 s36, s19
	s_cbranch_execz .LBB148_67
.LBB148_99:                             ;   in Loop: Header=BB148_47 Depth=1
	ds_load_b32 v2, v3 offset:49304
	s_wait_dscnt 0x0
	v_add_nc_u32_e32 v10, v10, v2
	s_or_b32 exec_lo, exec_lo, s36
	s_and_saveexec_b32 s36, s20
	s_cbranch_execz .LBB148_68
.LBB148_100:                            ;   in Loop: Header=BB148_47 Depth=1
	ds_load_b32 v2, v3 offset:49312
	s_wait_dscnt 0x0
	v_add_nc_u32_e32 v10, v10, v2
	s_or_b32 exec_lo, exec_lo, s36
	s_and_saveexec_b32 s36, s21
	s_cbranch_execz .LBB148_69
.LBB148_101:                            ;   in Loop: Header=BB148_47 Depth=1
	ds_load_b32 v2, v3 offset:49320
	s_wait_dscnt 0x0
	v_add_nc_u32_e32 v10, v10, v2
	s_or_b32 exec_lo, exec_lo, s36
	s_and_saveexec_b32 s36, s22
	s_cbranch_execz .LBB148_70
.LBB148_102:                            ;   in Loop: Header=BB148_47 Depth=1
	ds_load_b32 v2, v3 offset:49328
	s_wait_dscnt 0x0
	v_add_nc_u32_e32 v10, v10, v2
	s_or_b32 exec_lo, exec_lo, s36
	s_and_saveexec_b32 s36, s23
	s_cbranch_execz .LBB148_71
.LBB148_103:                            ;   in Loop: Header=BB148_47 Depth=1
	ds_load_b32 v2, v3 offset:49336
	s_wait_dscnt 0x0
	v_add_nc_u32_e32 v10, v10, v2
	s_or_b32 exec_lo, exec_lo, s36
	s_and_saveexec_b32 s36, s24
	s_cbranch_execz .LBB148_72
.LBB148_104:                            ;   in Loop: Header=BB148_47 Depth=1
	ds_load_b32 v2, v3 offset:49344
	s_wait_dscnt 0x0
	v_add_nc_u32_e32 v10, v10, v2
	s_or_b32 exec_lo, exec_lo, s36
	s_and_saveexec_b32 s36, s25
	s_cbranch_execz .LBB148_73
.LBB148_105:                            ;   in Loop: Header=BB148_47 Depth=1
	ds_load_b32 v2, v3 offset:49352
	s_wait_dscnt 0x0
	v_add_nc_u32_e32 v10, v10, v2
	s_or_b32 exec_lo, exec_lo, s36
	s_and_saveexec_b32 s36, s26
	s_cbranch_execz .LBB148_74
.LBB148_106:                            ;   in Loop: Header=BB148_47 Depth=1
	ds_load_b32 v2, v3 offset:49360
	s_wait_dscnt 0x0
	v_add_nc_u32_e32 v10, v10, v2
	s_or_b32 exec_lo, exec_lo, s36
	s_and_saveexec_b32 s36, s27
	s_cbranch_execz .LBB148_75
.LBB148_107:                            ;   in Loop: Header=BB148_47 Depth=1
	ds_load_b32 v2, v3 offset:49368
	s_wait_dscnt 0x0
	v_add_nc_u32_e32 v10, v10, v2
	s_or_b32 exec_lo, exec_lo, s36
	s_and_saveexec_b32 s36, s28
	s_cbranch_execz .LBB148_76
.LBB148_108:                            ;   in Loop: Header=BB148_47 Depth=1
	ds_load_b32 v2, v3 offset:49376
	s_wait_dscnt 0x0
	v_add_nc_u32_e32 v10, v10, v2
	s_or_b32 exec_lo, exec_lo, s36
	s_and_saveexec_b32 s36, s29
	s_cbranch_execz .LBB148_77
.LBB148_109:                            ;   in Loop: Header=BB148_47 Depth=1
	ds_load_b32 v2, v3 offset:49384
	s_wait_dscnt 0x0
	v_add_nc_u32_e32 v10, v10, v2
	s_or_b32 exec_lo, exec_lo, s36
	s_and_saveexec_b32 s36, s30
	s_cbranch_execz .LBB148_78
.LBB148_110:                            ;   in Loop: Header=BB148_47 Depth=1
	ds_load_b32 v2, v3 offset:49392
	s_wait_dscnt 0x0
	v_add_nc_u32_e32 v10, v10, v2
	s_or_b32 exec_lo, exec_lo, s36
	s_delay_alu instid0(VALU_DEP_1)
	v_ashrrev_i32_e32 v11, 31, v10
	s_and_saveexec_b32 s36, s31
	s_cbranch_execz .LBB148_79
.LBB148_111:                            ;   in Loop: Header=BB148_47 Depth=1
	scratch_load_b128 v[12:15], off, off
	v_add3_u32 v2, v6, -1, v10
	v_add_lshl_u32 v5, v6, v10, 4
	s_delay_alu instid0(VALU_DEP_2) | instskip(NEXT) | instid1(VALU_DEP_2)
	v_lshl_add_u32 v2, v2, 3, 0
	v_add3_u32 v5, 0, v5, 0x3ff0
	ds_store_b64 v2, v[8:9]
	s_wait_loadcnt 0x0
	ds_store_2addr_b64 v5, v[12:13], v[14:15] offset1:1
	s_or_b32 exec_lo, exec_lo, s36
	s_and_saveexec_b32 s31, vcc_lo
	s_cbranch_execz .LBB148_46
.LBB148_112:                            ;   in Loop: Header=BB148_47 Depth=1
	ds_store_b64 v3, v[10:11] offset:49400
	s_branch .LBB148_46
.LBB148_113:
	s_or_b32 exec_lo, exec_lo, s33
	s_wait_kmcnt 0x0
	s_lshl_b64 s[0:1], s[50:51], 3
	v_mov_b32_e32 v1, 0
	s_add_nc_u64 s[4:5], s[42:43], s[0:1]
	s_mov_b32 s6, exec_lo
	s_load_b128 s[0:3], s[4:5], 0x0
	s_wait_kmcnt 0x0
	s_sub_nc_u64 s[4:5], s[2:3], s[0:1]
	s_delay_alu instid0(SALU_CYCLE_1)
	v_cmpx_gt_i64_e64 s[4:5], v[0:1]
	s_cbranch_execz .LBB148_123
; %bb.114:
	s_sub_nc_u64 s[8:9], s[0:1], s[2:3]
	s_and_b64 s[6:7], s[4:5], 7
	v_cmp_lt_u64_e64 s10, s[8:9], -7
	s_and_b64 s[2:3], s[4:5], -8
	s_mov_b32 s47, 0
	s_cmp_lg_u64 s[6:7], 0
	s_sub_nc_u64 s[0:1], s[0:1], s[46:47]
	s_cselect_b32 s11, -1, 0
	s_mov_b32 s12, 0
	s_branch .LBB148_116
.LBB148_115:                            ;   in Loop: Header=BB148_116 Depth=1
	s_wait_dscnt 0x0
	v_lshlrev_b32_e32 v2, 3, v0
	v_add_nc_u64_e32 v[0:1], 0x400, v[0:1]
	s_delay_alu instid0(VALU_DEP_2) | instskip(NEXT) | instid1(VALU_DEP_2)
	v_add3_u32 v2, v6, v2, 0x4000
	v_cmp_le_i64_e32 vcc_lo, s[4:5], v[0:1]
	ds_load_2addr_b64 v[6:9], v2 offset1:1
	v_lshl_add_u64 v[2:3], v[4:5], 4, s[34:35]
	s_or_b32 s12, vcc_lo, s12
	s_wait_dscnt 0x0
	global_store_b128 v[2:3], v[6:9], off
	s_wait_xcnt 0x0
	s_and_not1_b32 exec_lo, exec_lo, s12
	s_cbranch_execz .LBB148_123
.LBB148_116:                            ; =>This Loop Header: Depth=1
                                        ;     Child Loop BB148_118 Depth 2
                                        ;     Child Loop BB148_122 Depth 2
	v_lshl_add_u32 v6, v0, 3, 0
	v_mov_b64_e32 v[4:5], s[0:1]
	s_and_not1_b32 vcc_lo, exec_lo, s10
	s_mov_b64 s[8:9], 0
	ds_load_b64 v[2:3], v6
	s_cbranch_vccnz .LBB148_120
; %bb.117:                              ;   in Loop: Header=BB148_116 Depth=1
	v_mov_b64_e32 v[4:5], s[0:1]
	s_mov_b32 s13, 0
.LBB148_118:                            ;   Parent Loop BB148_116 Depth=1
                                        ; =>  This Inner Loop Header: Depth=2
	s_delay_alu instid0(SALU_CYCLE_1)
	v_dual_mov_b32 v7, s13 :: v_dual_mov_b32 v17, s47
	s_add_nc_u64 s[8:9], s[8:9], 8
	s_add_co_i32 s13, s13, 64
	s_cmp_eq_u64 s[2:3], s[8:9]
	ds_load_2addr_b64 v[8:11], v7 offset1:1
	ds_load_2addr_b64 v[12:15], v7 offset0:2 offset1:3
	s_wait_dscnt 0x1
	v_cmp_gt_i64_e32 vcc_lo, v[2:3], v[8:9]
	v_cndmask_b32_e64 v16, 0, 1, vcc_lo
	v_cmp_gt_i64_e32 vcc_lo, v[2:3], v[10:11]
	ds_load_2addr_b64 v[8:11], v7 offset0:4 offset1:5
	v_add_nc_u64_e32 v[4:5], v[4:5], v[16:17]
	v_cndmask_b32_e64 v18, 0, 1, vcc_lo
	s_wait_dscnt 0x1
	v_cmp_gt_i64_e32 vcc_lo, v[2:3], v[12:13]
	v_cndmask_b32_e64 v16, 0, 1, vcc_lo
	v_cmp_gt_i64_e32 vcc_lo, v[2:3], v[14:15]
	ds_load_2addr_b64 v[12:15], v7 offset0:6 offset1:7
	v_mov_b32_e32 v19, s47
	s_delay_alu instid0(VALU_DEP_1) | instskip(SKIP_4) | instid1(VALU_DEP_4)
	v_add_nc_u64_e32 v[4:5], v[4:5], v[18:19]
	v_cndmask_b32_e64 v18, 0, 1, vcc_lo
	s_wait_dscnt 0x1
	v_cmp_gt_i64_e32 vcc_lo, v[2:3], v[8:9]
	v_mov_b32_e32 v9, s47
	v_add_nc_u64_e32 v[4:5], v[4:5], v[16:17]
	v_cndmask_b32_e64 v16, 0, 1, vcc_lo
	v_cmp_gt_i64_e32 vcc_lo, v[2:3], v[10:11]
	v_mov_b32_e32 v11, s47
	s_delay_alu instid0(VALU_DEP_4) | instskip(SKIP_3) | instid1(VALU_DEP_3)
	v_add_nc_u64_e32 v[4:5], v[4:5], v[18:19]
	v_cndmask_b32_e64 v8, 0, 1, vcc_lo
	s_wait_dscnt 0x0
	v_cmp_gt_i64_e32 vcc_lo, v[2:3], v[12:13]
	v_add_nc_u64_e32 v[4:5], v[4:5], v[16:17]
	v_cndmask_b32_e64 v10, 0, 1, vcc_lo
	v_cmp_gt_i64_e32 vcc_lo, v[2:3], v[14:15]
	s_delay_alu instid0(VALU_DEP_3) | instskip(SKIP_1) | instid1(VALU_DEP_2)
	v_add_nc_u64_e32 v[4:5], v[4:5], v[8:9]
	v_cndmask_b32_e64 v8, 0, 1, vcc_lo
	v_add_nc_u64_e32 v[4:5], v[4:5], v[10:11]
	s_delay_alu instid0(VALU_DEP_1)
	v_add_nc_u64_e32 v[4:5], v[4:5], v[8:9]
	s_cbranch_scc0 .LBB148_118
; %bb.119:                              ;   in Loop: Header=BB148_116 Depth=1
	s_mov_b64 s[8:9], s[2:3]
.LBB148_120:                            ;   in Loop: Header=BB148_116 Depth=1
	s_and_not1_b32 vcc_lo, exec_lo, s11
	s_cbranch_vccnz .LBB148_115
; %bb.121:                              ;   in Loop: Header=BB148_116 Depth=1
	s_lshl_b32 s8, s8, 3
	s_delay_alu instid0(SALU_CYCLE_1)
	s_add_co_i32 s13, s8, 0
	s_mov_b64 s[8:9], s[6:7]
.LBB148_122:                            ;   Parent Loop BB148_116 Depth=1
                                        ; =>  This Inner Loop Header: Depth=2
	v_dual_mov_b32 v7, s13 :: v_dual_mov_b32 v11, s47
	s_add_nc_u64 s[8:9], s[8:9], -1
	s_add_co_i32 s13, s13, 8
	s_cmp_lg_u64 s[8:9], 0
	ds_load_b64 v[8:9], v7
	s_wait_dscnt 0x0
	v_cmp_gt_i64_e32 vcc_lo, v[2:3], v[8:9]
	v_cndmask_b32_e64 v10, 0, 1, vcc_lo
	s_delay_alu instid0(VALU_DEP_1)
	v_add_nc_u64_e32 v[4:5], v[4:5], v[10:11]
	s_cbranch_scc1 .LBB148_122
	s_branch .LBB148_115
.LBB148_123:
	s_endpgm
	.section	.rodata,"a",@progbits
	.p2align	6, 0x0
	.amdhsa_kernel _ZN9rocsparseL41csrgemm_numeric_fill_block_per_row_kernelILj1024ELj32ELj2048ELj137ELj32Ell21rocsparse_complex_numIdEEEvT5_PKS3_S5_NS_24const_host_device_scalarIT6_EEPKT4_S5_PKS7_SB_S5_SD_S8_SB_S5_SD_SB_S5_PS7_21rocsparse_index_base_SF_SF_SF_bbb
		.amdhsa_group_segment_fixed_size 0
		.amdhsa_private_segment_fixed_size 40
		.amdhsa_kernarg_size 172
		.amdhsa_user_sgpr_count 2
		.amdhsa_user_sgpr_dispatch_ptr 0
		.amdhsa_user_sgpr_queue_ptr 0
		.amdhsa_user_sgpr_kernarg_segment_ptr 1
		.amdhsa_user_sgpr_dispatch_id 0
		.amdhsa_user_sgpr_kernarg_preload_length 0
		.amdhsa_user_sgpr_kernarg_preload_offset 0
		.amdhsa_user_sgpr_private_segment_size 0
		.amdhsa_wavefront_size32 1
		.amdhsa_uses_dynamic_stack 0
		.amdhsa_enable_private_segment 1
		.amdhsa_system_sgpr_workgroup_id_x 1
		.amdhsa_system_sgpr_workgroup_id_y 0
		.amdhsa_system_sgpr_workgroup_id_z 0
		.amdhsa_system_sgpr_workgroup_info 0
		.amdhsa_system_vgpr_workitem_id 0
		.amdhsa_next_free_vgpr 40
		.amdhsa_next_free_sgpr 52
		.amdhsa_named_barrier_count 0
		.amdhsa_reserve_vcc 1
		.amdhsa_float_round_mode_32 0
		.amdhsa_float_round_mode_16_64 0
		.amdhsa_float_denorm_mode_32 3
		.amdhsa_float_denorm_mode_16_64 3
		.amdhsa_fp16_overflow 0
		.amdhsa_memory_ordered 1
		.amdhsa_forward_progress 1
		.amdhsa_inst_pref_size 35
		.amdhsa_round_robin_scheduling 0
		.amdhsa_exception_fp_ieee_invalid_op 0
		.amdhsa_exception_fp_denorm_src 0
		.amdhsa_exception_fp_ieee_div_zero 0
		.amdhsa_exception_fp_ieee_overflow 0
		.amdhsa_exception_fp_ieee_underflow 0
		.amdhsa_exception_fp_ieee_inexact 0
		.amdhsa_exception_int_div_zero 0
	.end_amdhsa_kernel
	.section	.text._ZN9rocsparseL41csrgemm_numeric_fill_block_per_row_kernelILj1024ELj32ELj2048ELj137ELj32Ell21rocsparse_complex_numIdEEEvT5_PKS3_S5_NS_24const_host_device_scalarIT6_EEPKT4_S5_PKS7_SB_S5_SD_S8_SB_S5_SD_SB_S5_PS7_21rocsparse_index_base_SF_SF_SF_bbb,"axG",@progbits,_ZN9rocsparseL41csrgemm_numeric_fill_block_per_row_kernelILj1024ELj32ELj2048ELj137ELj32Ell21rocsparse_complex_numIdEEEvT5_PKS3_S5_NS_24const_host_device_scalarIT6_EEPKT4_S5_PKS7_SB_S5_SD_S8_SB_S5_SD_SB_S5_PS7_21rocsparse_index_base_SF_SF_SF_bbb,comdat
.Lfunc_end148:
	.size	_ZN9rocsparseL41csrgemm_numeric_fill_block_per_row_kernelILj1024ELj32ELj2048ELj137ELj32Ell21rocsparse_complex_numIdEEEvT5_PKS3_S5_NS_24const_host_device_scalarIT6_EEPKT4_S5_PKS7_SB_S5_SD_S8_SB_S5_SD_SB_S5_PS7_21rocsparse_index_base_SF_SF_SF_bbb, .Lfunc_end148-_ZN9rocsparseL41csrgemm_numeric_fill_block_per_row_kernelILj1024ELj32ELj2048ELj137ELj32Ell21rocsparse_complex_numIdEEEvT5_PKS3_S5_NS_24const_host_device_scalarIT6_EEPKT4_S5_PKS7_SB_S5_SD_S8_SB_S5_SD_SB_S5_PS7_21rocsparse_index_base_SF_SF_SF_bbb
                                        ; -- End function
	.set _ZN9rocsparseL41csrgemm_numeric_fill_block_per_row_kernelILj1024ELj32ELj2048ELj137ELj32Ell21rocsparse_complex_numIdEEEvT5_PKS3_S5_NS_24const_host_device_scalarIT6_EEPKT4_S5_PKS7_SB_S5_SD_S8_SB_S5_SD_SB_S5_PS7_21rocsparse_index_base_SF_SF_SF_bbb.num_vgpr, 40
	.set _ZN9rocsparseL41csrgemm_numeric_fill_block_per_row_kernelILj1024ELj32ELj2048ELj137ELj32Ell21rocsparse_complex_numIdEEEvT5_PKS3_S5_NS_24const_host_device_scalarIT6_EEPKT4_S5_PKS7_SB_S5_SD_S8_SB_S5_SD_SB_S5_PS7_21rocsparse_index_base_SF_SF_SF_bbb.num_agpr, 0
	.set _ZN9rocsparseL41csrgemm_numeric_fill_block_per_row_kernelILj1024ELj32ELj2048ELj137ELj32Ell21rocsparse_complex_numIdEEEvT5_PKS3_S5_NS_24const_host_device_scalarIT6_EEPKT4_S5_PKS7_SB_S5_SD_S8_SB_S5_SD_SB_S5_PS7_21rocsparse_index_base_SF_SF_SF_bbb.numbered_sgpr, 52
	.set _ZN9rocsparseL41csrgemm_numeric_fill_block_per_row_kernelILj1024ELj32ELj2048ELj137ELj32Ell21rocsparse_complex_numIdEEEvT5_PKS3_S5_NS_24const_host_device_scalarIT6_EEPKT4_S5_PKS7_SB_S5_SD_S8_SB_S5_SD_SB_S5_PS7_21rocsparse_index_base_SF_SF_SF_bbb.num_named_barrier, 0
	.set _ZN9rocsparseL41csrgemm_numeric_fill_block_per_row_kernelILj1024ELj32ELj2048ELj137ELj32Ell21rocsparse_complex_numIdEEEvT5_PKS3_S5_NS_24const_host_device_scalarIT6_EEPKT4_S5_PKS7_SB_S5_SD_S8_SB_S5_SD_SB_S5_PS7_21rocsparse_index_base_SF_SF_SF_bbb.private_seg_size, 40
	.set _ZN9rocsparseL41csrgemm_numeric_fill_block_per_row_kernelILj1024ELj32ELj2048ELj137ELj32Ell21rocsparse_complex_numIdEEEvT5_PKS3_S5_NS_24const_host_device_scalarIT6_EEPKT4_S5_PKS7_SB_S5_SD_S8_SB_S5_SD_SB_S5_PS7_21rocsparse_index_base_SF_SF_SF_bbb.uses_vcc, 1
	.set _ZN9rocsparseL41csrgemm_numeric_fill_block_per_row_kernelILj1024ELj32ELj2048ELj137ELj32Ell21rocsparse_complex_numIdEEEvT5_PKS3_S5_NS_24const_host_device_scalarIT6_EEPKT4_S5_PKS7_SB_S5_SD_S8_SB_S5_SD_SB_S5_PS7_21rocsparse_index_base_SF_SF_SF_bbb.uses_flat_scratch, 1
	.set _ZN9rocsparseL41csrgemm_numeric_fill_block_per_row_kernelILj1024ELj32ELj2048ELj137ELj32Ell21rocsparse_complex_numIdEEEvT5_PKS3_S5_NS_24const_host_device_scalarIT6_EEPKT4_S5_PKS7_SB_S5_SD_S8_SB_S5_SD_SB_S5_PS7_21rocsparse_index_base_SF_SF_SF_bbb.has_dyn_sized_stack, 0
	.set _ZN9rocsparseL41csrgemm_numeric_fill_block_per_row_kernelILj1024ELj32ELj2048ELj137ELj32Ell21rocsparse_complex_numIdEEEvT5_PKS3_S5_NS_24const_host_device_scalarIT6_EEPKT4_S5_PKS7_SB_S5_SD_S8_SB_S5_SD_SB_S5_PS7_21rocsparse_index_base_SF_SF_SF_bbb.has_recursion, 0
	.set _ZN9rocsparseL41csrgemm_numeric_fill_block_per_row_kernelILj1024ELj32ELj2048ELj137ELj32Ell21rocsparse_complex_numIdEEEvT5_PKS3_S5_NS_24const_host_device_scalarIT6_EEPKT4_S5_PKS7_SB_S5_SD_S8_SB_S5_SD_SB_S5_PS7_21rocsparse_index_base_SF_SF_SF_bbb.has_indirect_call, 0
	.section	.AMDGPU.csdata,"",@progbits
; Kernel info:
; codeLenInByte = 4472
; TotalNumSgprs: 54
; NumVgprs: 40
; ScratchSize: 40
; MemoryBound: 0
; FloatMode: 240
; IeeeMode: 1
; LDSByteSize: 0 bytes/workgroup (compile time only)
; SGPRBlocks: 0
; VGPRBlocks: 2
; NumSGPRsForWavesPerEU: 54
; NumVGPRsForWavesPerEU: 40
; NamedBarCnt: 0
; Occupancy: 16
; WaveLimiterHint : 1
; COMPUTE_PGM_RSRC2:SCRATCH_EN: 1
; COMPUTE_PGM_RSRC2:USER_SGPR: 2
; COMPUTE_PGM_RSRC2:TRAP_HANDLER: 0
; COMPUTE_PGM_RSRC2:TGID_X_EN: 1
; COMPUTE_PGM_RSRC2:TGID_Y_EN: 0
; COMPUTE_PGM_RSRC2:TGID_Z_EN: 0
; COMPUTE_PGM_RSRC2:TIDIG_COMP_CNT: 0
	.section	.text._ZN9rocsparseL41csrgemm_numeric_fill_block_per_row_kernelILj1024ELj32ELj2048ELj137ELj64Ell21rocsparse_complex_numIdEEEvT5_PKS3_S5_NS_24const_host_device_scalarIT6_EEPKT4_S5_PKS7_SB_S5_SD_S8_SB_S5_SD_SB_S5_PS7_21rocsparse_index_base_SF_SF_SF_bbb,"axG",@progbits,_ZN9rocsparseL41csrgemm_numeric_fill_block_per_row_kernelILj1024ELj32ELj2048ELj137ELj64Ell21rocsparse_complex_numIdEEEvT5_PKS3_S5_NS_24const_host_device_scalarIT6_EEPKT4_S5_PKS7_SB_S5_SD_S8_SB_S5_SD_SB_S5_PS7_21rocsparse_index_base_SF_SF_SF_bbb,comdat
	.globl	_ZN9rocsparseL41csrgemm_numeric_fill_block_per_row_kernelILj1024ELj32ELj2048ELj137ELj64Ell21rocsparse_complex_numIdEEEvT5_PKS3_S5_NS_24const_host_device_scalarIT6_EEPKT4_S5_PKS7_SB_S5_SD_S8_SB_S5_SD_SB_S5_PS7_21rocsparse_index_base_SF_SF_SF_bbb ; -- Begin function _ZN9rocsparseL41csrgemm_numeric_fill_block_per_row_kernelILj1024ELj32ELj2048ELj137ELj64Ell21rocsparse_complex_numIdEEEvT5_PKS3_S5_NS_24const_host_device_scalarIT6_EEPKT4_S5_PKS7_SB_S5_SD_S8_SB_S5_SD_SB_S5_PS7_21rocsparse_index_base_SF_SF_SF_bbb
	.p2align	8
	.type	_ZN9rocsparseL41csrgemm_numeric_fill_block_per_row_kernelILj1024ELj32ELj2048ELj137ELj64Ell21rocsparse_complex_numIdEEEvT5_PKS3_S5_NS_24const_host_device_scalarIT6_EEPKT4_S5_PKS7_SB_S5_SD_S8_SB_S5_SD_SB_S5_PS7_21rocsparse_index_base_SF_SF_SF_bbb,@function
_ZN9rocsparseL41csrgemm_numeric_fill_block_per_row_kernelILj1024ELj32ELj2048ELj137ELj64Ell21rocsparse_complex_numIdEEEvT5_PKS3_S5_NS_24const_host_device_scalarIT6_EEPKT4_S5_PKS7_SB_S5_SD_S8_SB_S5_SD_SB_S5_PS7_21rocsparse_index_base_SF_SF_SF_bbb: ; @_ZN9rocsparseL41csrgemm_numeric_fill_block_per_row_kernelILj1024ELj32ELj2048ELj137ELj64Ell21rocsparse_complex_numIdEEEvT5_PKS3_S5_NS_24const_host_device_scalarIT6_EEPKT4_S5_PKS7_SB_S5_SD_S8_SB_S5_SD_SB_S5_PS7_21rocsparse_index_base_SF_SF_SF_bbb
; %bb.0:
	s_clause 0x3
	s_load_b32 s3, s[0:1], 0xa8
	s_load_b128 s[8:11], s[0:1], 0x18
	s_load_b128 s[4:7], s[0:1], 0x58
	;; [unrolled: 1-line block ×3, first 2 shown]
	v_mov_b64_e32 v[6:7], 0
	v_mov_b64_e32 v[10:11], 0
	;; [unrolled: 1-line block ×3, first 2 shown]
	v_mbcnt_lo_u32_b32 v37, -1, 0
	s_wait_kmcnt 0x0
	s_bitcmp1_b32 s3, 0
	v_mov_b64_e32 v[2:3], s[8:9]
	s_cselect_b32 s36, -1, 0
	s_bitcmp1_b32 s3, 16
	v_mov_b64_e32 v[4:5], s[4:5]
	s_cselect_b32 s2, -1, 0
	s_clause 0x1
	scratch_store_b64 off, v[2:3], off offset:16
	scratch_store_b64 off, v[4:5], off offset:24
	s_xor_b32 s12, s2, -1
	s_bitcmp0_b32 s3, 0
	v_cndmask_b32_e64 v1, 0, 1, s12
	s_delay_alu instid0(VALU_DEP_1)
	v_cmp_ne_u32_e32 vcc_lo, 1, v1
	s_cbranch_scc1 .LBB149_3
; %bb.1:
	s_wait_xcnt 0x1
	v_dual_mov_b32 v2, 16 :: v_dual_lshlrev_b32 v3, 20, v37
	v_mov_b64_e32 v[12:13], s[10:11]
	s_and_b32 vcc_lo, exec_lo, vcc_lo
	s_delay_alu instid0(VALU_DEP_2) | instskip(NEXT) | instid1(VALU_DEP_1)
	v_add_nc_u64_e32 v[2:3], src_flat_scratch_base_lo, v[2:3]
	v_cndmask_b32_e64 v3, s9, v3, s2
	s_delay_alu instid0(VALU_DEP_2)
	v_cndmask_b32_e64 v2, s8, v2, s2
	flat_load_b64 v[10:11], v[2:3]
	s_cbranch_vccnz .LBB149_3
; %bb.2:
	v_mov_b32_e32 v1, 0
	flat_load_b64 v[12:13], v1, s[8:9] offset:8
.LBB149_3:
	s_load_b64 s[34:35], s[0:1], 0x8
	v_mov_b64_e32 v[8:9], 0
	s_bitcmp1_b32 s3, 8
	s_cselect_b32 s33, -1, 0
	s_bfe_u32 s3, s3, 0x10008
	s_delay_alu instid0(SALU_CYCLE_1)
	s_cmp_eq_u32 s3, 0
	s_cbranch_scc1 .LBB149_6
; %bb.4:
	v_dual_mov_b32 v2, 24 :: v_dual_lshlrev_b32 v3, 20, v37
	v_mov_b64_e32 v[6:7], s[6:7]
	s_and_not1_b32 vcc_lo, exec_lo, s12
	s_delay_alu instid0(VALU_DEP_2) | instskip(NEXT) | instid1(VALU_DEP_1)
	v_add_nc_u64_e32 v[2:3], src_flat_scratch_base_lo, v[2:3]
	v_cndmask_b32_e64 v3, s5, v3, s2
	s_delay_alu instid0(VALU_DEP_2)
	v_cndmask_b32_e64 v2, s4, v2, s2
	flat_load_b64 v[8:9], v[2:3]
	s_cbranch_vccnz .LBB149_6
; %bb.5:
	v_mov_b32_e32 v1, 0
	flat_load_b64 v[6:7], v1, s[4:5] offset:8
.LBB149_6:
	s_clause 0x5
	s_load_b64 s[30:31], s[0:1], 0x0
	s_load_b64 s[2:3], s[0:1], 0x10
	;; [unrolled: 1-line block ×3, first 2 shown]
	s_load_b256 s[12:19], s[0:1], 0x68
	s_load_b128 s[24:27], s[0:1], 0x48
	s_load_b256 s[4:11], s[0:1], 0x28
	v_or_b32_e32 v34, 0xfffffc00, v0
	v_lshlrev_b32_e32 v1, 4, v0
	s_wait_xcnt 0x0
	s_mov_b32 s0, 0
	v_lshl_add_u32 v35, v0, 3, 0
	s_mov_b32 s1, s0
	v_mov_b32_e32 v16, v34
	v_add3_u32 v36, v1, 0, 0x4000
	s_mov_b32 s38, s0
	s_mov_b32 s39, s0
	v_mov_b64_e32 v[2:3], s[0:1]
	v_mov_b64_e32 v[4:5], s[38:39]
	v_dual_mov_b32 v1, v35 :: v_dual_mov_b32 v17, v36
	s_wait_kmcnt 0x0
	v_mov_b64_e32 v[14:15], s[30:31]
.LBB149_7:                              ; =>This Inner Loop Header: Depth=1
	v_add_co_u32 v16, s1, 0x400, v16
	s_xor_b32 s1, s1, -1
	ds_store_b64 v1, v[14:15]
	ds_store_2addr_b64 v17, v[2:3], v[4:5] offset1:1
	v_add_nc_u32_e32 v17, 0x4000, v17
	v_add_nc_u32_e32 v1, 0x2000, v1
	s_and_b32 s1, exec_lo, s1
	s_delay_alu instid0(SALU_CYCLE_1) | instskip(NEXT) | instid1(SALU_CYCLE_1)
	s_or_b32 s0, s1, s0
	s_and_not1_b32 exec_lo, exec_lo, s0
	s_cbranch_execnz .LBB149_7
; %bb.8:
	s_or_b32 exec_lo, exec_lo, s0
	s_wait_storecnt 0x0
	s_wait_loadcnt_dscnt 0x0
	s_barrier_signal -1
	s_barrier_wait -1
	s_load_b64 s[0:1], s[34:35], 0x0
	s_wait_xcnt 0x0
	s_bfe_u32 s34, ttmp6, 0x4000c
	s_and_b32 s35, ttmp6, 15
	s_add_co_i32 s34, s34, 1
	s_getreg_b32 s37, hwreg(HW_REG_IB_STS2, 6, 4)
	s_mul_i32 s34, ttmp9, s34
	s_delay_alu instid0(SALU_CYCLE_1)
	s_add_co_i32 s35, s35, s34
	s_wait_kmcnt 0x0
	s_lshl_b64 s[0:1], s[0:1], 3
	s_cmp_eq_u32 s37, 0
	s_add_nc_u64 s[0:1], s[2:3], s[0:1]
	s_cselect_b32 s2, ttmp9, s35
	s_and_b32 vcc_lo, exec_lo, s36
	s_load_b64 s[34:35], s[0:1], s2 offset:0x0 scale_offset
	s_wait_xcnt 0x0
	s_mov_b32 s1, 0
	s_cbranch_vccz .LBB149_28
; %bb.9:
	s_wait_kmcnt 0x0
	s_lshl_b64 s[2:3], s[34:35], 3
	v_dual_mov_b32 v3, 0 :: v_dual_lshrrev_b32 v2, 5, v0
	s_add_nc_u64 s[2:3], s[4:5], s[2:3]
	s_mov_b32 s0, s20
	s_load_b128 s[36:39], s[2:3], 0x0
	s_mov_b32 s20, exec_lo
	v_sub_nc_u64_e64 v[4:5], v[2:3], s[0:1]
	s_wait_kmcnt 0x0
	s_delay_alu instid0(VALU_DEP_1)
	v_add_nc_u64_e32 v[14:15], s[36:37], v[4:5]
	s_sub_nc_u64 s[2:3], s[38:39], s[0:1]
	s_delay_alu instid0(VALU_DEP_1) | instid1(SALU_CYCLE_1)
	v_cmpx_gt_i64_e64 s[2:3], v[14:15]
	s_cbranch_execz .LBB149_27
; %bb.10:
	v_and_b32_e32 v2, 31, v0
	s_mov_b32 s5, 0
	s_mov_b32 s4, s21
	;; [unrolled: 1-line block ×3, first 2 shown]
	s_delay_alu instid0(VALU_DEP_1)
	v_sub_nc_u64_e64 v[16:17], v[2:3], s[4:5]
	s_branch .LBB149_12
.LBB149_11:                             ;   in Loop: Header=BB149_12 Depth=1
	s_or_b32 exec_lo, exec_lo, s36
	v_add_nc_u64_e32 v[14:15], 32, v[14:15]
	s_delay_alu instid0(VALU_DEP_1) | instskip(SKIP_1) | instid1(SALU_CYCLE_1)
	v_cmp_le_i64_e32 vcc_lo, s[2:3], v[14:15]
	s_or_b32 s21, vcc_lo, s21
	s_and_not1_b32 exec_lo, exec_lo, s21
	s_cbranch_execz .LBB149_27
.LBB149_12:                             ; =>This Loop Header: Depth=1
                                        ;     Child Loop BB149_16 Depth 2
                                        ;       Child Loop BB149_19 Depth 3
	v_lshl_add_u64 v[2:3], v[14:15], 3, s[6:7]
	s_mov_b32 s36, exec_lo
	global_load_b64 v[2:3], v[2:3], off
	s_wait_loadcnt 0x0
	s_wait_xcnt 0x0
	v_sub_nc_u64_e64 v[2:3], v[2:3], s[0:1]
	s_delay_alu instid0(VALU_DEP_1)
	v_lshl_add_u64 v[2:3], v[2:3], 3, s[10:11]
	global_load_b128 v[2:5], v[2:3], off
	s_wait_loadcnt 0x0
	v_sub_nc_u64_e64 v[18:19], v[4:5], s[4:5]
	v_add_nc_u64_e32 v[20:21], v[2:3], v[16:17]
	s_wait_xcnt 0x0
	s_delay_alu instid0(VALU_DEP_1)
	v_cmpx_lt_i64_e64 v[20:21], v[18:19]
	s_cbranch_execz .LBB149_11
; %bb.13:                               ;   in Loop: Header=BB149_12 Depth=1
	v_lshl_add_u64 v[2:3], v[14:15], 4, s[8:9]
	s_mov_b32 s37, 0
	global_load_b128 v[2:5], v[2:3], off
	s_wait_loadcnt 0x0
	v_mul_f64_e64 v[22:23], v[4:5], -v[12:13]
	v_mul_f64_e32 v[24:25], v[10:11], v[4:5]
	s_delay_alu instid0(VALU_DEP_2) | instskip(NEXT) | instid1(VALU_DEP_2)
	v_fmac_f64_e32 v[22:23], v[10:11], v[2:3]
	v_fmac_f64_e32 v[24:25], v[12:13], v[2:3]
	s_branch .LBB149_16
.LBB149_14:                             ;   in Loop: Header=BB149_16 Depth=2
	s_or_b32 exec_lo, exec_lo, s39
.LBB149_15:                             ;   in Loop: Header=BB149_16 Depth=2
	s_delay_alu instid0(SALU_CYCLE_1)
	s_or_b32 exec_lo, exec_lo, s38
	s_wait_loadcnt 0x0
	v_mul_f64_e64 v[28:29], v[4:5], -v[24:25]
	v_mul_f64_e32 v[4:5], v[22:23], v[4:5]
	v_lshl_add_u32 v1, v26, 4, 0
	v_add_nc_u64_e32 v[20:21], 32, v[20:21]
	s_delay_alu instid0(VALU_DEP_1)
	v_cmp_ge_i64_e32 vcc_lo, v[20:21], v[18:19]
	s_or_b32 s37, vcc_lo, s37
	v_fmac_f64_e32 v[28:29], v[22:23], v[2:3]
	v_fmac_f64_e32 v[4:5], v[24:25], v[2:3]
	ds_add_f64 v1, v[28:29] offset:16384
	ds_add_f64 v1, v[4:5] offset:16392
	s_and_not1_b32 exec_lo, exec_lo, s37
	s_cbranch_execz .LBB149_11
.LBB149_16:                             ;   Parent Loop BB149_12 Depth=1
                                        ; =>  This Loop Header: Depth=2
                                        ;       Child Loop BB149_19 Depth 3
	s_wait_xcnt 0x0
	v_lshl_add_u64 v[2:3], v[20:21], 3, s[24:25]
	s_mov_b32 s38, exec_lo
	global_load_b64 v[26:27], v[2:3], off
	s_wait_xcnt 0x0
	v_lshl_add_u64 v[2:3], v[20:21], 4, s[26:27]
	global_load_b128 v[2:5], v[2:3], off
	s_wait_loadcnt 0x1
	v_sub_nc_u64_e64 v[28:29], v[26:27], s[4:5]
	s_delay_alu instid0(VALU_DEP_1) | instskip(NEXT) | instid1(VALU_DEP_1)
	v_mul_lo_u32 v1, 0x89, v28
	v_and_b32_e32 v26, 0x7ff, v1
	s_delay_alu instid0(VALU_DEP_1)
	v_lshl_add_u32 v1, v26, 3, 0
	ds_load_b64 v[32:33], v1
	s_wait_dscnt 0x0
	s_wait_xcnt 0x0
	v_cmpx_ne_u64_e64 v[32:33], v[28:29]
	s_cbranch_execz .LBB149_15
; %bb.17:                               ;   in Loop: Header=BB149_16 Depth=2
	s_mov_b32 s39, 0
                                        ; implicit-def: $sgpr40
                                        ; implicit-def: $sgpr41
	s_branch .LBB149_19
.LBB149_18:                             ;   in Loop: Header=BB149_19 Depth=3
	s_or_b32 exec_lo, exec_lo, s44
	s_delay_alu instid0(SALU_CYCLE_1) | instskip(NEXT) | instid1(SALU_CYCLE_1)
	s_and_b32 s42, exec_lo, s43
	s_or_b32 s39, s42, s39
	s_and_not1_b32 s40, s40, exec_lo
	s_and_b32 s42, s41, exec_lo
	s_delay_alu instid0(SALU_CYCLE_1)
	s_or_b32 s40, s40, s42
	s_and_not1_b32 exec_lo, exec_lo, s39
	s_cbranch_execz .LBB149_25
.LBB149_19:                             ;   Parent Loop BB149_12 Depth=1
                                        ;     Parent Loop BB149_16 Depth=2
                                        ; =>    This Inner Loop Header: Depth=3
	v_mov_b64_e32 v[30:31], v[26:27]
	s_mov_b32 s42, 0
	s_mov_b32 s43, exec_lo
                                        ; implicit-def: $vgpr26_vgpr27
	v_cmpx_ne_u64_e64 s[30:31], v[32:33]
	s_xor_b32 s43, exec_lo, s43
; %bb.20:                               ;   in Loop: Header=BB149_19 Depth=3
	s_delay_alu instid0(VALU_DEP_2) | instskip(SKIP_1) | instid1(VALU_DEP_1)
	v_add_nc_u32_e32 v1, 1, v30
	s_mov_b32 s42, exec_lo
	v_and_b32_e32 v26, 0x7ff, v1
                                        ; implicit-def: $vgpr1
; %bb.21:                               ;   in Loop: Header=BB149_19 Depth=3
	s_and_not1_saveexec_b32 s43, s43
	s_cbranch_execz .LBB149_23
; %bb.22:                               ;   in Loop: Header=BB149_19 Depth=3
	v_mov_b64_e32 v[26:27], s[30:31]
	s_and_not1_b32 s42, s42, exec_lo
	ds_cmpstore_rtn_b64 v[26:27], v1, v[28:29], v[26:27]
	s_wait_dscnt 0x0
	v_cmp_ne_u64_e32 vcc_lo, s[30:31], v[26:27]
	v_mov_b64_e32 v[26:27], v[30:31]
	s_and_b32 s44, vcc_lo, exec_lo
	s_delay_alu instid0(SALU_CYCLE_1)
	s_or_b32 s42, s42, s44
.LBB149_23:                             ;   in Loop: Header=BB149_19 Depth=3
	s_or_b32 exec_lo, exec_lo, s43
	s_mov_b32 s43, -1
	s_or_b32 s41, s41, exec_lo
                                        ; implicit-def: $vgpr1
                                        ; implicit-def: $vgpr32_vgpr33
	s_and_saveexec_b32 s44, s42
	s_cbranch_execz .LBB149_18
; %bb.24:                               ;   in Loop: Header=BB149_19 Depth=3
	v_lshl_add_u32 v1, v26, 3, 0
	s_and_not1_b32 s41, s41, exec_lo
	ds_load_b64 v[32:33], v1
	s_wait_dscnt 0x0
	v_cmp_eq_u64_e32 vcc_lo, v[32:33], v[28:29]
	s_or_not1_b32 s43, vcc_lo, exec_lo
	s_branch .LBB149_18
.LBB149_25:                             ;   in Loop: Header=BB149_16 Depth=2
	s_or_b32 exec_lo, exec_lo, s39
	s_and_saveexec_b32 s39, s40
	s_delay_alu instid0(SALU_CYCLE_1)
	s_xor_b32 s39, exec_lo, s39
	s_cbranch_execz .LBB149_14
; %bb.26:                               ;   in Loop: Header=BB149_16 Depth=2
	v_mov_b32_e32 v26, v30
	s_branch .LBB149_14
.LBB149_27:
	s_or_b32 exec_lo, exec_lo, s20
.LBB149_28:
	s_delay_alu instid0(SALU_CYCLE_1)
	s_and_not1_b32 vcc_lo, exec_lo, s33
	s_cbranch_vccnz .LBB149_45
; %bb.29:
	s_wait_kmcnt 0x0
	s_lshl_b64 s[0:1], s[34:35], 3
	v_mov_b32_e32 v1, 0
	s_add_nc_u64 s[0:1], s[12:13], s[0:1]
	s_load_b128 s[4:7], s[0:1], 0x0
	s_wait_xcnt 0x0
	s_mov_b32 s1, 0
	s_mov_b32 s0, s23
	s_delay_alu instid0(SALU_CYCLE_1) | instskip(SKIP_1) | instid1(VALU_DEP_1)
	v_sub_nc_u64_e64 v[2:3], v[0:1], s[0:1]
	s_wait_kmcnt 0x0
	v_add_nc_u64_e32 v[10:11], s[4:5], v[2:3]
	s_sub_nc_u64 s[2:3], s[6:7], s[0:1]
	s_mov_b32 s4, exec_lo
	s_delay_alu instid0(VALU_DEP_1)
	v_cmpx_gt_i64_e64 s[2:3], v[10:11]
	s_cbranch_execz .LBB149_44
; %bb.30:
	s_mov_b32 s5, s1
	s_branch .LBB149_33
.LBB149_31:                             ;   in Loop: Header=BB149_33 Depth=1
	s_or_b32 exec_lo, exec_lo, s7
.LBB149_32:                             ;   in Loop: Header=BB149_33 Depth=1
	s_delay_alu instid0(SALU_CYCLE_1)
	s_or_b32 exec_lo, exec_lo, s6
	s_wait_loadcnt 0x0
	v_mul_f64_e64 v[14:15], v[4:5], -v[6:7]
	v_mul_f64_e32 v[4:5], v[8:9], v[4:5]
	v_lshl_add_u32 v1, v12, 4, 0
	v_add_nc_u64_e32 v[10:11], 0x400, v[10:11]
	s_delay_alu instid0(VALU_DEP_1)
	v_cmp_le_i64_e32 vcc_lo, s[2:3], v[10:11]
	s_or_b32 s5, vcc_lo, s5
	v_fmac_f64_e32 v[14:15], v[8:9], v[2:3]
	v_fmac_f64_e32 v[4:5], v[6:7], v[2:3]
	ds_add_f64 v1, v[14:15] offset:16384
	ds_add_f64 v1, v[4:5] offset:16392
	s_and_not1_b32 exec_lo, exec_lo, s5
	s_cbranch_execz .LBB149_44
.LBB149_33:                             ; =>This Loop Header: Depth=1
                                        ;     Child Loop BB149_36 Depth 2
	v_lshl_add_u64 v[2:3], v[10:11], 3, s[14:15]
	s_mov_b32 s6, exec_lo
	global_load_b64 v[12:13], v[2:3], off
	s_wait_xcnt 0x0
	v_lshl_add_u64 v[2:3], v[10:11], 4, s[16:17]
	global_load_b128 v[2:5], v[2:3], off
	s_wait_loadcnt 0x1
	v_sub_nc_u64_e64 v[14:15], v[12:13], s[0:1]
	s_delay_alu instid0(VALU_DEP_1) | instskip(NEXT) | instid1(VALU_DEP_1)
	v_mul_lo_u32 v1, 0x89, v14
	v_and_b32_e32 v12, 0x7ff, v1
	s_delay_alu instid0(VALU_DEP_1)
	v_lshl_add_u32 v1, v12, 3, 0
	ds_load_b64 v[18:19], v1
	s_wait_dscnt 0x0
	s_wait_xcnt 0x0
	v_cmpx_ne_u64_e64 v[18:19], v[14:15]
	s_cbranch_execz .LBB149_32
; %bb.34:                               ;   in Loop: Header=BB149_33 Depth=1
	s_mov_b32 s7, 0
                                        ; implicit-def: $sgpr8
                                        ; implicit-def: $sgpr9
	s_branch .LBB149_36
.LBB149_35:                             ;   in Loop: Header=BB149_36 Depth=2
	s_or_b32 exec_lo, exec_lo, s12
	s_delay_alu instid0(SALU_CYCLE_1) | instskip(NEXT) | instid1(SALU_CYCLE_1)
	s_and_b32 s10, exec_lo, s11
	s_or_b32 s7, s10, s7
	s_and_not1_b32 s8, s8, exec_lo
	s_and_b32 s10, s9, exec_lo
	s_delay_alu instid0(SALU_CYCLE_1)
	s_or_b32 s8, s8, s10
	s_and_not1_b32 exec_lo, exec_lo, s7
	s_cbranch_execz .LBB149_42
.LBB149_36:                             ;   Parent Loop BB149_33 Depth=1
                                        ; =>  This Inner Loop Header: Depth=2
	v_mov_b64_e32 v[16:17], v[12:13]
	s_mov_b32 s10, 0
	s_mov_b32 s11, exec_lo
                                        ; implicit-def: $vgpr12_vgpr13
	v_cmpx_ne_u64_e64 s[30:31], v[18:19]
	s_xor_b32 s11, exec_lo, s11
; %bb.37:                               ;   in Loop: Header=BB149_36 Depth=2
	s_delay_alu instid0(VALU_DEP_2) | instskip(SKIP_1) | instid1(VALU_DEP_1)
	v_add_nc_u32_e32 v1, 1, v16
	s_mov_b32 s10, exec_lo
	v_and_b32_e32 v12, 0x7ff, v1
                                        ; implicit-def: $vgpr1
; %bb.38:                               ;   in Loop: Header=BB149_36 Depth=2
	s_and_not1_saveexec_b32 s11, s11
	s_cbranch_execz .LBB149_40
; %bb.39:                               ;   in Loop: Header=BB149_36 Depth=2
	v_mov_b64_e32 v[12:13], s[30:31]
	s_and_not1_b32 s10, s10, exec_lo
	ds_cmpstore_rtn_b64 v[12:13], v1, v[14:15], v[12:13]
	s_wait_dscnt 0x0
	v_cmp_ne_u64_e32 vcc_lo, s[30:31], v[12:13]
	v_mov_b64_e32 v[12:13], v[16:17]
	s_and_b32 s12, vcc_lo, exec_lo
	s_delay_alu instid0(SALU_CYCLE_1)
	s_or_b32 s10, s10, s12
.LBB149_40:                             ;   in Loop: Header=BB149_36 Depth=2
	s_or_b32 exec_lo, exec_lo, s11
	s_mov_b32 s11, -1
	s_or_b32 s9, s9, exec_lo
                                        ; implicit-def: $vgpr1
                                        ; implicit-def: $vgpr18_vgpr19
	s_and_saveexec_b32 s12, s10
	s_cbranch_execz .LBB149_35
; %bb.41:                               ;   in Loop: Header=BB149_36 Depth=2
	v_lshl_add_u32 v1, v12, 3, 0
	s_and_not1_b32 s9, s9, exec_lo
	ds_load_b64 v[18:19], v1
	s_wait_dscnt 0x0
	v_cmp_eq_u64_e32 vcc_lo, v[18:19], v[14:15]
	s_or_not1_b32 s11, vcc_lo, exec_lo
	s_branch .LBB149_35
.LBB149_42:                             ;   in Loop: Header=BB149_33 Depth=1
	s_or_b32 exec_lo, exec_lo, s7
	s_and_saveexec_b32 s7, s8
	s_delay_alu instid0(SALU_CYCLE_1)
	s_xor_b32 s7, exec_lo, s7
	s_cbranch_execz .LBB149_31
; %bb.43:                               ;   in Loop: Header=BB149_33 Depth=1
	v_mov_b32_e32 v12, v16
	s_branch .LBB149_31
.LBB149_44:
	s_or_b32 exec_lo, exec_lo, s4
.LBB149_45:
	v_dual_lshrrev_b32 v1, 3, v0 :: v_dual_bitop2_b32 v2, 31, v37 bitop3:0x14
	v_mov_b64_e32 v[6:7], 0
	v_cmp_lt_u32_e64 s0, 63, v0
	v_cmp_lt_u32_e64 s1, 0x7f, v0
	s_delay_alu instid0(VALU_DEP_4)
	v_and_b32_e32 v1, 0x78, v1
	v_mov_b32_e32 v3, 0
	v_cmp_lt_u32_e64 s2, 0xbf, v0
	v_lshrrev_b32_e64 v4, v2, -1
	v_cmp_lt_u32_e64 s3, 0xff, v0
	v_add_nc_u32_e32 v1, 0, v1
	v_cmp_lt_u32_e64 s4, 0x13f, v0
	v_cmp_lt_u32_e64 s5, 0x17f, v0
	;; [unrolled: 1-line block ×11, first 2 shown]
	s_mov_b32 s16, 0
	s_wait_dscnt 0x0
	v_cmp_eq_u32_e32 vcc_lo, 0x3ff, v0
	s_barrier_signal -1
	s_barrier_wait -1
	s_branch .LBB149_47
.LBB149_46:                             ;   in Loop: Header=BB149_47 Depth=1
	s_or_b32 exec_lo, exec_lo, s15
	s_wait_dscnt 0x0
	s_barrier_signal -1
	s_barrier_wait -1
	ds_load_b64 v[8:9], v3 offset:49272
	v_add_co_u32 v34, s15, 0x400, v34
	s_xor_b32 s15, s15, -1
	v_add_nc_u32_e32 v36, 0x4000, v36
	v_add_nc_u32_e32 v35, 0x2000, v35
	s_and_b32 s15, exec_lo, s15
	s_delay_alu instid0(SALU_CYCLE_1)
	s_or_b32 s16, s15, s16
	s_wait_dscnt 0x0
	v_add_nc_u64_e32 v[6:7], v[8:9], v[6:7]
	s_and_not1_b32 exec_lo, exec_lo, s16
	s_cbranch_execz .LBB149_81
.LBB149_47:                             ; =>This Inner Loop Header: Depth=1
	ds_load_b64 v[8:9], v35
	ds_load_2addr_b64 v[10:13], v36 offset1:1
	s_wait_dscnt 0x1
	v_cmp_gt_i64_e64 s15, s[30:31], v[8:9]
	s_wait_dscnt 0x0
	scratch_store_b128 off, v[10:13], off
	s_wait_storecnt 0x0
	s_barrier_signal -1
	s_barrier_wait -1
	s_bcnt1_i32_b32 s17, s15
	s_delay_alu instid0(SALU_CYCLE_1) | instskip(SKIP_1) | instid1(VALU_DEP_1)
	v_dual_mov_b32 v2, s17 :: v_dual_bitop2_b32 v5, s15, v4 bitop3:0x40
	s_wait_xcnt 0x0
	v_bcnt_u32_b32 v10, v5, 0
	ds_store_b64 v1, v[2:3] offset:49152
	s_wait_dscnt 0x0
	s_barrier_signal -1
	s_barrier_wait -1
	s_and_saveexec_b32 s17, s0
	s_cbranch_execnz .LBB149_64
; %bb.48:                               ;   in Loop: Header=BB149_47 Depth=1
	s_or_b32 exec_lo, exec_lo, s17
	s_and_saveexec_b32 s17, s1
	s_cbranch_execnz .LBB149_65
.LBB149_49:                             ;   in Loop: Header=BB149_47 Depth=1
	s_or_b32 exec_lo, exec_lo, s17
	s_and_saveexec_b32 s17, s2
	s_cbranch_execnz .LBB149_66
.LBB149_50:                             ;   in Loop: Header=BB149_47 Depth=1
	s_or_b32 exec_lo, exec_lo, s17
	s_and_saveexec_b32 s17, s3
	s_cbranch_execnz .LBB149_67
.LBB149_51:                             ;   in Loop: Header=BB149_47 Depth=1
	s_or_b32 exec_lo, exec_lo, s17
	s_and_saveexec_b32 s17, s4
	s_cbranch_execnz .LBB149_68
.LBB149_52:                             ;   in Loop: Header=BB149_47 Depth=1
	s_or_b32 exec_lo, exec_lo, s17
	s_and_saveexec_b32 s17, s5
	s_cbranch_execnz .LBB149_69
.LBB149_53:                             ;   in Loop: Header=BB149_47 Depth=1
	s_or_b32 exec_lo, exec_lo, s17
	s_and_saveexec_b32 s17, s6
	s_cbranch_execnz .LBB149_70
.LBB149_54:                             ;   in Loop: Header=BB149_47 Depth=1
	s_or_b32 exec_lo, exec_lo, s17
	s_and_saveexec_b32 s17, s7
	s_cbranch_execnz .LBB149_71
.LBB149_55:                             ;   in Loop: Header=BB149_47 Depth=1
	s_or_b32 exec_lo, exec_lo, s17
	s_and_saveexec_b32 s17, s8
	s_cbranch_execnz .LBB149_72
.LBB149_56:                             ;   in Loop: Header=BB149_47 Depth=1
	s_or_b32 exec_lo, exec_lo, s17
	s_and_saveexec_b32 s17, s9
	s_cbranch_execnz .LBB149_73
.LBB149_57:                             ;   in Loop: Header=BB149_47 Depth=1
	s_or_b32 exec_lo, exec_lo, s17
	s_and_saveexec_b32 s17, s10
	s_cbranch_execnz .LBB149_74
.LBB149_58:                             ;   in Loop: Header=BB149_47 Depth=1
	s_or_b32 exec_lo, exec_lo, s17
	s_and_saveexec_b32 s17, s11
	s_cbranch_execnz .LBB149_75
.LBB149_59:                             ;   in Loop: Header=BB149_47 Depth=1
	s_or_b32 exec_lo, exec_lo, s17
	s_and_saveexec_b32 s17, s12
	s_cbranch_execnz .LBB149_76
.LBB149_60:                             ;   in Loop: Header=BB149_47 Depth=1
	s_or_b32 exec_lo, exec_lo, s17
	s_and_saveexec_b32 s17, s13
	s_cbranch_execnz .LBB149_77
.LBB149_61:                             ;   in Loop: Header=BB149_47 Depth=1
	s_or_b32 exec_lo, exec_lo, s17
	s_and_saveexec_b32 s17, s14
	s_cbranch_execnz .LBB149_78
.LBB149_62:                             ;   in Loop: Header=BB149_47 Depth=1
	s_or_b32 exec_lo, exec_lo, s17
	v_ashrrev_i32_e32 v11, 31, v10
	s_and_saveexec_b32 s17, s15
	s_cbranch_execnz .LBB149_79
.LBB149_63:                             ;   in Loop: Header=BB149_47 Depth=1
	s_or_b32 exec_lo, exec_lo, s17
	s_and_saveexec_b32 s15, vcc_lo
	s_cbranch_execz .LBB149_46
	s_branch .LBB149_80
.LBB149_64:                             ;   in Loop: Header=BB149_47 Depth=1
	ds_load_b32 v2, v3 offset:49152
	s_wait_dscnt 0x0
	v_add_nc_u32_e32 v10, v2, v10
	s_or_b32 exec_lo, exec_lo, s17
	s_and_saveexec_b32 s17, s1
	s_cbranch_execz .LBB149_49
.LBB149_65:                             ;   in Loop: Header=BB149_47 Depth=1
	ds_load_b32 v2, v3 offset:49160
	s_wait_dscnt 0x0
	v_add_nc_u32_e32 v10, v10, v2
	s_or_b32 exec_lo, exec_lo, s17
	s_and_saveexec_b32 s17, s2
	s_cbranch_execz .LBB149_50
.LBB149_66:                             ;   in Loop: Header=BB149_47 Depth=1
	ds_load_b32 v2, v3 offset:49168
	s_wait_dscnt 0x0
	v_add_nc_u32_e32 v10, v10, v2
	s_or_b32 exec_lo, exec_lo, s17
	s_and_saveexec_b32 s17, s3
	s_cbranch_execz .LBB149_51
.LBB149_67:                             ;   in Loop: Header=BB149_47 Depth=1
	ds_load_b32 v2, v3 offset:49176
	s_wait_dscnt 0x0
	v_add_nc_u32_e32 v10, v10, v2
	s_or_b32 exec_lo, exec_lo, s17
	s_and_saveexec_b32 s17, s4
	s_cbranch_execz .LBB149_52
.LBB149_68:                             ;   in Loop: Header=BB149_47 Depth=1
	ds_load_b32 v2, v3 offset:49184
	s_wait_dscnt 0x0
	v_add_nc_u32_e32 v10, v10, v2
	s_or_b32 exec_lo, exec_lo, s17
	s_and_saveexec_b32 s17, s5
	s_cbranch_execz .LBB149_53
.LBB149_69:                             ;   in Loop: Header=BB149_47 Depth=1
	ds_load_b32 v2, v3 offset:49192
	s_wait_dscnt 0x0
	v_add_nc_u32_e32 v10, v10, v2
	s_or_b32 exec_lo, exec_lo, s17
	s_and_saveexec_b32 s17, s6
	s_cbranch_execz .LBB149_54
.LBB149_70:                             ;   in Loop: Header=BB149_47 Depth=1
	ds_load_b32 v2, v3 offset:49200
	s_wait_dscnt 0x0
	v_add_nc_u32_e32 v10, v10, v2
	s_or_b32 exec_lo, exec_lo, s17
	s_and_saveexec_b32 s17, s7
	s_cbranch_execz .LBB149_55
.LBB149_71:                             ;   in Loop: Header=BB149_47 Depth=1
	ds_load_b32 v2, v3 offset:49208
	s_wait_dscnt 0x0
	v_add_nc_u32_e32 v10, v10, v2
	s_or_b32 exec_lo, exec_lo, s17
	s_and_saveexec_b32 s17, s8
	s_cbranch_execz .LBB149_56
.LBB149_72:                             ;   in Loop: Header=BB149_47 Depth=1
	ds_load_b32 v2, v3 offset:49216
	s_wait_dscnt 0x0
	v_add_nc_u32_e32 v10, v10, v2
	s_or_b32 exec_lo, exec_lo, s17
	s_and_saveexec_b32 s17, s9
	s_cbranch_execz .LBB149_57
.LBB149_73:                             ;   in Loop: Header=BB149_47 Depth=1
	ds_load_b32 v2, v3 offset:49224
	s_wait_dscnt 0x0
	v_add_nc_u32_e32 v10, v10, v2
	s_or_b32 exec_lo, exec_lo, s17
	s_and_saveexec_b32 s17, s10
	s_cbranch_execz .LBB149_58
.LBB149_74:                             ;   in Loop: Header=BB149_47 Depth=1
	ds_load_b32 v2, v3 offset:49232
	s_wait_dscnt 0x0
	v_add_nc_u32_e32 v10, v10, v2
	s_or_b32 exec_lo, exec_lo, s17
	s_and_saveexec_b32 s17, s11
	s_cbranch_execz .LBB149_59
.LBB149_75:                             ;   in Loop: Header=BB149_47 Depth=1
	ds_load_b32 v2, v3 offset:49240
	s_wait_dscnt 0x0
	v_add_nc_u32_e32 v10, v10, v2
	s_or_b32 exec_lo, exec_lo, s17
	s_and_saveexec_b32 s17, s12
	s_cbranch_execz .LBB149_60
.LBB149_76:                             ;   in Loop: Header=BB149_47 Depth=1
	ds_load_b32 v2, v3 offset:49248
	s_wait_dscnt 0x0
	v_add_nc_u32_e32 v10, v10, v2
	s_or_b32 exec_lo, exec_lo, s17
	s_and_saveexec_b32 s17, s13
	s_cbranch_execz .LBB149_61
.LBB149_77:                             ;   in Loop: Header=BB149_47 Depth=1
	ds_load_b32 v2, v3 offset:49256
	s_wait_dscnt 0x0
	v_add_nc_u32_e32 v10, v10, v2
	s_or_b32 exec_lo, exec_lo, s17
	s_and_saveexec_b32 s17, s14
	s_cbranch_execz .LBB149_62
.LBB149_78:                             ;   in Loop: Header=BB149_47 Depth=1
	ds_load_b32 v2, v3 offset:49264
	s_wait_dscnt 0x0
	v_add_nc_u32_e32 v10, v10, v2
	s_or_b32 exec_lo, exec_lo, s17
	s_delay_alu instid0(VALU_DEP_1)
	v_ashrrev_i32_e32 v11, 31, v10
	s_and_saveexec_b32 s17, s15
	s_cbranch_execz .LBB149_63
.LBB149_79:                             ;   in Loop: Header=BB149_47 Depth=1
	scratch_load_b128 v[12:15], off, off
	v_add3_u32 v2, v6, -1, v10
	v_add_lshl_u32 v5, v6, v10, 4
	s_delay_alu instid0(VALU_DEP_2) | instskip(NEXT) | instid1(VALU_DEP_2)
	v_lshl_add_u32 v2, v2, 3, 0
	v_add3_u32 v5, 0, v5, 0x3ff0
	ds_store_b64 v2, v[8:9]
	s_wait_loadcnt 0x0
	ds_store_2addr_b64 v5, v[12:13], v[14:15] offset1:1
	s_or_b32 exec_lo, exec_lo, s17
	s_and_saveexec_b32 s15, vcc_lo
	s_cbranch_execz .LBB149_46
.LBB149_80:                             ;   in Loop: Header=BB149_47 Depth=1
	ds_store_b64 v3, v[10:11] offset:49272
	s_branch .LBB149_46
.LBB149_81:
	s_or_b32 exec_lo, exec_lo, s16
	s_wait_kmcnt 0x0
	s_lshl_b64 s[0:1], s[34:35], 3
	v_mov_b32_e32 v1, 0
	s_add_nc_u64 s[4:5], s[18:19], s[0:1]
	s_mov_b32 s6, exec_lo
	s_load_b128 s[0:3], s[4:5], 0x0
	s_wait_kmcnt 0x0
	s_sub_nc_u64 s[4:5], s[2:3], s[0:1]
	s_delay_alu instid0(SALU_CYCLE_1)
	v_cmpx_gt_i64_e64 s[4:5], v[0:1]
	s_cbranch_execz .LBB149_91
; %bb.82:
	s_sub_nc_u64 s[8:9], s[0:1], s[2:3]
	s_and_b64 s[6:7], s[4:5], 7
	v_cmp_lt_u64_e64 s10, s[8:9], -7
	s_and_b64 s[2:3], s[4:5], -8
	s_mov_b32 s23, 0
	s_cmp_lg_u64 s[6:7], 0
	s_sub_nc_u64 s[0:1], s[0:1], s[22:23]
	s_cselect_b32 s11, -1, 0
	s_mov_b32 s12, 0
	s_branch .LBB149_84
.LBB149_83:                             ;   in Loop: Header=BB149_84 Depth=1
	s_wait_dscnt 0x0
	v_lshlrev_b32_e32 v2, 3, v0
	v_add_nc_u64_e32 v[0:1], 0x400, v[0:1]
	s_delay_alu instid0(VALU_DEP_2) | instskip(NEXT) | instid1(VALU_DEP_2)
	v_add3_u32 v2, v6, v2, 0x4000
	v_cmp_le_i64_e32 vcc_lo, s[4:5], v[0:1]
	ds_load_2addr_b64 v[6:9], v2 offset1:1
	v_lshl_add_u64 v[2:3], v[4:5], 4, s[28:29]
	s_or_b32 s12, vcc_lo, s12
	s_wait_dscnt 0x0
	global_store_b128 v[2:3], v[6:9], off
	s_wait_xcnt 0x0
	s_and_not1_b32 exec_lo, exec_lo, s12
	s_cbranch_execz .LBB149_91
.LBB149_84:                             ; =>This Loop Header: Depth=1
                                        ;     Child Loop BB149_86 Depth 2
                                        ;     Child Loop BB149_90 Depth 2
	v_lshl_add_u32 v6, v0, 3, 0
	v_mov_b64_e32 v[4:5], s[0:1]
	s_and_not1_b32 vcc_lo, exec_lo, s10
	s_mov_b64 s[8:9], 0
	ds_load_b64 v[2:3], v6
	s_cbranch_vccnz .LBB149_88
; %bb.85:                               ;   in Loop: Header=BB149_84 Depth=1
	v_mov_b64_e32 v[4:5], s[0:1]
	s_mov_b32 s13, 0
.LBB149_86:                             ;   Parent Loop BB149_84 Depth=1
                                        ; =>  This Inner Loop Header: Depth=2
	s_delay_alu instid0(SALU_CYCLE_1)
	v_dual_mov_b32 v7, s13 :: v_dual_mov_b32 v17, s23
	s_add_nc_u64 s[8:9], s[8:9], 8
	s_add_co_i32 s13, s13, 64
	s_cmp_eq_u64 s[2:3], s[8:9]
	ds_load_2addr_b64 v[8:11], v7 offset1:1
	ds_load_2addr_b64 v[12:15], v7 offset0:2 offset1:3
	s_wait_dscnt 0x1
	v_cmp_gt_i64_e32 vcc_lo, v[2:3], v[8:9]
	v_cndmask_b32_e64 v16, 0, 1, vcc_lo
	v_cmp_gt_i64_e32 vcc_lo, v[2:3], v[10:11]
	ds_load_2addr_b64 v[8:11], v7 offset0:4 offset1:5
	v_add_nc_u64_e32 v[4:5], v[4:5], v[16:17]
	v_cndmask_b32_e64 v18, 0, 1, vcc_lo
	s_wait_dscnt 0x1
	v_cmp_gt_i64_e32 vcc_lo, v[2:3], v[12:13]
	v_cndmask_b32_e64 v16, 0, 1, vcc_lo
	v_cmp_gt_i64_e32 vcc_lo, v[2:3], v[14:15]
	ds_load_2addr_b64 v[12:15], v7 offset0:6 offset1:7
	v_mov_b32_e32 v19, s23
	s_delay_alu instid0(VALU_DEP_1) | instskip(SKIP_4) | instid1(VALU_DEP_4)
	v_add_nc_u64_e32 v[4:5], v[4:5], v[18:19]
	v_cndmask_b32_e64 v18, 0, 1, vcc_lo
	s_wait_dscnt 0x1
	v_cmp_gt_i64_e32 vcc_lo, v[2:3], v[8:9]
	v_mov_b32_e32 v9, s23
	v_add_nc_u64_e32 v[4:5], v[4:5], v[16:17]
	v_cndmask_b32_e64 v16, 0, 1, vcc_lo
	v_cmp_gt_i64_e32 vcc_lo, v[2:3], v[10:11]
	v_mov_b32_e32 v11, s23
	s_delay_alu instid0(VALU_DEP_4) | instskip(SKIP_3) | instid1(VALU_DEP_3)
	v_add_nc_u64_e32 v[4:5], v[4:5], v[18:19]
	v_cndmask_b32_e64 v8, 0, 1, vcc_lo
	s_wait_dscnt 0x0
	v_cmp_gt_i64_e32 vcc_lo, v[2:3], v[12:13]
	v_add_nc_u64_e32 v[4:5], v[4:5], v[16:17]
	v_cndmask_b32_e64 v10, 0, 1, vcc_lo
	v_cmp_gt_i64_e32 vcc_lo, v[2:3], v[14:15]
	s_delay_alu instid0(VALU_DEP_3) | instskip(SKIP_1) | instid1(VALU_DEP_2)
	v_add_nc_u64_e32 v[4:5], v[4:5], v[8:9]
	v_cndmask_b32_e64 v8, 0, 1, vcc_lo
	v_add_nc_u64_e32 v[4:5], v[4:5], v[10:11]
	s_delay_alu instid0(VALU_DEP_1)
	v_add_nc_u64_e32 v[4:5], v[4:5], v[8:9]
	s_cbranch_scc0 .LBB149_86
; %bb.87:                               ;   in Loop: Header=BB149_84 Depth=1
	s_mov_b64 s[8:9], s[2:3]
.LBB149_88:                             ;   in Loop: Header=BB149_84 Depth=1
	s_and_not1_b32 vcc_lo, exec_lo, s11
	s_cbranch_vccnz .LBB149_83
; %bb.89:                               ;   in Loop: Header=BB149_84 Depth=1
	s_lshl_b32 s8, s8, 3
	s_delay_alu instid0(SALU_CYCLE_1)
	s_add_co_i32 s13, s8, 0
	s_mov_b64 s[8:9], s[6:7]
.LBB149_90:                             ;   Parent Loop BB149_84 Depth=1
                                        ; =>  This Inner Loop Header: Depth=2
	v_dual_mov_b32 v7, s13 :: v_dual_mov_b32 v11, s23
	s_add_nc_u64 s[8:9], s[8:9], -1
	s_add_co_i32 s13, s13, 8
	s_cmp_lg_u64 s[8:9], 0
	ds_load_b64 v[8:9], v7
	s_wait_dscnt 0x0
	v_cmp_gt_i64_e32 vcc_lo, v[2:3], v[8:9]
	v_cndmask_b32_e64 v10, 0, 1, vcc_lo
	s_delay_alu instid0(VALU_DEP_1)
	v_add_nc_u64_e32 v[4:5], v[4:5], v[10:11]
	s_cbranch_scc1 .LBB149_90
	s_branch .LBB149_83
.LBB149_91:
	s_endpgm
	.section	.rodata,"a",@progbits
	.p2align	6, 0x0
	.amdhsa_kernel _ZN9rocsparseL41csrgemm_numeric_fill_block_per_row_kernelILj1024ELj32ELj2048ELj137ELj64Ell21rocsparse_complex_numIdEEEvT5_PKS3_S5_NS_24const_host_device_scalarIT6_EEPKT4_S5_PKS7_SB_S5_SD_S8_SB_S5_SD_SB_S5_PS7_21rocsparse_index_base_SF_SF_SF_bbb
		.amdhsa_group_segment_fixed_size 0
		.amdhsa_private_segment_fixed_size 40
		.amdhsa_kernarg_size 172
		.amdhsa_user_sgpr_count 2
		.amdhsa_user_sgpr_dispatch_ptr 0
		.amdhsa_user_sgpr_queue_ptr 0
		.amdhsa_user_sgpr_kernarg_segment_ptr 1
		.amdhsa_user_sgpr_dispatch_id 0
		.amdhsa_user_sgpr_kernarg_preload_length 0
		.amdhsa_user_sgpr_kernarg_preload_offset 0
		.amdhsa_user_sgpr_private_segment_size 0
		.amdhsa_wavefront_size32 1
		.amdhsa_uses_dynamic_stack 0
		.amdhsa_enable_private_segment 1
		.amdhsa_system_sgpr_workgroup_id_x 1
		.amdhsa_system_sgpr_workgroup_id_y 0
		.amdhsa_system_sgpr_workgroup_id_z 0
		.amdhsa_system_sgpr_workgroup_info 0
		.amdhsa_system_vgpr_workitem_id 0
		.amdhsa_next_free_vgpr 38
		.amdhsa_next_free_sgpr 45
		.amdhsa_named_barrier_count 0
		.amdhsa_reserve_vcc 1
		.amdhsa_float_round_mode_32 0
		.amdhsa_float_round_mode_16_64 0
		.amdhsa_float_denorm_mode_32 3
		.amdhsa_float_denorm_mode_16_64 3
		.amdhsa_fp16_overflow 0
		.amdhsa_memory_ordered 1
		.amdhsa_forward_progress 1
		.amdhsa_inst_pref_size 29
		.amdhsa_round_robin_scheduling 0
		.amdhsa_exception_fp_ieee_invalid_op 0
		.amdhsa_exception_fp_denorm_src 0
		.amdhsa_exception_fp_ieee_div_zero 0
		.amdhsa_exception_fp_ieee_overflow 0
		.amdhsa_exception_fp_ieee_underflow 0
		.amdhsa_exception_fp_ieee_inexact 0
		.amdhsa_exception_int_div_zero 0
	.end_amdhsa_kernel
	.section	.text._ZN9rocsparseL41csrgemm_numeric_fill_block_per_row_kernelILj1024ELj32ELj2048ELj137ELj64Ell21rocsparse_complex_numIdEEEvT5_PKS3_S5_NS_24const_host_device_scalarIT6_EEPKT4_S5_PKS7_SB_S5_SD_S8_SB_S5_SD_SB_S5_PS7_21rocsparse_index_base_SF_SF_SF_bbb,"axG",@progbits,_ZN9rocsparseL41csrgemm_numeric_fill_block_per_row_kernelILj1024ELj32ELj2048ELj137ELj64Ell21rocsparse_complex_numIdEEEvT5_PKS3_S5_NS_24const_host_device_scalarIT6_EEPKT4_S5_PKS7_SB_S5_SD_S8_SB_S5_SD_SB_S5_PS7_21rocsparse_index_base_SF_SF_SF_bbb,comdat
.Lfunc_end149:
	.size	_ZN9rocsparseL41csrgemm_numeric_fill_block_per_row_kernelILj1024ELj32ELj2048ELj137ELj64Ell21rocsparse_complex_numIdEEEvT5_PKS3_S5_NS_24const_host_device_scalarIT6_EEPKT4_S5_PKS7_SB_S5_SD_S8_SB_S5_SD_SB_S5_PS7_21rocsparse_index_base_SF_SF_SF_bbb, .Lfunc_end149-_ZN9rocsparseL41csrgemm_numeric_fill_block_per_row_kernelILj1024ELj32ELj2048ELj137ELj64Ell21rocsparse_complex_numIdEEEvT5_PKS3_S5_NS_24const_host_device_scalarIT6_EEPKT4_S5_PKS7_SB_S5_SD_S8_SB_S5_SD_SB_S5_PS7_21rocsparse_index_base_SF_SF_SF_bbb
                                        ; -- End function
	.set _ZN9rocsparseL41csrgemm_numeric_fill_block_per_row_kernelILj1024ELj32ELj2048ELj137ELj64Ell21rocsparse_complex_numIdEEEvT5_PKS3_S5_NS_24const_host_device_scalarIT6_EEPKT4_S5_PKS7_SB_S5_SD_S8_SB_S5_SD_SB_S5_PS7_21rocsparse_index_base_SF_SF_SF_bbb.num_vgpr, 38
	.set _ZN9rocsparseL41csrgemm_numeric_fill_block_per_row_kernelILj1024ELj32ELj2048ELj137ELj64Ell21rocsparse_complex_numIdEEEvT5_PKS3_S5_NS_24const_host_device_scalarIT6_EEPKT4_S5_PKS7_SB_S5_SD_S8_SB_S5_SD_SB_S5_PS7_21rocsparse_index_base_SF_SF_SF_bbb.num_agpr, 0
	.set _ZN9rocsparseL41csrgemm_numeric_fill_block_per_row_kernelILj1024ELj32ELj2048ELj137ELj64Ell21rocsparse_complex_numIdEEEvT5_PKS3_S5_NS_24const_host_device_scalarIT6_EEPKT4_S5_PKS7_SB_S5_SD_S8_SB_S5_SD_SB_S5_PS7_21rocsparse_index_base_SF_SF_SF_bbb.numbered_sgpr, 45
	.set _ZN9rocsparseL41csrgemm_numeric_fill_block_per_row_kernelILj1024ELj32ELj2048ELj137ELj64Ell21rocsparse_complex_numIdEEEvT5_PKS3_S5_NS_24const_host_device_scalarIT6_EEPKT4_S5_PKS7_SB_S5_SD_S8_SB_S5_SD_SB_S5_PS7_21rocsparse_index_base_SF_SF_SF_bbb.num_named_barrier, 0
	.set _ZN9rocsparseL41csrgemm_numeric_fill_block_per_row_kernelILj1024ELj32ELj2048ELj137ELj64Ell21rocsparse_complex_numIdEEEvT5_PKS3_S5_NS_24const_host_device_scalarIT6_EEPKT4_S5_PKS7_SB_S5_SD_S8_SB_S5_SD_SB_S5_PS7_21rocsparse_index_base_SF_SF_SF_bbb.private_seg_size, 40
	.set _ZN9rocsparseL41csrgemm_numeric_fill_block_per_row_kernelILj1024ELj32ELj2048ELj137ELj64Ell21rocsparse_complex_numIdEEEvT5_PKS3_S5_NS_24const_host_device_scalarIT6_EEPKT4_S5_PKS7_SB_S5_SD_S8_SB_S5_SD_SB_S5_PS7_21rocsparse_index_base_SF_SF_SF_bbb.uses_vcc, 1
	.set _ZN9rocsparseL41csrgemm_numeric_fill_block_per_row_kernelILj1024ELj32ELj2048ELj137ELj64Ell21rocsparse_complex_numIdEEEvT5_PKS3_S5_NS_24const_host_device_scalarIT6_EEPKT4_S5_PKS7_SB_S5_SD_S8_SB_S5_SD_SB_S5_PS7_21rocsparse_index_base_SF_SF_SF_bbb.uses_flat_scratch, 1
	.set _ZN9rocsparseL41csrgemm_numeric_fill_block_per_row_kernelILj1024ELj32ELj2048ELj137ELj64Ell21rocsparse_complex_numIdEEEvT5_PKS3_S5_NS_24const_host_device_scalarIT6_EEPKT4_S5_PKS7_SB_S5_SD_S8_SB_S5_SD_SB_S5_PS7_21rocsparse_index_base_SF_SF_SF_bbb.has_dyn_sized_stack, 0
	.set _ZN9rocsparseL41csrgemm_numeric_fill_block_per_row_kernelILj1024ELj32ELj2048ELj137ELj64Ell21rocsparse_complex_numIdEEEvT5_PKS3_S5_NS_24const_host_device_scalarIT6_EEPKT4_S5_PKS7_SB_S5_SD_S8_SB_S5_SD_SB_S5_PS7_21rocsparse_index_base_SF_SF_SF_bbb.has_recursion, 0
	.set _ZN9rocsparseL41csrgemm_numeric_fill_block_per_row_kernelILj1024ELj32ELj2048ELj137ELj64Ell21rocsparse_complex_numIdEEEvT5_PKS3_S5_NS_24const_host_device_scalarIT6_EEPKT4_S5_PKS7_SB_S5_SD_S8_SB_S5_SD_SB_S5_PS7_21rocsparse_index_base_SF_SF_SF_bbb.has_indirect_call, 0
	.section	.AMDGPU.csdata,"",@progbits
; Kernel info:
; codeLenInByte = 3648
; TotalNumSgprs: 47
; NumVgprs: 38
; ScratchSize: 40
; MemoryBound: 0
; FloatMode: 240
; IeeeMode: 1
; LDSByteSize: 0 bytes/workgroup (compile time only)
; SGPRBlocks: 0
; VGPRBlocks: 2
; NumSGPRsForWavesPerEU: 47
; NumVGPRsForWavesPerEU: 38
; NamedBarCnt: 0
; Occupancy: 16
; WaveLimiterHint : 1
; COMPUTE_PGM_RSRC2:SCRATCH_EN: 1
; COMPUTE_PGM_RSRC2:USER_SGPR: 2
; COMPUTE_PGM_RSRC2:TRAP_HANDLER: 0
; COMPUTE_PGM_RSRC2:TGID_X_EN: 1
; COMPUTE_PGM_RSRC2:TGID_Y_EN: 0
; COMPUTE_PGM_RSRC2:TGID_Z_EN: 0
; COMPUTE_PGM_RSRC2:TIDIG_COMP_CNT: 0
	.section	.text._ZN9rocsparseL41csrgemm_numeric_fill_block_per_row_kernelILj1024ELj64ELj4096ELj137ELj32Ell21rocsparse_complex_numIdEEEvT5_PKS3_S5_NS_24const_host_device_scalarIT6_EEPKT4_S5_PKS7_SB_S5_SD_S8_SB_S5_SD_SB_S5_PS7_21rocsparse_index_base_SF_SF_SF_bbb,"axG",@progbits,_ZN9rocsparseL41csrgemm_numeric_fill_block_per_row_kernelILj1024ELj64ELj4096ELj137ELj32Ell21rocsparse_complex_numIdEEEvT5_PKS3_S5_NS_24const_host_device_scalarIT6_EEPKT4_S5_PKS7_SB_S5_SD_S8_SB_S5_SD_SB_S5_PS7_21rocsparse_index_base_SF_SF_SF_bbb,comdat
	.globl	_ZN9rocsparseL41csrgemm_numeric_fill_block_per_row_kernelILj1024ELj64ELj4096ELj137ELj32Ell21rocsparse_complex_numIdEEEvT5_PKS3_S5_NS_24const_host_device_scalarIT6_EEPKT4_S5_PKS7_SB_S5_SD_S8_SB_S5_SD_SB_S5_PS7_21rocsparse_index_base_SF_SF_SF_bbb ; -- Begin function _ZN9rocsparseL41csrgemm_numeric_fill_block_per_row_kernelILj1024ELj64ELj4096ELj137ELj32Ell21rocsparse_complex_numIdEEEvT5_PKS3_S5_NS_24const_host_device_scalarIT6_EEPKT4_S5_PKS7_SB_S5_SD_S8_SB_S5_SD_SB_S5_PS7_21rocsparse_index_base_SF_SF_SF_bbb
	.p2align	8
	.type	_ZN9rocsparseL41csrgemm_numeric_fill_block_per_row_kernelILj1024ELj64ELj4096ELj137ELj32Ell21rocsparse_complex_numIdEEEvT5_PKS3_S5_NS_24const_host_device_scalarIT6_EEPKT4_S5_PKS7_SB_S5_SD_S8_SB_S5_SD_SB_S5_PS7_21rocsparse_index_base_SF_SF_SF_bbb,@function
_ZN9rocsparseL41csrgemm_numeric_fill_block_per_row_kernelILj1024ELj64ELj4096ELj137ELj32Ell21rocsparse_complex_numIdEEEvT5_PKS3_S5_NS_24const_host_device_scalarIT6_EEPKT4_S5_PKS7_SB_S5_SD_S8_SB_S5_SD_SB_S5_PS7_21rocsparse_index_base_SF_SF_SF_bbb: ; @_ZN9rocsparseL41csrgemm_numeric_fill_block_per_row_kernelILj1024ELj64ELj4096ELj137ELj32Ell21rocsparse_complex_numIdEEEvT5_PKS3_S5_NS_24const_host_device_scalarIT6_EEPKT4_S5_PKS7_SB_S5_SD_S8_SB_S5_SD_SB_S5_PS7_21rocsparse_index_base_SF_SF_SF_bbb
; %bb.0:
	s_clause 0x3
	s_load_b32 s3, s[0:1], 0xa8
	s_load_b128 s[8:11], s[0:1], 0x18
	s_load_b128 s[4:7], s[0:1], 0x58
	;; [unrolled: 1-line block ×3, first 2 shown]
	v_mov_b64_e32 v[6:7], 0
	v_mov_b64_e32 v[10:11], 0
	;; [unrolled: 1-line block ×3, first 2 shown]
	v_mbcnt_lo_u32_b32 v37, -1, 0
	s_wait_kmcnt 0x0
	s_bitcmp1_b32 s3, 0
	v_mov_b64_e32 v[2:3], s[8:9]
	s_cselect_b32 s19, -1, 0
	s_bitcmp1_b32 s3, 16
	v_mov_b64_e32 v[4:5], s[4:5]
	s_cselect_b32 s2, -1, 0
	s_clause 0x1
	scratch_store_b64 off, v[2:3], off offset:16
	scratch_store_b64 off, v[4:5], off offset:24
	s_xor_b32 s12, s2, -1
	s_bitcmp0_b32 s3, 0
	v_cndmask_b32_e64 v1, 0, 1, s12
	s_delay_alu instid0(VALU_DEP_1)
	v_cmp_ne_u32_e32 vcc_lo, 1, v1
	s_cbranch_scc1 .LBB150_3
; %bb.1:
	s_wait_xcnt 0x1
	v_dual_mov_b32 v2, 16 :: v_dual_lshlrev_b32 v3, 20, v37
	v_mov_b64_e32 v[12:13], s[10:11]
	s_and_b32 vcc_lo, exec_lo, vcc_lo
	s_delay_alu instid0(VALU_DEP_2) | instskip(NEXT) | instid1(VALU_DEP_1)
	v_add_nc_u64_e32 v[2:3], src_flat_scratch_base_lo, v[2:3]
	v_cndmask_b32_e64 v3, s9, v3, s2
	s_delay_alu instid0(VALU_DEP_2)
	v_cndmask_b32_e64 v2, s8, v2, s2
	flat_load_b64 v[10:11], v[2:3]
	s_cbranch_vccnz .LBB150_3
; %bb.2:
	v_mov_b32_e32 v1, 0
	flat_load_b64 v[12:13], v1, s[8:9] offset:8
.LBB150_3:
	s_load_b64 s[16:17], s[0:1], 0x8
	v_mov_b64_e32 v[8:9], 0
	s_bitcmp1_b32 s3, 8
	s_cselect_b32 s18, -1, 0
	s_bfe_u32 s3, s3, 0x10008
	s_delay_alu instid0(SALU_CYCLE_1)
	s_cmp_eq_u32 s3, 0
	s_cbranch_scc1 .LBB150_6
; %bb.4:
	v_dual_mov_b32 v2, 24 :: v_dual_lshlrev_b32 v3, 20, v37
	v_mov_b64_e32 v[6:7], s[6:7]
	s_and_not1_b32 vcc_lo, exec_lo, s12
	s_delay_alu instid0(VALU_DEP_2) | instskip(NEXT) | instid1(VALU_DEP_1)
	v_add_nc_u64_e32 v[2:3], src_flat_scratch_base_lo, v[2:3]
	v_cndmask_b32_e64 v3, s5, v3, s2
	s_delay_alu instid0(VALU_DEP_2)
	v_cndmask_b32_e64 v2, s4, v2, s2
	flat_load_b64 v[8:9], v[2:3]
	s_cbranch_vccnz .LBB150_6
; %bb.5:
	v_mov_b32_e32 v1, 0
	flat_load_b64 v[6:7], v1, s[4:5] offset:8
.LBB150_6:
	s_clause 0x5
	s_load_b64 s[48:49], s[0:1], 0x0
	s_load_b64 s[2:3], s[0:1], 0x10
	;; [unrolled: 1-line block ×3, first 2 shown]
	s_load_b256 s[36:43], s[0:1], 0x68
	s_load_b128 s[12:15], s[0:1], 0x48
	s_load_b256 s[4:11], s[0:1], 0x28
	v_or_b32_e32 v34, 0xfffffc00, v0
	v_lshlrev_b32_e32 v1, 4, v0
	s_wait_xcnt 0x0
	s_mov_b32 s0, 0
	v_lshl_add_u32 v35, v0, 3, 0
	s_mov_b32 s1, s0
	v_mov_b32_e32 v16, v34
	v_add3_u32 v36, v1, 0, 0x8000
	s_mov_b32 s20, s0
	s_mov_b32 s21, s0
	v_mov_b64_e32 v[2:3], s[0:1]
	v_mov_b64_e32 v[4:5], s[20:21]
	v_dual_mov_b32 v1, v35 :: v_dual_mov_b32 v17, v36
	s_wait_kmcnt 0x0
	v_mov_b64_e32 v[14:15], s[48:49]
.LBB150_7:                              ; =>This Inner Loop Header: Depth=1
	v_add_nc_u32_e32 v16, 0x400, v16
	ds_store_b64 v1, v[14:15]
	ds_store_2addr_b64 v17, v[2:3], v[4:5] offset1:1
	v_add_nc_u32_e32 v17, 0x4000, v17
	v_add_nc_u32_e32 v1, 0x2000, v1
	v_cmp_lt_u32_e32 vcc_lo, 0xbff, v16
	s_or_b32 s0, vcc_lo, s0
	s_delay_alu instid0(SALU_CYCLE_1)
	s_and_not1_b32 exec_lo, exec_lo, s0
	s_cbranch_execnz .LBB150_7
; %bb.8:
	s_or_b32 exec_lo, exec_lo, s0
	s_wait_storecnt 0x0
	s_wait_loadcnt_dscnt 0x0
	s_barrier_signal -1
	s_barrier_wait -1
	s_load_b64 s[0:1], s[16:17], 0x0
	s_wait_xcnt 0x0
	s_bfe_u32 s16, ttmp6, 0x4000c
	s_and_b32 s17, ttmp6, 15
	s_add_co_i32 s16, s16, 1
	s_getreg_b32 s20, hwreg(HW_REG_IB_STS2, 6, 4)
	s_mul_i32 s16, ttmp9, s16
	s_delay_alu instid0(SALU_CYCLE_1)
	s_add_co_i32 s17, s17, s16
	s_wait_kmcnt 0x0
	s_lshl_b64 s[0:1], s[0:1], 3
	s_cmp_eq_u32 s20, 0
	s_add_nc_u64 s[0:1], s[2:3], s[0:1]
	s_cselect_b32 s2, ttmp9, s17
	s_and_b32 vcc_lo, exec_lo, s19
	s_load_b64 s[50:51], s[0:1], s2 offset:0x0 scale_offset
	s_wait_xcnt 0x0
	s_mov_b32 s1, 0
	s_cbranch_vccz .LBB150_28
; %bb.9:
	s_wait_kmcnt 0x0
	s_lshl_b64 s[2:3], s[50:51], 3
	v_dual_mov_b32 v3, 0 :: v_dual_lshrrev_b32 v2, 6, v0
	s_add_nc_u64 s[2:3], s[4:5], s[2:3]
	s_mov_b32 s0, s44
	s_load_b128 s[20:23], s[2:3], 0x0
	s_mov_b32 s16, exec_lo
	v_sub_nc_u64_e64 v[4:5], v[2:3], s[0:1]
	s_wait_kmcnt 0x0
	s_delay_alu instid0(VALU_DEP_1)
	v_add_nc_u64_e32 v[14:15], s[20:21], v[4:5]
	s_sub_nc_u64 s[2:3], s[22:23], s[0:1]
	s_delay_alu instid0(VALU_DEP_1) | instid1(SALU_CYCLE_1)
	v_cmpx_gt_i64_e64 s[2:3], v[14:15]
	s_cbranch_execz .LBB150_27
; %bb.10:
	v_and_b32_e32 v2, 63, v0
	s_mov_b32 s5, 0
	s_mov_b32 s4, s45
	;; [unrolled: 1-line block ×3, first 2 shown]
	s_delay_alu instid0(VALU_DEP_1)
	v_sub_nc_u64_e64 v[16:17], v[2:3], s[4:5]
	s_branch .LBB150_12
.LBB150_11:                             ;   in Loop: Header=BB150_12 Depth=1
	s_or_b32 exec_lo, exec_lo, s19
	v_add_nc_u64_e32 v[14:15], 16, v[14:15]
	s_delay_alu instid0(VALU_DEP_1) | instskip(SKIP_1) | instid1(SALU_CYCLE_1)
	v_cmp_le_i64_e32 vcc_lo, s[2:3], v[14:15]
	s_or_b32 s17, vcc_lo, s17
	s_and_not1_b32 exec_lo, exec_lo, s17
	s_cbranch_execz .LBB150_27
.LBB150_12:                             ; =>This Loop Header: Depth=1
                                        ;     Child Loop BB150_16 Depth 2
                                        ;       Child Loop BB150_19 Depth 3
	v_lshl_add_u64 v[2:3], v[14:15], 3, s[6:7]
	s_mov_b32 s19, exec_lo
	global_load_b64 v[2:3], v[2:3], off
	s_wait_loadcnt 0x0
	s_wait_xcnt 0x0
	v_sub_nc_u64_e64 v[2:3], v[2:3], s[0:1]
	s_delay_alu instid0(VALU_DEP_1)
	v_lshl_add_u64 v[2:3], v[2:3], 3, s[10:11]
	global_load_b128 v[2:5], v[2:3], off
	s_wait_loadcnt 0x0
	v_sub_nc_u64_e64 v[18:19], v[4:5], s[4:5]
	v_add_nc_u64_e32 v[20:21], v[2:3], v[16:17]
	s_wait_xcnt 0x0
	s_delay_alu instid0(VALU_DEP_1)
	v_cmpx_lt_i64_e64 v[20:21], v[18:19]
	s_cbranch_execz .LBB150_11
; %bb.13:                               ;   in Loop: Header=BB150_12 Depth=1
	v_lshl_add_u64 v[2:3], v[14:15], 4, s[8:9]
	s_mov_b32 s20, 0
	global_load_b128 v[2:5], v[2:3], off
	s_wait_loadcnt 0x0
	v_mul_f64_e64 v[22:23], v[4:5], -v[12:13]
	v_mul_f64_e32 v[24:25], v[10:11], v[4:5]
	s_delay_alu instid0(VALU_DEP_2) | instskip(NEXT) | instid1(VALU_DEP_2)
	v_fmac_f64_e32 v[22:23], v[10:11], v[2:3]
	v_fmac_f64_e32 v[24:25], v[12:13], v[2:3]
	s_branch .LBB150_16
.LBB150_14:                             ;   in Loop: Header=BB150_16 Depth=2
	s_or_b32 exec_lo, exec_lo, s22
.LBB150_15:                             ;   in Loop: Header=BB150_16 Depth=2
	s_delay_alu instid0(SALU_CYCLE_1)
	s_or_b32 exec_lo, exec_lo, s21
	s_wait_loadcnt 0x0
	v_mul_f64_e64 v[28:29], v[4:5], -v[24:25]
	v_mul_f64_e32 v[4:5], v[22:23], v[4:5]
	v_lshl_add_u32 v1, v26, 4, 0
	v_add_nc_u64_e32 v[20:21], 64, v[20:21]
	s_delay_alu instid0(VALU_DEP_1)
	v_cmp_ge_i64_e32 vcc_lo, v[20:21], v[18:19]
	s_or_b32 s20, vcc_lo, s20
	v_fmac_f64_e32 v[28:29], v[22:23], v[2:3]
	v_fmac_f64_e32 v[4:5], v[24:25], v[2:3]
	ds_add_f64 v1, v[28:29] offset:32768
	ds_add_f64 v1, v[4:5] offset:32776
	s_and_not1_b32 exec_lo, exec_lo, s20
	s_cbranch_execz .LBB150_11
.LBB150_16:                             ;   Parent Loop BB150_12 Depth=1
                                        ; =>  This Loop Header: Depth=2
                                        ;       Child Loop BB150_19 Depth 3
	s_wait_xcnt 0x0
	v_lshl_add_u64 v[2:3], v[20:21], 3, s[12:13]
	s_mov_b32 s21, exec_lo
	global_load_b64 v[26:27], v[2:3], off
	s_wait_xcnt 0x0
	v_lshl_add_u64 v[2:3], v[20:21], 4, s[14:15]
	global_load_b128 v[2:5], v[2:3], off
	s_wait_loadcnt 0x1
	v_sub_nc_u64_e64 v[28:29], v[26:27], s[4:5]
	s_delay_alu instid0(VALU_DEP_1) | instskip(NEXT) | instid1(VALU_DEP_1)
	v_mul_lo_u32 v1, 0x89, v28
	v_and_b32_e32 v26, 0xfff, v1
	s_delay_alu instid0(VALU_DEP_1)
	v_lshl_add_u32 v1, v26, 3, 0
	ds_load_b64 v[32:33], v1
	s_wait_dscnt 0x0
	s_wait_xcnt 0x0
	v_cmpx_ne_u64_e64 v[32:33], v[28:29]
	s_cbranch_execz .LBB150_15
; %bb.17:                               ;   in Loop: Header=BB150_16 Depth=2
	s_mov_b32 s22, 0
                                        ; implicit-def: $sgpr23
                                        ; implicit-def: $sgpr24
	s_branch .LBB150_19
.LBB150_18:                             ;   in Loop: Header=BB150_19 Depth=3
	s_or_b32 exec_lo, exec_lo, s27
	s_delay_alu instid0(SALU_CYCLE_1) | instskip(NEXT) | instid1(SALU_CYCLE_1)
	s_and_b32 s25, exec_lo, s26
	s_or_b32 s22, s25, s22
	s_and_not1_b32 s23, s23, exec_lo
	s_and_b32 s25, s24, exec_lo
	s_delay_alu instid0(SALU_CYCLE_1)
	s_or_b32 s23, s23, s25
	s_and_not1_b32 exec_lo, exec_lo, s22
	s_cbranch_execz .LBB150_25
.LBB150_19:                             ;   Parent Loop BB150_12 Depth=1
                                        ;     Parent Loop BB150_16 Depth=2
                                        ; =>    This Inner Loop Header: Depth=3
	v_mov_b64_e32 v[30:31], v[26:27]
	s_mov_b32 s25, 0
	s_mov_b32 s26, exec_lo
                                        ; implicit-def: $vgpr26_vgpr27
	v_cmpx_ne_u64_e64 s[48:49], v[32:33]
	s_xor_b32 s26, exec_lo, s26
; %bb.20:                               ;   in Loop: Header=BB150_19 Depth=3
	s_delay_alu instid0(VALU_DEP_2) | instskip(SKIP_1) | instid1(VALU_DEP_1)
	v_add_nc_u32_e32 v1, 1, v30
	s_mov_b32 s25, exec_lo
	v_and_b32_e32 v26, 0xfff, v1
                                        ; implicit-def: $vgpr1
; %bb.21:                               ;   in Loop: Header=BB150_19 Depth=3
	s_and_not1_saveexec_b32 s26, s26
	s_cbranch_execz .LBB150_23
; %bb.22:                               ;   in Loop: Header=BB150_19 Depth=3
	v_mov_b64_e32 v[26:27], s[48:49]
	s_and_not1_b32 s25, s25, exec_lo
	ds_cmpstore_rtn_b64 v[26:27], v1, v[28:29], v[26:27]
	s_wait_dscnt 0x0
	v_cmp_ne_u64_e32 vcc_lo, s[48:49], v[26:27]
	v_mov_b64_e32 v[26:27], v[30:31]
	s_and_b32 s27, vcc_lo, exec_lo
	s_delay_alu instid0(SALU_CYCLE_1)
	s_or_b32 s25, s25, s27
.LBB150_23:                             ;   in Loop: Header=BB150_19 Depth=3
	s_or_b32 exec_lo, exec_lo, s26
	s_mov_b32 s26, -1
	s_or_b32 s24, s24, exec_lo
                                        ; implicit-def: $vgpr1
                                        ; implicit-def: $vgpr32_vgpr33
	s_and_saveexec_b32 s27, s25
	s_cbranch_execz .LBB150_18
; %bb.24:                               ;   in Loop: Header=BB150_19 Depth=3
	v_lshl_add_u32 v1, v26, 3, 0
	s_and_not1_b32 s24, s24, exec_lo
	ds_load_b64 v[32:33], v1
	s_wait_dscnt 0x0
	v_cmp_eq_u64_e32 vcc_lo, v[32:33], v[28:29]
	s_or_not1_b32 s26, vcc_lo, exec_lo
	s_branch .LBB150_18
.LBB150_25:                             ;   in Loop: Header=BB150_16 Depth=2
	s_or_b32 exec_lo, exec_lo, s22
	s_and_saveexec_b32 s22, s23
	s_delay_alu instid0(SALU_CYCLE_1)
	s_xor_b32 s22, exec_lo, s22
	s_cbranch_execz .LBB150_14
; %bb.26:                               ;   in Loop: Header=BB150_16 Depth=2
	v_mov_b32_e32 v26, v30
	s_branch .LBB150_14
.LBB150_27:
	s_or_b32 exec_lo, exec_lo, s16
.LBB150_28:
	s_delay_alu instid0(SALU_CYCLE_1)
	s_and_not1_b32 vcc_lo, exec_lo, s18
	s_cbranch_vccnz .LBB150_45
; %bb.29:
	s_wait_kmcnt 0x0
	s_lshl_b64 s[0:1], s[50:51], 3
	v_mov_b32_e32 v1, 0
	s_add_nc_u64 s[0:1], s[36:37], s[0:1]
	s_load_b128 s[4:7], s[0:1], 0x0
	s_wait_xcnt 0x0
	s_mov_b32 s1, 0
	s_mov_b32 s0, s47
	s_delay_alu instid0(SALU_CYCLE_1) | instskip(SKIP_1) | instid1(VALU_DEP_1)
	v_sub_nc_u64_e64 v[2:3], v[0:1], s[0:1]
	s_wait_kmcnt 0x0
	v_add_nc_u64_e32 v[10:11], s[4:5], v[2:3]
	s_sub_nc_u64 s[2:3], s[6:7], s[0:1]
	s_mov_b32 s4, exec_lo
	s_delay_alu instid0(VALU_DEP_1)
	v_cmpx_gt_i64_e64 s[2:3], v[10:11]
	s_cbranch_execz .LBB150_44
; %bb.30:
	s_mov_b32 s5, s1
	s_branch .LBB150_33
.LBB150_31:                             ;   in Loop: Header=BB150_33 Depth=1
	s_or_b32 exec_lo, exec_lo, s7
.LBB150_32:                             ;   in Loop: Header=BB150_33 Depth=1
	s_delay_alu instid0(SALU_CYCLE_1)
	s_or_b32 exec_lo, exec_lo, s6
	s_wait_loadcnt 0x0
	v_mul_f64_e64 v[14:15], v[4:5], -v[6:7]
	v_mul_f64_e32 v[4:5], v[8:9], v[4:5]
	v_lshl_add_u32 v1, v12, 4, 0
	v_add_nc_u64_e32 v[10:11], 0x400, v[10:11]
	s_delay_alu instid0(VALU_DEP_1)
	v_cmp_le_i64_e32 vcc_lo, s[2:3], v[10:11]
	s_or_b32 s5, vcc_lo, s5
	v_fmac_f64_e32 v[14:15], v[8:9], v[2:3]
	v_fmac_f64_e32 v[4:5], v[6:7], v[2:3]
	ds_add_f64 v1, v[14:15] offset:32768
	ds_add_f64 v1, v[4:5] offset:32776
	s_and_not1_b32 exec_lo, exec_lo, s5
	s_cbranch_execz .LBB150_44
.LBB150_33:                             ; =>This Loop Header: Depth=1
                                        ;     Child Loop BB150_36 Depth 2
	v_lshl_add_u64 v[2:3], v[10:11], 3, s[38:39]
	s_mov_b32 s6, exec_lo
	global_load_b64 v[12:13], v[2:3], off
	s_wait_xcnt 0x0
	v_lshl_add_u64 v[2:3], v[10:11], 4, s[40:41]
	global_load_b128 v[2:5], v[2:3], off
	s_wait_loadcnt 0x1
	v_sub_nc_u64_e64 v[14:15], v[12:13], s[0:1]
	s_delay_alu instid0(VALU_DEP_1) | instskip(NEXT) | instid1(VALU_DEP_1)
	v_mul_lo_u32 v1, 0x89, v14
	v_and_b32_e32 v12, 0xfff, v1
	s_delay_alu instid0(VALU_DEP_1)
	v_lshl_add_u32 v1, v12, 3, 0
	ds_load_b64 v[18:19], v1
	s_wait_dscnt 0x0
	s_wait_xcnt 0x0
	v_cmpx_ne_u64_e64 v[18:19], v[14:15]
	s_cbranch_execz .LBB150_32
; %bb.34:                               ;   in Loop: Header=BB150_33 Depth=1
	s_mov_b32 s7, 0
                                        ; implicit-def: $sgpr8
                                        ; implicit-def: $sgpr9
	s_branch .LBB150_36
.LBB150_35:                             ;   in Loop: Header=BB150_36 Depth=2
	s_or_b32 exec_lo, exec_lo, s12
	s_delay_alu instid0(SALU_CYCLE_1) | instskip(NEXT) | instid1(SALU_CYCLE_1)
	s_and_b32 s10, exec_lo, s11
	s_or_b32 s7, s10, s7
	s_and_not1_b32 s8, s8, exec_lo
	s_and_b32 s10, s9, exec_lo
	s_delay_alu instid0(SALU_CYCLE_1)
	s_or_b32 s8, s8, s10
	s_and_not1_b32 exec_lo, exec_lo, s7
	s_cbranch_execz .LBB150_42
.LBB150_36:                             ;   Parent Loop BB150_33 Depth=1
                                        ; =>  This Inner Loop Header: Depth=2
	v_mov_b64_e32 v[16:17], v[12:13]
	s_mov_b32 s10, 0
	s_mov_b32 s11, exec_lo
                                        ; implicit-def: $vgpr12_vgpr13
	v_cmpx_ne_u64_e64 s[48:49], v[18:19]
	s_xor_b32 s11, exec_lo, s11
; %bb.37:                               ;   in Loop: Header=BB150_36 Depth=2
	s_delay_alu instid0(VALU_DEP_2) | instskip(SKIP_1) | instid1(VALU_DEP_1)
	v_add_nc_u32_e32 v1, 1, v16
	s_mov_b32 s10, exec_lo
	v_and_b32_e32 v12, 0xfff, v1
                                        ; implicit-def: $vgpr1
; %bb.38:                               ;   in Loop: Header=BB150_36 Depth=2
	s_and_not1_saveexec_b32 s11, s11
	s_cbranch_execz .LBB150_40
; %bb.39:                               ;   in Loop: Header=BB150_36 Depth=2
	v_mov_b64_e32 v[12:13], s[48:49]
	s_and_not1_b32 s10, s10, exec_lo
	ds_cmpstore_rtn_b64 v[12:13], v1, v[14:15], v[12:13]
	s_wait_dscnt 0x0
	v_cmp_ne_u64_e32 vcc_lo, s[48:49], v[12:13]
	v_mov_b64_e32 v[12:13], v[16:17]
	s_and_b32 s12, vcc_lo, exec_lo
	s_delay_alu instid0(SALU_CYCLE_1)
	s_or_b32 s10, s10, s12
.LBB150_40:                             ;   in Loop: Header=BB150_36 Depth=2
	s_or_b32 exec_lo, exec_lo, s11
	s_mov_b32 s11, -1
	s_or_b32 s9, s9, exec_lo
                                        ; implicit-def: $vgpr1
                                        ; implicit-def: $vgpr18_vgpr19
	s_and_saveexec_b32 s12, s10
	s_cbranch_execz .LBB150_35
; %bb.41:                               ;   in Loop: Header=BB150_36 Depth=2
	v_lshl_add_u32 v1, v12, 3, 0
	s_and_not1_b32 s9, s9, exec_lo
	ds_load_b64 v[18:19], v1
	s_wait_dscnt 0x0
	v_cmp_eq_u64_e32 vcc_lo, v[18:19], v[14:15]
	s_or_not1_b32 s11, vcc_lo, exec_lo
	s_branch .LBB150_35
.LBB150_42:                             ;   in Loop: Header=BB150_33 Depth=1
	s_or_b32 exec_lo, exec_lo, s7
	s_and_saveexec_b32 s7, s8
	s_delay_alu instid0(SALU_CYCLE_1)
	s_xor_b32 s7, exec_lo, s7
	s_cbranch_execz .LBB150_31
; %bb.43:                               ;   in Loop: Header=BB150_33 Depth=1
	v_mov_b32_e32 v12, v16
	s_branch .LBB150_31
.LBB150_44:
	s_or_b32 exec_lo, exec_lo, s4
.LBB150_45:
	v_dual_lshrrev_b32 v1, 2, v0 :: v_dual_bitop2_b32 v2, 31, v37 bitop3:0x14
	v_mov_b64_e32 v[6:7], 0
	v_mov_b32_e32 v3, 0
	v_cmp_lt_u32_e64 s0, 31, v0
	s_delay_alu instid0(VALU_DEP_4)
	v_and_b32_e32 v1, 0xf8, v1
	v_lshrrev_b32_e64 v4, v2, -1
	v_cmp_lt_u32_e64 s1, 63, v0
	v_cmp_lt_u32_e64 s2, 0x5f, v0
	;; [unrolled: 1-line block ×3, first 2 shown]
	v_add3_u32 v1, 0x18000, 0, v1
	v_cmp_lt_u32_e64 s4, 0x9f, v0
	v_cmp_lt_u32_e64 s5, 0xbf, v0
	;; [unrolled: 1-line block ×27, first 2 shown]
	s_mov_b32 s33, 0
	s_add_co_i32 s36, 0, 0x18000
	s_add_co_i32 s37, 0, 0x18008
	;; [unrolled: 1-line block ×32, first 2 shown]
	s_wait_dscnt 0x0
	s_barrier_signal -1
	s_barrier_wait -1
	v_cmp_eq_u32_e32 vcc_lo, 0x3ff, v0
	s_branch .LBB150_47
.LBB150_46:                             ;   in Loop: Header=BB150_47 Depth=1
	s_or_b32 exec_lo, exec_lo, s31
	v_dual_mov_b32 v2, s74 :: v_dual_add_nc_u32 v35, 0x2000, v35
	s_wait_dscnt 0x0
	s_barrier_signal -1
	s_barrier_wait -1
	ds_load_b64 v[8:9], v2
	v_add_nc_u32_e32 v34, 0x400, v34
	v_add_nc_u32_e32 v36, 0x4000, v36
	s_delay_alu instid0(VALU_DEP_2)
	v_cmp_lt_u32_e64 s31, 0xbff, v34
	s_or_b32 s33, s31, s33
	s_wait_dscnt 0x0
	v_add_nc_u64_e32 v[6:7], v[8:9], v[6:7]
	s_and_not1_b32 exec_lo, exec_lo, s33
	s_cbranch_execz .LBB150_113
.LBB150_47:                             ; =>This Inner Loop Header: Depth=1
	ds_load_b64 v[8:9], v35
	ds_load_2addr_b64 v[10:13], v36 offset1:1
	s_wait_dscnt 0x1
	v_cmp_gt_i64_e64 s31, s[48:49], v[8:9]
	s_wait_dscnt 0x0
	scratch_store_b128 off, v[10:13], off
	s_wait_storecnt 0x0
	s_barrier_signal -1
	s_barrier_wait -1
	s_bcnt1_i32_b32 s75, s31
	s_delay_alu instid0(SALU_CYCLE_1) | instskip(SKIP_1) | instid1(VALU_DEP_1)
	v_dual_mov_b32 v2, s75 :: v_dual_bitop2_b32 v5, s31, v4 bitop3:0x40
	s_wait_xcnt 0x0
	v_bcnt_u32_b32 v10, v5, 0
	ds_store_b64 v1, v[2:3]
	s_wait_dscnt 0x0
	s_barrier_signal -1
	s_barrier_wait -1
	s_and_saveexec_b32 s75, s0
	s_cbranch_execnz .LBB150_80
; %bb.48:                               ;   in Loop: Header=BB150_47 Depth=1
	s_or_b32 exec_lo, exec_lo, s75
	s_and_saveexec_b32 s75, s1
	s_cbranch_execnz .LBB150_81
.LBB150_49:                             ;   in Loop: Header=BB150_47 Depth=1
	s_or_b32 exec_lo, exec_lo, s75
	s_and_saveexec_b32 s75, s2
	s_cbranch_execnz .LBB150_82
.LBB150_50:                             ;   in Loop: Header=BB150_47 Depth=1
	s_or_b32 exec_lo, exec_lo, s75
	s_and_saveexec_b32 s75, s3
	s_cbranch_execnz .LBB150_83
.LBB150_51:                             ;   in Loop: Header=BB150_47 Depth=1
	s_or_b32 exec_lo, exec_lo, s75
	s_and_saveexec_b32 s75, s4
	s_cbranch_execnz .LBB150_84
.LBB150_52:                             ;   in Loop: Header=BB150_47 Depth=1
	s_or_b32 exec_lo, exec_lo, s75
	s_and_saveexec_b32 s75, s5
	s_cbranch_execnz .LBB150_85
.LBB150_53:                             ;   in Loop: Header=BB150_47 Depth=1
	s_or_b32 exec_lo, exec_lo, s75
	s_and_saveexec_b32 s75, s6
	s_cbranch_execnz .LBB150_86
.LBB150_54:                             ;   in Loop: Header=BB150_47 Depth=1
	s_or_b32 exec_lo, exec_lo, s75
	s_and_saveexec_b32 s75, s7
	s_cbranch_execnz .LBB150_87
.LBB150_55:                             ;   in Loop: Header=BB150_47 Depth=1
	s_or_b32 exec_lo, exec_lo, s75
	s_and_saveexec_b32 s75, s8
	s_cbranch_execnz .LBB150_88
.LBB150_56:                             ;   in Loop: Header=BB150_47 Depth=1
	s_or_b32 exec_lo, exec_lo, s75
	s_and_saveexec_b32 s75, s9
	s_cbranch_execnz .LBB150_89
.LBB150_57:                             ;   in Loop: Header=BB150_47 Depth=1
	s_or_b32 exec_lo, exec_lo, s75
	s_and_saveexec_b32 s75, s10
	s_cbranch_execnz .LBB150_90
.LBB150_58:                             ;   in Loop: Header=BB150_47 Depth=1
	s_or_b32 exec_lo, exec_lo, s75
	s_and_saveexec_b32 s75, s11
	s_cbranch_execnz .LBB150_91
.LBB150_59:                             ;   in Loop: Header=BB150_47 Depth=1
	s_or_b32 exec_lo, exec_lo, s75
	s_and_saveexec_b32 s75, s12
	s_cbranch_execnz .LBB150_92
.LBB150_60:                             ;   in Loop: Header=BB150_47 Depth=1
	s_or_b32 exec_lo, exec_lo, s75
	s_and_saveexec_b32 s75, s13
	s_cbranch_execnz .LBB150_93
.LBB150_61:                             ;   in Loop: Header=BB150_47 Depth=1
	s_or_b32 exec_lo, exec_lo, s75
	s_and_saveexec_b32 s75, s14
	s_cbranch_execnz .LBB150_94
.LBB150_62:                             ;   in Loop: Header=BB150_47 Depth=1
	s_or_b32 exec_lo, exec_lo, s75
	s_and_saveexec_b32 s75, s15
	s_cbranch_execnz .LBB150_95
.LBB150_63:                             ;   in Loop: Header=BB150_47 Depth=1
	s_or_b32 exec_lo, exec_lo, s75
	s_and_saveexec_b32 s75, s16
	s_cbranch_execnz .LBB150_96
.LBB150_64:                             ;   in Loop: Header=BB150_47 Depth=1
	s_or_b32 exec_lo, exec_lo, s75
	s_and_saveexec_b32 s75, s17
	s_cbranch_execnz .LBB150_97
.LBB150_65:                             ;   in Loop: Header=BB150_47 Depth=1
	s_or_b32 exec_lo, exec_lo, s75
	s_and_saveexec_b32 s75, s18
	s_cbranch_execnz .LBB150_98
.LBB150_66:                             ;   in Loop: Header=BB150_47 Depth=1
	s_or_b32 exec_lo, exec_lo, s75
	s_and_saveexec_b32 s75, s19
	s_cbranch_execnz .LBB150_99
.LBB150_67:                             ;   in Loop: Header=BB150_47 Depth=1
	s_or_b32 exec_lo, exec_lo, s75
	s_and_saveexec_b32 s75, s20
	s_cbranch_execnz .LBB150_100
.LBB150_68:                             ;   in Loop: Header=BB150_47 Depth=1
	s_or_b32 exec_lo, exec_lo, s75
	s_and_saveexec_b32 s75, s21
	s_cbranch_execnz .LBB150_101
.LBB150_69:                             ;   in Loop: Header=BB150_47 Depth=1
	s_or_b32 exec_lo, exec_lo, s75
	s_and_saveexec_b32 s75, s22
	s_cbranch_execnz .LBB150_102
.LBB150_70:                             ;   in Loop: Header=BB150_47 Depth=1
	s_or_b32 exec_lo, exec_lo, s75
	s_and_saveexec_b32 s75, s23
	s_cbranch_execnz .LBB150_103
.LBB150_71:                             ;   in Loop: Header=BB150_47 Depth=1
	s_or_b32 exec_lo, exec_lo, s75
	s_and_saveexec_b32 s75, s24
	s_cbranch_execnz .LBB150_104
.LBB150_72:                             ;   in Loop: Header=BB150_47 Depth=1
	s_or_b32 exec_lo, exec_lo, s75
	s_and_saveexec_b32 s75, s25
	s_cbranch_execnz .LBB150_105
.LBB150_73:                             ;   in Loop: Header=BB150_47 Depth=1
	s_or_b32 exec_lo, exec_lo, s75
	s_and_saveexec_b32 s75, s26
	s_cbranch_execnz .LBB150_106
.LBB150_74:                             ;   in Loop: Header=BB150_47 Depth=1
	s_or_b32 exec_lo, exec_lo, s75
	s_and_saveexec_b32 s75, s27
	s_cbranch_execnz .LBB150_107
.LBB150_75:                             ;   in Loop: Header=BB150_47 Depth=1
	s_or_b32 exec_lo, exec_lo, s75
	s_and_saveexec_b32 s75, s28
	s_cbranch_execnz .LBB150_108
.LBB150_76:                             ;   in Loop: Header=BB150_47 Depth=1
	s_or_b32 exec_lo, exec_lo, s75
	s_and_saveexec_b32 s75, s29
	s_cbranch_execnz .LBB150_109
.LBB150_77:                             ;   in Loop: Header=BB150_47 Depth=1
	s_or_b32 exec_lo, exec_lo, s75
	s_and_saveexec_b32 s75, s30
	s_cbranch_execnz .LBB150_110
.LBB150_78:                             ;   in Loop: Header=BB150_47 Depth=1
	s_or_b32 exec_lo, exec_lo, s75
	v_ashrrev_i32_e32 v11, 31, v10
	s_and_saveexec_b32 s75, s31
	s_cbranch_execnz .LBB150_111
.LBB150_79:                             ;   in Loop: Header=BB150_47 Depth=1
	s_or_b32 exec_lo, exec_lo, s75
	s_and_saveexec_b32 s31, vcc_lo
	s_cbranch_execz .LBB150_46
	s_branch .LBB150_112
.LBB150_80:                             ;   in Loop: Header=BB150_47 Depth=1
	v_mov_b32_e32 v2, s36
	ds_load_b32 v2, v2
	s_wait_dscnt 0x0
	v_add_nc_u32_e32 v10, v2, v10
	s_or_b32 exec_lo, exec_lo, s75
	s_and_saveexec_b32 s75, s1
	s_cbranch_execz .LBB150_49
.LBB150_81:                             ;   in Loop: Header=BB150_47 Depth=1
	v_mov_b32_e32 v2, s37
	ds_load_b32 v2, v2
	s_wait_dscnt 0x0
	v_add_nc_u32_e32 v10, v10, v2
	s_or_b32 exec_lo, exec_lo, s75
	s_and_saveexec_b32 s75, s2
	s_cbranch_execz .LBB150_50
.LBB150_82:                             ;   in Loop: Header=BB150_47 Depth=1
	v_mov_b32_e32 v2, s38
	ds_load_b32 v2, v2
	s_wait_dscnt 0x0
	v_add_nc_u32_e32 v10, v10, v2
	s_or_b32 exec_lo, exec_lo, s75
	s_and_saveexec_b32 s75, s3
	s_cbranch_execz .LBB150_51
.LBB150_83:                             ;   in Loop: Header=BB150_47 Depth=1
	v_mov_b32_e32 v2, s39
	ds_load_b32 v2, v2
	s_wait_dscnt 0x0
	v_add_nc_u32_e32 v10, v10, v2
	s_or_b32 exec_lo, exec_lo, s75
	s_and_saveexec_b32 s75, s4
	s_cbranch_execz .LBB150_52
.LBB150_84:                             ;   in Loop: Header=BB150_47 Depth=1
	v_mov_b32_e32 v2, s40
	ds_load_b32 v2, v2
	s_wait_dscnt 0x0
	v_add_nc_u32_e32 v10, v10, v2
	s_or_b32 exec_lo, exec_lo, s75
	s_and_saveexec_b32 s75, s5
	s_cbranch_execz .LBB150_53
.LBB150_85:                             ;   in Loop: Header=BB150_47 Depth=1
	v_mov_b32_e32 v2, s41
	ds_load_b32 v2, v2
	s_wait_dscnt 0x0
	v_add_nc_u32_e32 v10, v10, v2
	s_or_b32 exec_lo, exec_lo, s75
	s_and_saveexec_b32 s75, s6
	s_cbranch_execz .LBB150_54
.LBB150_86:                             ;   in Loop: Header=BB150_47 Depth=1
	v_mov_b32_e32 v2, s44
	ds_load_b32 v2, v2
	s_wait_dscnt 0x0
	v_add_nc_u32_e32 v10, v10, v2
	s_or_b32 exec_lo, exec_lo, s75
	s_and_saveexec_b32 s75, s7
	s_cbranch_execz .LBB150_55
.LBB150_87:                             ;   in Loop: Header=BB150_47 Depth=1
	v_mov_b32_e32 v2, s45
	ds_load_b32 v2, v2
	s_wait_dscnt 0x0
	v_add_nc_u32_e32 v10, v10, v2
	s_or_b32 exec_lo, exec_lo, s75
	s_and_saveexec_b32 s75, s8
	s_cbranch_execz .LBB150_56
.LBB150_88:                             ;   in Loop: Header=BB150_47 Depth=1
	v_mov_b32_e32 v2, s47
	ds_load_b32 v2, v2
	s_wait_dscnt 0x0
	v_add_nc_u32_e32 v10, v10, v2
	s_or_b32 exec_lo, exec_lo, s75
	s_and_saveexec_b32 s75, s9
	s_cbranch_execz .LBB150_57
.LBB150_89:                             ;   in Loop: Header=BB150_47 Depth=1
	v_mov_b32_e32 v2, s52
	ds_load_b32 v2, v2
	s_wait_dscnt 0x0
	v_add_nc_u32_e32 v10, v10, v2
	s_or_b32 exec_lo, exec_lo, s75
	s_and_saveexec_b32 s75, s10
	s_cbranch_execz .LBB150_58
.LBB150_90:                             ;   in Loop: Header=BB150_47 Depth=1
	v_mov_b32_e32 v2, s53
	ds_load_b32 v2, v2
	s_wait_dscnt 0x0
	v_add_nc_u32_e32 v10, v10, v2
	s_or_b32 exec_lo, exec_lo, s75
	s_and_saveexec_b32 s75, s11
	s_cbranch_execz .LBB150_59
.LBB150_91:                             ;   in Loop: Header=BB150_47 Depth=1
	v_mov_b32_e32 v2, s54
	ds_load_b32 v2, v2
	s_wait_dscnt 0x0
	v_add_nc_u32_e32 v10, v10, v2
	s_or_b32 exec_lo, exec_lo, s75
	s_and_saveexec_b32 s75, s12
	s_cbranch_execz .LBB150_60
.LBB150_92:                             ;   in Loop: Header=BB150_47 Depth=1
	v_mov_b32_e32 v2, s55
	ds_load_b32 v2, v2
	s_wait_dscnt 0x0
	v_add_nc_u32_e32 v10, v10, v2
	s_or_b32 exec_lo, exec_lo, s75
	s_and_saveexec_b32 s75, s13
	s_cbranch_execz .LBB150_61
.LBB150_93:                             ;   in Loop: Header=BB150_47 Depth=1
	v_mov_b32_e32 v2, s56
	ds_load_b32 v2, v2
	s_wait_dscnt 0x0
	v_add_nc_u32_e32 v10, v10, v2
	s_or_b32 exec_lo, exec_lo, s75
	s_and_saveexec_b32 s75, s14
	s_cbranch_execz .LBB150_62
.LBB150_94:                             ;   in Loop: Header=BB150_47 Depth=1
	v_mov_b32_e32 v2, s57
	ds_load_b32 v2, v2
	s_wait_dscnt 0x0
	v_add_nc_u32_e32 v10, v10, v2
	s_or_b32 exec_lo, exec_lo, s75
	s_and_saveexec_b32 s75, s15
	s_cbranch_execz .LBB150_63
.LBB150_95:                             ;   in Loop: Header=BB150_47 Depth=1
	v_mov_b32_e32 v2, s58
	ds_load_b32 v2, v2
	s_wait_dscnt 0x0
	v_add_nc_u32_e32 v10, v10, v2
	s_or_b32 exec_lo, exec_lo, s75
	s_and_saveexec_b32 s75, s16
	s_cbranch_execz .LBB150_64
.LBB150_96:                             ;   in Loop: Header=BB150_47 Depth=1
	v_mov_b32_e32 v2, s59
	ds_load_b32 v2, v2
	s_wait_dscnt 0x0
	v_add_nc_u32_e32 v10, v10, v2
	s_or_b32 exec_lo, exec_lo, s75
	s_and_saveexec_b32 s75, s17
	s_cbranch_execz .LBB150_65
.LBB150_97:                             ;   in Loop: Header=BB150_47 Depth=1
	v_mov_b32_e32 v2, s60
	ds_load_b32 v2, v2
	s_wait_dscnt 0x0
	v_add_nc_u32_e32 v10, v10, v2
	s_or_b32 exec_lo, exec_lo, s75
	s_and_saveexec_b32 s75, s18
	s_cbranch_execz .LBB150_66
.LBB150_98:                             ;   in Loop: Header=BB150_47 Depth=1
	v_mov_b32_e32 v2, s61
	ds_load_b32 v2, v2
	s_wait_dscnt 0x0
	v_add_nc_u32_e32 v10, v10, v2
	s_or_b32 exec_lo, exec_lo, s75
	s_and_saveexec_b32 s75, s19
	s_cbranch_execz .LBB150_67
.LBB150_99:                             ;   in Loop: Header=BB150_47 Depth=1
	v_mov_b32_e32 v2, s62
	ds_load_b32 v2, v2
	s_wait_dscnt 0x0
	v_add_nc_u32_e32 v10, v10, v2
	s_or_b32 exec_lo, exec_lo, s75
	s_and_saveexec_b32 s75, s20
	s_cbranch_execz .LBB150_68
.LBB150_100:                            ;   in Loop: Header=BB150_47 Depth=1
	v_mov_b32_e32 v2, s63
	ds_load_b32 v2, v2
	s_wait_dscnt 0x0
	v_add_nc_u32_e32 v10, v10, v2
	s_or_b32 exec_lo, exec_lo, s75
	s_and_saveexec_b32 s75, s21
	s_cbranch_execz .LBB150_69
.LBB150_101:                            ;   in Loop: Header=BB150_47 Depth=1
	v_mov_b32_e32 v2, s64
	ds_load_b32 v2, v2
	s_wait_dscnt 0x0
	v_add_nc_u32_e32 v10, v10, v2
	s_or_b32 exec_lo, exec_lo, s75
	s_and_saveexec_b32 s75, s22
	s_cbranch_execz .LBB150_70
.LBB150_102:                            ;   in Loop: Header=BB150_47 Depth=1
	v_mov_b32_e32 v2, s65
	ds_load_b32 v2, v2
	s_wait_dscnt 0x0
	v_add_nc_u32_e32 v10, v10, v2
	s_or_b32 exec_lo, exec_lo, s75
	s_and_saveexec_b32 s75, s23
	s_cbranch_execz .LBB150_71
.LBB150_103:                            ;   in Loop: Header=BB150_47 Depth=1
	v_mov_b32_e32 v2, s66
	ds_load_b32 v2, v2
	s_wait_dscnt 0x0
	v_add_nc_u32_e32 v10, v10, v2
	s_or_b32 exec_lo, exec_lo, s75
	s_and_saveexec_b32 s75, s24
	s_cbranch_execz .LBB150_72
.LBB150_104:                            ;   in Loop: Header=BB150_47 Depth=1
	v_mov_b32_e32 v2, s67
	ds_load_b32 v2, v2
	s_wait_dscnt 0x0
	v_add_nc_u32_e32 v10, v10, v2
	s_or_b32 exec_lo, exec_lo, s75
	s_and_saveexec_b32 s75, s25
	s_cbranch_execz .LBB150_73
.LBB150_105:                            ;   in Loop: Header=BB150_47 Depth=1
	v_mov_b32_e32 v2, s68
	ds_load_b32 v2, v2
	s_wait_dscnt 0x0
	v_add_nc_u32_e32 v10, v10, v2
	s_or_b32 exec_lo, exec_lo, s75
	s_and_saveexec_b32 s75, s26
	s_cbranch_execz .LBB150_74
.LBB150_106:                            ;   in Loop: Header=BB150_47 Depth=1
	v_mov_b32_e32 v2, s69
	ds_load_b32 v2, v2
	s_wait_dscnt 0x0
	v_add_nc_u32_e32 v10, v10, v2
	s_or_b32 exec_lo, exec_lo, s75
	s_and_saveexec_b32 s75, s27
	s_cbranch_execz .LBB150_75
.LBB150_107:                            ;   in Loop: Header=BB150_47 Depth=1
	v_mov_b32_e32 v2, s70
	ds_load_b32 v2, v2
	s_wait_dscnt 0x0
	v_add_nc_u32_e32 v10, v10, v2
	s_or_b32 exec_lo, exec_lo, s75
	s_and_saveexec_b32 s75, s28
	s_cbranch_execz .LBB150_76
.LBB150_108:                            ;   in Loop: Header=BB150_47 Depth=1
	v_mov_b32_e32 v2, s71
	ds_load_b32 v2, v2
	s_wait_dscnt 0x0
	v_add_nc_u32_e32 v10, v10, v2
	s_or_b32 exec_lo, exec_lo, s75
	s_and_saveexec_b32 s75, s29
	s_cbranch_execz .LBB150_77
.LBB150_109:                            ;   in Loop: Header=BB150_47 Depth=1
	v_mov_b32_e32 v2, s72
	ds_load_b32 v2, v2
	s_wait_dscnt 0x0
	v_add_nc_u32_e32 v10, v10, v2
	s_or_b32 exec_lo, exec_lo, s75
	s_and_saveexec_b32 s75, s30
	s_cbranch_execz .LBB150_78
.LBB150_110:                            ;   in Loop: Header=BB150_47 Depth=1
	v_mov_b32_e32 v2, s73
	ds_load_b32 v2, v2
	s_wait_dscnt 0x0
	v_add_nc_u32_e32 v10, v10, v2
	s_or_b32 exec_lo, exec_lo, s75
	s_delay_alu instid0(VALU_DEP_1)
	v_ashrrev_i32_e32 v11, 31, v10
	s_and_saveexec_b32 s75, s31
	s_cbranch_execz .LBB150_79
.LBB150_111:                            ;   in Loop: Header=BB150_47 Depth=1
	scratch_load_b128 v[12:15], off, off
	v_add3_u32 v2, v6, -1, v10
	v_add_lshl_u32 v5, v6, v10, 4
	s_delay_alu instid0(VALU_DEP_2) | instskip(NEXT) | instid1(VALU_DEP_2)
	v_lshl_add_u32 v2, v2, 3, 0
	v_add3_u32 v5, 0, v5, 0x7ff0
	ds_store_b64 v2, v[8:9]
	s_wait_loadcnt 0x0
	ds_store_2addr_b64 v5, v[12:13], v[14:15] offset1:1
	s_or_b32 exec_lo, exec_lo, s75
	s_and_saveexec_b32 s31, vcc_lo
	s_cbranch_execz .LBB150_46
.LBB150_112:                            ;   in Loop: Header=BB150_47 Depth=1
	v_mov_b32_e32 v2, s74
	ds_store_b64 v2, v[10:11]
	s_branch .LBB150_46
.LBB150_113:
	s_or_b32 exec_lo, exec_lo, s33
	s_wait_kmcnt 0x0
	s_lshl_b64 s[0:1], s[50:51], 3
	v_mov_b32_e32 v1, 0
	s_add_nc_u64 s[4:5], s[42:43], s[0:1]
	s_mov_b32 s6, exec_lo
	s_load_b128 s[0:3], s[4:5], 0x0
	s_wait_kmcnt 0x0
	s_sub_nc_u64 s[4:5], s[2:3], s[0:1]
	s_delay_alu instid0(SALU_CYCLE_1)
	v_cmpx_gt_i64_e64 s[4:5], v[0:1]
	s_cbranch_execz .LBB150_123
; %bb.114:
	s_sub_nc_u64 s[8:9], s[0:1], s[2:3]
	s_and_b64 s[6:7], s[4:5], 7
	v_cmp_lt_u64_e64 s10, s[8:9], -7
	s_and_b64 s[2:3], s[4:5], -8
	s_mov_b32 s47, 0
	s_cmp_lg_u64 s[6:7], 0
	s_sub_nc_u64 s[0:1], s[0:1], s[46:47]
	s_cselect_b32 s11, -1, 0
	s_mov_b32 s12, 0
	s_branch .LBB150_116
.LBB150_115:                            ;   in Loop: Header=BB150_116 Depth=1
	s_wait_dscnt 0x0
	v_lshlrev_b32_e32 v2, 3, v0
	v_add_nc_u64_e32 v[0:1], 0x400, v[0:1]
	s_delay_alu instid0(VALU_DEP_2) | instskip(NEXT) | instid1(VALU_DEP_2)
	v_add3_u32 v2, v6, v2, 0x8000
	v_cmp_le_i64_e32 vcc_lo, s[4:5], v[0:1]
	ds_load_2addr_b64 v[6:9], v2 offset1:1
	v_lshl_add_u64 v[2:3], v[4:5], 4, s[34:35]
	s_or_b32 s12, vcc_lo, s12
	s_wait_dscnt 0x0
	global_store_b128 v[2:3], v[6:9], off
	s_wait_xcnt 0x0
	s_and_not1_b32 exec_lo, exec_lo, s12
	s_cbranch_execz .LBB150_123
.LBB150_116:                            ; =>This Loop Header: Depth=1
                                        ;     Child Loop BB150_118 Depth 2
                                        ;     Child Loop BB150_122 Depth 2
	v_lshl_add_u32 v6, v0, 3, 0
	v_mov_b64_e32 v[4:5], s[0:1]
	s_and_not1_b32 vcc_lo, exec_lo, s10
	s_mov_b64 s[8:9], 0
	ds_load_b64 v[2:3], v6
	s_cbranch_vccnz .LBB150_120
; %bb.117:                              ;   in Loop: Header=BB150_116 Depth=1
	v_mov_b64_e32 v[4:5], s[0:1]
	s_mov_b32 s13, 0
.LBB150_118:                            ;   Parent Loop BB150_116 Depth=1
                                        ; =>  This Inner Loop Header: Depth=2
	s_delay_alu instid0(SALU_CYCLE_1)
	v_dual_mov_b32 v7, s13 :: v_dual_mov_b32 v17, s47
	s_add_nc_u64 s[8:9], s[8:9], 8
	s_add_co_i32 s13, s13, 64
	s_cmp_eq_u64 s[2:3], s[8:9]
	ds_load_2addr_b64 v[8:11], v7 offset1:1
	ds_load_2addr_b64 v[12:15], v7 offset0:2 offset1:3
	s_wait_dscnt 0x1
	v_cmp_gt_i64_e32 vcc_lo, v[2:3], v[8:9]
	v_cndmask_b32_e64 v16, 0, 1, vcc_lo
	v_cmp_gt_i64_e32 vcc_lo, v[2:3], v[10:11]
	ds_load_2addr_b64 v[8:11], v7 offset0:4 offset1:5
	v_add_nc_u64_e32 v[4:5], v[4:5], v[16:17]
	v_cndmask_b32_e64 v18, 0, 1, vcc_lo
	s_wait_dscnt 0x1
	v_cmp_gt_i64_e32 vcc_lo, v[2:3], v[12:13]
	v_cndmask_b32_e64 v16, 0, 1, vcc_lo
	v_cmp_gt_i64_e32 vcc_lo, v[2:3], v[14:15]
	ds_load_2addr_b64 v[12:15], v7 offset0:6 offset1:7
	v_mov_b32_e32 v19, s47
	s_delay_alu instid0(VALU_DEP_1) | instskip(SKIP_4) | instid1(VALU_DEP_4)
	v_add_nc_u64_e32 v[4:5], v[4:5], v[18:19]
	v_cndmask_b32_e64 v18, 0, 1, vcc_lo
	s_wait_dscnt 0x1
	v_cmp_gt_i64_e32 vcc_lo, v[2:3], v[8:9]
	v_mov_b32_e32 v9, s47
	v_add_nc_u64_e32 v[4:5], v[4:5], v[16:17]
	v_cndmask_b32_e64 v16, 0, 1, vcc_lo
	v_cmp_gt_i64_e32 vcc_lo, v[2:3], v[10:11]
	v_mov_b32_e32 v11, s47
	s_delay_alu instid0(VALU_DEP_4) | instskip(SKIP_3) | instid1(VALU_DEP_3)
	v_add_nc_u64_e32 v[4:5], v[4:5], v[18:19]
	v_cndmask_b32_e64 v8, 0, 1, vcc_lo
	s_wait_dscnt 0x0
	v_cmp_gt_i64_e32 vcc_lo, v[2:3], v[12:13]
	v_add_nc_u64_e32 v[4:5], v[4:5], v[16:17]
	v_cndmask_b32_e64 v10, 0, 1, vcc_lo
	v_cmp_gt_i64_e32 vcc_lo, v[2:3], v[14:15]
	s_delay_alu instid0(VALU_DEP_3) | instskip(SKIP_1) | instid1(VALU_DEP_2)
	v_add_nc_u64_e32 v[4:5], v[4:5], v[8:9]
	v_cndmask_b32_e64 v8, 0, 1, vcc_lo
	v_add_nc_u64_e32 v[4:5], v[4:5], v[10:11]
	s_delay_alu instid0(VALU_DEP_1)
	v_add_nc_u64_e32 v[4:5], v[4:5], v[8:9]
	s_cbranch_scc0 .LBB150_118
; %bb.119:                              ;   in Loop: Header=BB150_116 Depth=1
	s_mov_b64 s[8:9], s[2:3]
.LBB150_120:                            ;   in Loop: Header=BB150_116 Depth=1
	s_and_not1_b32 vcc_lo, exec_lo, s11
	s_cbranch_vccnz .LBB150_115
; %bb.121:                              ;   in Loop: Header=BB150_116 Depth=1
	s_lshl_b32 s8, s8, 3
	s_delay_alu instid0(SALU_CYCLE_1)
	s_add_co_i32 s13, s8, 0
	s_mov_b64 s[8:9], s[6:7]
.LBB150_122:                            ;   Parent Loop BB150_116 Depth=1
                                        ; =>  This Inner Loop Header: Depth=2
	v_dual_mov_b32 v7, s13 :: v_dual_mov_b32 v11, s47
	s_add_nc_u64 s[8:9], s[8:9], -1
	s_add_co_i32 s13, s13, 8
	s_cmp_lg_u64 s[8:9], 0
	ds_load_b64 v[8:9], v7
	s_wait_dscnt 0x0
	v_cmp_gt_i64_e32 vcc_lo, v[2:3], v[8:9]
	v_cndmask_b32_e64 v10, 0, 1, vcc_lo
	s_delay_alu instid0(VALU_DEP_1)
	v_add_nc_u64_e32 v[4:5], v[4:5], v[10:11]
	s_cbranch_scc1 .LBB150_122
	s_branch .LBB150_115
.LBB150_123:
	s_endpgm
	.section	.rodata,"a",@progbits
	.p2align	6, 0x0
	.amdhsa_kernel _ZN9rocsparseL41csrgemm_numeric_fill_block_per_row_kernelILj1024ELj64ELj4096ELj137ELj32Ell21rocsparse_complex_numIdEEEvT5_PKS3_S5_NS_24const_host_device_scalarIT6_EEPKT4_S5_PKS7_SB_S5_SD_S8_SB_S5_SD_SB_S5_PS7_21rocsparse_index_base_SF_SF_SF_bbb
		.amdhsa_group_segment_fixed_size 0
		.amdhsa_private_segment_fixed_size 40
		.amdhsa_kernarg_size 172
		.amdhsa_user_sgpr_count 2
		.amdhsa_user_sgpr_dispatch_ptr 0
		.amdhsa_user_sgpr_queue_ptr 0
		.amdhsa_user_sgpr_kernarg_segment_ptr 1
		.amdhsa_user_sgpr_dispatch_id 0
		.amdhsa_user_sgpr_kernarg_preload_length 0
		.amdhsa_user_sgpr_kernarg_preload_offset 0
		.amdhsa_user_sgpr_private_segment_size 0
		.amdhsa_wavefront_size32 1
		.amdhsa_uses_dynamic_stack 0
		.amdhsa_enable_private_segment 1
		.amdhsa_system_sgpr_workgroup_id_x 1
		.amdhsa_system_sgpr_workgroup_id_y 0
		.amdhsa_system_sgpr_workgroup_id_z 0
		.amdhsa_system_sgpr_workgroup_info 0
		.amdhsa_system_vgpr_workitem_id 0
		.amdhsa_next_free_vgpr 38
		.amdhsa_next_free_sgpr 76
		.amdhsa_named_barrier_count 0
		.amdhsa_reserve_vcc 1
		.amdhsa_float_round_mode_32 0
		.amdhsa_float_round_mode_16_64 0
		.amdhsa_float_denorm_mode_32 3
		.amdhsa_float_denorm_mode_16_64 3
		.amdhsa_fp16_overflow 0
		.amdhsa_memory_ordered 1
		.amdhsa_forward_progress 1
		.amdhsa_inst_pref_size 39
		.amdhsa_round_robin_scheduling 0
		.amdhsa_exception_fp_ieee_invalid_op 0
		.amdhsa_exception_fp_denorm_src 0
		.amdhsa_exception_fp_ieee_div_zero 0
		.amdhsa_exception_fp_ieee_overflow 0
		.amdhsa_exception_fp_ieee_underflow 0
		.amdhsa_exception_fp_ieee_inexact 0
		.amdhsa_exception_int_div_zero 0
	.end_amdhsa_kernel
	.section	.text._ZN9rocsparseL41csrgemm_numeric_fill_block_per_row_kernelILj1024ELj64ELj4096ELj137ELj32Ell21rocsparse_complex_numIdEEEvT5_PKS3_S5_NS_24const_host_device_scalarIT6_EEPKT4_S5_PKS7_SB_S5_SD_S8_SB_S5_SD_SB_S5_PS7_21rocsparse_index_base_SF_SF_SF_bbb,"axG",@progbits,_ZN9rocsparseL41csrgemm_numeric_fill_block_per_row_kernelILj1024ELj64ELj4096ELj137ELj32Ell21rocsparse_complex_numIdEEEvT5_PKS3_S5_NS_24const_host_device_scalarIT6_EEPKT4_S5_PKS7_SB_S5_SD_S8_SB_S5_SD_SB_S5_PS7_21rocsparse_index_base_SF_SF_SF_bbb,comdat
.Lfunc_end150:
	.size	_ZN9rocsparseL41csrgemm_numeric_fill_block_per_row_kernelILj1024ELj64ELj4096ELj137ELj32Ell21rocsparse_complex_numIdEEEvT5_PKS3_S5_NS_24const_host_device_scalarIT6_EEPKT4_S5_PKS7_SB_S5_SD_S8_SB_S5_SD_SB_S5_PS7_21rocsparse_index_base_SF_SF_SF_bbb, .Lfunc_end150-_ZN9rocsparseL41csrgemm_numeric_fill_block_per_row_kernelILj1024ELj64ELj4096ELj137ELj32Ell21rocsparse_complex_numIdEEEvT5_PKS3_S5_NS_24const_host_device_scalarIT6_EEPKT4_S5_PKS7_SB_S5_SD_S8_SB_S5_SD_SB_S5_PS7_21rocsparse_index_base_SF_SF_SF_bbb
                                        ; -- End function
	.set _ZN9rocsparseL41csrgemm_numeric_fill_block_per_row_kernelILj1024ELj64ELj4096ELj137ELj32Ell21rocsparse_complex_numIdEEEvT5_PKS3_S5_NS_24const_host_device_scalarIT6_EEPKT4_S5_PKS7_SB_S5_SD_S8_SB_S5_SD_SB_S5_PS7_21rocsparse_index_base_SF_SF_SF_bbb.num_vgpr, 38
	.set _ZN9rocsparseL41csrgemm_numeric_fill_block_per_row_kernelILj1024ELj64ELj4096ELj137ELj32Ell21rocsparse_complex_numIdEEEvT5_PKS3_S5_NS_24const_host_device_scalarIT6_EEPKT4_S5_PKS7_SB_S5_SD_S8_SB_S5_SD_SB_S5_PS7_21rocsparse_index_base_SF_SF_SF_bbb.num_agpr, 0
	.set _ZN9rocsparseL41csrgemm_numeric_fill_block_per_row_kernelILj1024ELj64ELj4096ELj137ELj32Ell21rocsparse_complex_numIdEEEvT5_PKS3_S5_NS_24const_host_device_scalarIT6_EEPKT4_S5_PKS7_SB_S5_SD_S8_SB_S5_SD_SB_S5_PS7_21rocsparse_index_base_SF_SF_SF_bbb.numbered_sgpr, 76
	.set _ZN9rocsparseL41csrgemm_numeric_fill_block_per_row_kernelILj1024ELj64ELj4096ELj137ELj32Ell21rocsparse_complex_numIdEEEvT5_PKS3_S5_NS_24const_host_device_scalarIT6_EEPKT4_S5_PKS7_SB_S5_SD_S8_SB_S5_SD_SB_S5_PS7_21rocsparse_index_base_SF_SF_SF_bbb.num_named_barrier, 0
	.set _ZN9rocsparseL41csrgemm_numeric_fill_block_per_row_kernelILj1024ELj64ELj4096ELj137ELj32Ell21rocsparse_complex_numIdEEEvT5_PKS3_S5_NS_24const_host_device_scalarIT6_EEPKT4_S5_PKS7_SB_S5_SD_S8_SB_S5_SD_SB_S5_PS7_21rocsparse_index_base_SF_SF_SF_bbb.private_seg_size, 40
	.set _ZN9rocsparseL41csrgemm_numeric_fill_block_per_row_kernelILj1024ELj64ELj4096ELj137ELj32Ell21rocsparse_complex_numIdEEEvT5_PKS3_S5_NS_24const_host_device_scalarIT6_EEPKT4_S5_PKS7_SB_S5_SD_S8_SB_S5_SD_SB_S5_PS7_21rocsparse_index_base_SF_SF_SF_bbb.uses_vcc, 1
	.set _ZN9rocsparseL41csrgemm_numeric_fill_block_per_row_kernelILj1024ELj64ELj4096ELj137ELj32Ell21rocsparse_complex_numIdEEEvT5_PKS3_S5_NS_24const_host_device_scalarIT6_EEPKT4_S5_PKS7_SB_S5_SD_S8_SB_S5_SD_SB_S5_PS7_21rocsparse_index_base_SF_SF_SF_bbb.uses_flat_scratch, 1
	.set _ZN9rocsparseL41csrgemm_numeric_fill_block_per_row_kernelILj1024ELj64ELj4096ELj137ELj32Ell21rocsparse_complex_numIdEEEvT5_PKS3_S5_NS_24const_host_device_scalarIT6_EEPKT4_S5_PKS7_SB_S5_SD_S8_SB_S5_SD_SB_S5_PS7_21rocsparse_index_base_SF_SF_SF_bbb.has_dyn_sized_stack, 0
	.set _ZN9rocsparseL41csrgemm_numeric_fill_block_per_row_kernelILj1024ELj64ELj4096ELj137ELj32Ell21rocsparse_complex_numIdEEEvT5_PKS3_S5_NS_24const_host_device_scalarIT6_EEPKT4_S5_PKS7_SB_S5_SD_S8_SB_S5_SD_SB_S5_PS7_21rocsparse_index_base_SF_SF_SF_bbb.has_recursion, 0
	.set _ZN9rocsparseL41csrgemm_numeric_fill_block_per_row_kernelILj1024ELj64ELj4096ELj137ELj32Ell21rocsparse_complex_numIdEEEvT5_PKS3_S5_NS_24const_host_device_scalarIT6_EEPKT4_S5_PKS7_SB_S5_SD_S8_SB_S5_SD_SB_S5_PS7_21rocsparse_index_base_SF_SF_SF_bbb.has_indirect_call, 0
	.section	.AMDGPU.csdata,"",@progbits
; Kernel info:
; codeLenInByte = 4868
; TotalNumSgprs: 78
; NumVgprs: 38
; ScratchSize: 40
; MemoryBound: 0
; FloatMode: 240
; IeeeMode: 1
; LDSByteSize: 0 bytes/workgroup (compile time only)
; SGPRBlocks: 0
; VGPRBlocks: 2
; NumSGPRsForWavesPerEU: 78
; NumVGPRsForWavesPerEU: 38
; NamedBarCnt: 0
; Occupancy: 16
; WaveLimiterHint : 1
; COMPUTE_PGM_RSRC2:SCRATCH_EN: 1
; COMPUTE_PGM_RSRC2:USER_SGPR: 2
; COMPUTE_PGM_RSRC2:TRAP_HANDLER: 0
; COMPUTE_PGM_RSRC2:TGID_X_EN: 1
; COMPUTE_PGM_RSRC2:TGID_Y_EN: 0
; COMPUTE_PGM_RSRC2:TGID_Z_EN: 0
; COMPUTE_PGM_RSRC2:TIDIG_COMP_CNT: 0
	.section	.text._ZN9rocsparseL41csrgemm_numeric_fill_block_per_row_kernelILj1024ELj64ELj4096ELj137ELj64Ell21rocsparse_complex_numIdEEEvT5_PKS3_S5_NS_24const_host_device_scalarIT6_EEPKT4_S5_PKS7_SB_S5_SD_S8_SB_S5_SD_SB_S5_PS7_21rocsparse_index_base_SF_SF_SF_bbb,"axG",@progbits,_ZN9rocsparseL41csrgemm_numeric_fill_block_per_row_kernelILj1024ELj64ELj4096ELj137ELj64Ell21rocsparse_complex_numIdEEEvT5_PKS3_S5_NS_24const_host_device_scalarIT6_EEPKT4_S5_PKS7_SB_S5_SD_S8_SB_S5_SD_SB_S5_PS7_21rocsparse_index_base_SF_SF_SF_bbb,comdat
	.globl	_ZN9rocsparseL41csrgemm_numeric_fill_block_per_row_kernelILj1024ELj64ELj4096ELj137ELj64Ell21rocsparse_complex_numIdEEEvT5_PKS3_S5_NS_24const_host_device_scalarIT6_EEPKT4_S5_PKS7_SB_S5_SD_S8_SB_S5_SD_SB_S5_PS7_21rocsparse_index_base_SF_SF_SF_bbb ; -- Begin function _ZN9rocsparseL41csrgemm_numeric_fill_block_per_row_kernelILj1024ELj64ELj4096ELj137ELj64Ell21rocsparse_complex_numIdEEEvT5_PKS3_S5_NS_24const_host_device_scalarIT6_EEPKT4_S5_PKS7_SB_S5_SD_S8_SB_S5_SD_SB_S5_PS7_21rocsparse_index_base_SF_SF_SF_bbb
	.p2align	8
	.type	_ZN9rocsparseL41csrgemm_numeric_fill_block_per_row_kernelILj1024ELj64ELj4096ELj137ELj64Ell21rocsparse_complex_numIdEEEvT5_PKS3_S5_NS_24const_host_device_scalarIT6_EEPKT4_S5_PKS7_SB_S5_SD_S8_SB_S5_SD_SB_S5_PS7_21rocsparse_index_base_SF_SF_SF_bbb,@function
_ZN9rocsparseL41csrgemm_numeric_fill_block_per_row_kernelILj1024ELj64ELj4096ELj137ELj64Ell21rocsparse_complex_numIdEEEvT5_PKS3_S5_NS_24const_host_device_scalarIT6_EEPKT4_S5_PKS7_SB_S5_SD_S8_SB_S5_SD_SB_S5_PS7_21rocsparse_index_base_SF_SF_SF_bbb: ; @_ZN9rocsparseL41csrgemm_numeric_fill_block_per_row_kernelILj1024ELj64ELj4096ELj137ELj64Ell21rocsparse_complex_numIdEEEvT5_PKS3_S5_NS_24const_host_device_scalarIT6_EEPKT4_S5_PKS7_SB_S5_SD_S8_SB_S5_SD_SB_S5_PS7_21rocsparse_index_base_SF_SF_SF_bbb
; %bb.0:
	s_clause 0x3
	s_load_b32 s3, s[0:1], 0xa8
	s_load_b128 s[8:11], s[0:1], 0x18
	s_load_b128 s[4:7], s[0:1], 0x58
	;; [unrolled: 1-line block ×3, first 2 shown]
	v_mov_b64_e32 v[6:7], 0
	v_mov_b64_e32 v[12:13], 0
	;; [unrolled: 1-line block ×3, first 2 shown]
	v_mbcnt_lo_u32_b32 v39, -1, 0
	s_wait_kmcnt 0x0
	s_bitcmp1_b32 s3, 0
	v_mov_b64_e32 v[2:3], s[8:9]
	s_cselect_b32 s36, -1, 0
	s_bitcmp1_b32 s3, 16
	v_mov_b64_e32 v[4:5], s[4:5]
	s_cselect_b32 s2, -1, 0
	s_clause 0x1
	scratch_store_b64 off, v[2:3], off offset:16
	scratch_store_b64 off, v[4:5], off offset:24
	s_xor_b32 s12, s2, -1
	s_bitcmp0_b32 s3, 0
	v_cndmask_b32_e64 v1, 0, 1, s12
	s_delay_alu instid0(VALU_DEP_1)
	v_cmp_ne_u32_e32 vcc_lo, 1, v1
	s_cbranch_scc1 .LBB151_3
; %bb.1:
	s_wait_xcnt 0x1
	v_dual_mov_b32 v2, 16 :: v_dual_lshlrev_b32 v3, 20, v39
	v_mov_b64_e32 v[14:15], s[10:11]
	s_and_b32 vcc_lo, exec_lo, vcc_lo
	s_delay_alu instid0(VALU_DEP_2) | instskip(NEXT) | instid1(VALU_DEP_1)
	v_add_nc_u64_e32 v[2:3], src_flat_scratch_base_lo, v[2:3]
	v_cndmask_b32_e64 v3, s9, v3, s2
	s_delay_alu instid0(VALU_DEP_2)
	v_cndmask_b32_e64 v2, s8, v2, s2
	flat_load_b64 v[12:13], v[2:3]
	s_cbranch_vccnz .LBB151_3
; %bb.2:
	v_mov_b32_e32 v1, 0
	flat_load_b64 v[14:15], v1, s[8:9] offset:8
.LBB151_3:
	s_load_b64 s[34:35], s[0:1], 0x8
	v_mov_b64_e32 v[8:9], 0
	s_bitcmp1_b32 s3, 8
	s_cselect_b32 s33, -1, 0
	s_bfe_u32 s3, s3, 0x10008
	s_delay_alu instid0(SALU_CYCLE_1)
	s_cmp_eq_u32 s3, 0
	s_cbranch_scc1 .LBB151_6
; %bb.4:
	v_dual_mov_b32 v2, 24 :: v_dual_lshlrev_b32 v3, 20, v39
	v_mov_b64_e32 v[6:7], s[6:7]
	s_and_not1_b32 vcc_lo, exec_lo, s12
	s_delay_alu instid0(VALU_DEP_2) | instskip(NEXT) | instid1(VALU_DEP_1)
	v_add_nc_u64_e32 v[2:3], src_flat_scratch_base_lo, v[2:3]
	v_cndmask_b32_e64 v3, s5, v3, s2
	s_delay_alu instid0(VALU_DEP_2)
	v_cndmask_b32_e64 v2, s4, v2, s2
	flat_load_b64 v[8:9], v[2:3]
	s_cbranch_vccnz .LBB151_6
; %bb.5:
	v_mov_b32_e32 v1, 0
	flat_load_b64 v[6:7], v1, s[4:5] offset:8
.LBB151_6:
	s_clause 0x5
	s_load_b64 s[30:31], s[0:1], 0x0
	s_load_b64 s[2:3], s[0:1], 0x10
	;; [unrolled: 1-line block ×3, first 2 shown]
	s_load_b256 s[12:19], s[0:1], 0x68
	s_load_b128 s[24:27], s[0:1], 0x48
	s_load_b256 s[4:11], s[0:1], 0x28
	v_or_b32_e32 v36, 0xfffffc00, v0
	v_lshlrev_b32_e32 v1, 4, v0
	s_wait_xcnt 0x0
	s_mov_b32 s0, 0
	v_lshl_add_u32 v37, v0, 3, 0
	s_mov_b32 s1, s0
	v_mov_b32_e32 v16, v36
	v_add3_u32 v38, v1, 0, 0x8000
	s_mov_b32 s38, s0
	s_mov_b32 s39, s0
	v_mov_b64_e32 v[2:3], s[0:1]
	v_mov_b64_e32 v[4:5], s[38:39]
	v_dual_mov_b32 v1, v37 :: v_dual_mov_b32 v17, v38
	s_wait_kmcnt 0x0
	v_mov_b64_e32 v[10:11], s[30:31]
.LBB151_7:                              ; =>This Inner Loop Header: Depth=1
	v_add_nc_u32_e32 v16, 0x400, v16
	ds_store_b64 v1, v[10:11]
	ds_store_2addr_b64 v17, v[2:3], v[4:5] offset1:1
	v_add_nc_u32_e32 v17, 0x4000, v17
	v_add_nc_u32_e32 v1, 0x2000, v1
	v_cmp_lt_u32_e32 vcc_lo, 0xbff, v16
	s_or_b32 s0, vcc_lo, s0
	s_delay_alu instid0(SALU_CYCLE_1)
	s_and_not1_b32 exec_lo, exec_lo, s0
	s_cbranch_execnz .LBB151_7
; %bb.8:
	s_or_b32 exec_lo, exec_lo, s0
	s_wait_storecnt 0x0
	s_wait_loadcnt_dscnt 0x0
	s_barrier_signal -1
	s_barrier_wait -1
	s_load_b64 s[0:1], s[34:35], 0x0
	s_wait_xcnt 0x0
	s_bfe_u32 s34, ttmp6, 0x4000c
	s_and_b32 s35, ttmp6, 15
	s_add_co_i32 s34, s34, 1
	s_getreg_b32 s37, hwreg(HW_REG_IB_STS2, 6, 4)
	s_mul_i32 s34, ttmp9, s34
	v_lshrrev_b32_e32 v10, 6, v0
	s_add_co_i32 s35, s35, s34
	s_wait_kmcnt 0x0
	s_lshl_b64 s[0:1], s[0:1], 3
	s_cmp_eq_u32 s37, 0
	s_add_nc_u64 s[0:1], s[2:3], s[0:1]
	s_cselect_b32 s2, ttmp9, s35
	s_and_b32 vcc_lo, exec_lo, s36
	s_load_b64 s[34:35], s[0:1], s2 offset:0x0 scale_offset
	s_wait_xcnt 0x0
	s_mov_b32 s1, 0
	s_cbranch_vccz .LBB151_28
; %bb.9:
	s_wait_kmcnt 0x0
	s_lshl_b64 s[2:3], s[34:35], 3
	v_mov_b32_e32 v11, 0
	s_add_nc_u64 s[2:3], s[4:5], s[2:3]
	s_mov_b32 s0, s20
	s_load_b128 s[36:39], s[2:3], 0x0
	s_mov_b32 s20, exec_lo
	v_sub_nc_u64_e64 v[2:3], v[10:11], s[0:1]
	s_wait_kmcnt 0x0
	s_delay_alu instid0(VALU_DEP_1)
	v_add_nc_u64_e32 v[16:17], s[36:37], v[2:3]
	s_sub_nc_u64 s[2:3], s[38:39], s[0:1]
	s_delay_alu instid0(VALU_DEP_1) | instid1(SALU_CYCLE_1)
	v_cmpx_gt_i64_e64 s[2:3], v[16:17]
	s_cbranch_execz .LBB151_27
; %bb.10:
	v_dual_mov_b32 v3, v11 :: v_dual_bitop2_b32 v2, 63, v0 bitop3:0x40
	s_mov_b32 s5, 0
	s_mov_b32 s4, s21
	;; [unrolled: 1-line block ×3, first 2 shown]
	s_delay_alu instid0(VALU_DEP_1)
	v_sub_nc_u64_e64 v[18:19], v[2:3], s[4:5]
	s_branch .LBB151_12
.LBB151_11:                             ;   in Loop: Header=BB151_12 Depth=1
	s_or_b32 exec_lo, exec_lo, s36
	v_add_nc_u64_e32 v[16:17], 16, v[16:17]
	s_delay_alu instid0(VALU_DEP_1) | instskip(SKIP_1) | instid1(SALU_CYCLE_1)
	v_cmp_le_i64_e32 vcc_lo, s[2:3], v[16:17]
	s_or_b32 s21, vcc_lo, s21
	s_and_not1_b32 exec_lo, exec_lo, s21
	s_cbranch_execz .LBB151_27
.LBB151_12:                             ; =>This Loop Header: Depth=1
                                        ;     Child Loop BB151_16 Depth 2
                                        ;       Child Loop BB151_19 Depth 3
	v_lshl_add_u64 v[2:3], v[16:17], 3, s[6:7]
	s_mov_b32 s36, exec_lo
	global_load_b64 v[2:3], v[2:3], off
	s_wait_loadcnt 0x0
	s_wait_xcnt 0x0
	v_sub_nc_u64_e64 v[2:3], v[2:3], s[0:1]
	s_delay_alu instid0(VALU_DEP_1)
	v_lshl_add_u64 v[2:3], v[2:3], 3, s[10:11]
	global_load_b128 v[2:5], v[2:3], off
	s_wait_loadcnt 0x0
	v_sub_nc_u64_e64 v[20:21], v[4:5], s[4:5]
	v_add_nc_u64_e32 v[22:23], v[2:3], v[18:19]
	s_wait_xcnt 0x0
	s_delay_alu instid0(VALU_DEP_1)
	v_cmpx_lt_i64_e64 v[22:23], v[20:21]
	s_cbranch_execz .LBB151_11
; %bb.13:                               ;   in Loop: Header=BB151_12 Depth=1
	v_lshl_add_u64 v[2:3], v[16:17], 4, s[8:9]
	s_mov_b32 s37, 0
	global_load_b128 v[2:5], v[2:3], off
	s_wait_loadcnt 0x0
	v_mul_f64_e64 v[24:25], v[4:5], -v[14:15]
	v_mul_f64_e32 v[26:27], v[12:13], v[4:5]
	s_delay_alu instid0(VALU_DEP_2) | instskip(NEXT) | instid1(VALU_DEP_2)
	v_fmac_f64_e32 v[24:25], v[12:13], v[2:3]
	v_fmac_f64_e32 v[26:27], v[14:15], v[2:3]
	s_branch .LBB151_16
.LBB151_14:                             ;   in Loop: Header=BB151_16 Depth=2
	s_or_b32 exec_lo, exec_lo, s39
.LBB151_15:                             ;   in Loop: Header=BB151_16 Depth=2
	s_delay_alu instid0(SALU_CYCLE_1)
	s_or_b32 exec_lo, exec_lo, s38
	s_wait_loadcnt 0x0
	v_mul_f64_e64 v[30:31], v[4:5], -v[26:27]
	v_mul_f64_e32 v[4:5], v[24:25], v[4:5]
	v_lshl_add_u32 v1, v28, 4, 0
	v_add_nc_u64_e32 v[22:23], 64, v[22:23]
	s_delay_alu instid0(VALU_DEP_1)
	v_cmp_ge_i64_e32 vcc_lo, v[22:23], v[20:21]
	s_or_b32 s37, vcc_lo, s37
	v_fmac_f64_e32 v[30:31], v[24:25], v[2:3]
	v_fmac_f64_e32 v[4:5], v[26:27], v[2:3]
	ds_add_f64 v1, v[30:31] offset:32768
	ds_add_f64 v1, v[4:5] offset:32776
	s_and_not1_b32 exec_lo, exec_lo, s37
	s_cbranch_execz .LBB151_11
.LBB151_16:                             ;   Parent Loop BB151_12 Depth=1
                                        ; =>  This Loop Header: Depth=2
                                        ;       Child Loop BB151_19 Depth 3
	s_wait_xcnt 0x0
	v_lshl_add_u64 v[2:3], v[22:23], 3, s[24:25]
	s_mov_b32 s38, exec_lo
	global_load_b64 v[28:29], v[2:3], off
	s_wait_xcnt 0x0
	v_lshl_add_u64 v[2:3], v[22:23], 4, s[26:27]
	global_load_b128 v[2:5], v[2:3], off
	s_wait_loadcnt 0x1
	v_sub_nc_u64_e64 v[30:31], v[28:29], s[4:5]
	s_delay_alu instid0(VALU_DEP_1) | instskip(NEXT) | instid1(VALU_DEP_1)
	v_mul_lo_u32 v1, 0x89, v30
	v_and_b32_e32 v28, 0xfff, v1
	s_delay_alu instid0(VALU_DEP_1)
	v_lshl_add_u32 v1, v28, 3, 0
	ds_load_b64 v[34:35], v1
	s_wait_dscnt 0x0
	s_wait_xcnt 0x0
	v_cmpx_ne_u64_e64 v[34:35], v[30:31]
	s_cbranch_execz .LBB151_15
; %bb.17:                               ;   in Loop: Header=BB151_16 Depth=2
	s_mov_b32 s39, 0
                                        ; implicit-def: $sgpr40
                                        ; implicit-def: $sgpr41
	s_branch .LBB151_19
.LBB151_18:                             ;   in Loop: Header=BB151_19 Depth=3
	s_or_b32 exec_lo, exec_lo, s44
	s_delay_alu instid0(SALU_CYCLE_1) | instskip(NEXT) | instid1(SALU_CYCLE_1)
	s_and_b32 s42, exec_lo, s43
	s_or_b32 s39, s42, s39
	s_and_not1_b32 s40, s40, exec_lo
	s_and_b32 s42, s41, exec_lo
	s_delay_alu instid0(SALU_CYCLE_1)
	s_or_b32 s40, s40, s42
	s_and_not1_b32 exec_lo, exec_lo, s39
	s_cbranch_execz .LBB151_25
.LBB151_19:                             ;   Parent Loop BB151_12 Depth=1
                                        ;     Parent Loop BB151_16 Depth=2
                                        ; =>    This Inner Loop Header: Depth=3
	v_mov_b64_e32 v[32:33], v[28:29]
	s_mov_b32 s42, 0
	s_mov_b32 s43, exec_lo
                                        ; implicit-def: $vgpr28_vgpr29
	v_cmpx_ne_u64_e64 s[30:31], v[34:35]
	s_xor_b32 s43, exec_lo, s43
; %bb.20:                               ;   in Loop: Header=BB151_19 Depth=3
	s_delay_alu instid0(VALU_DEP_2) | instskip(SKIP_1) | instid1(VALU_DEP_1)
	v_add_nc_u32_e32 v1, 1, v32
	s_mov_b32 s42, exec_lo
	v_and_b32_e32 v28, 0xfff, v1
                                        ; implicit-def: $vgpr1
; %bb.21:                               ;   in Loop: Header=BB151_19 Depth=3
	s_and_not1_saveexec_b32 s43, s43
	s_cbranch_execz .LBB151_23
; %bb.22:                               ;   in Loop: Header=BB151_19 Depth=3
	v_mov_b64_e32 v[28:29], s[30:31]
	s_and_not1_b32 s42, s42, exec_lo
	ds_cmpstore_rtn_b64 v[28:29], v1, v[30:31], v[28:29]
	s_wait_dscnt 0x0
	v_cmp_ne_u64_e32 vcc_lo, s[30:31], v[28:29]
	v_mov_b64_e32 v[28:29], v[32:33]
	s_and_b32 s44, vcc_lo, exec_lo
	s_delay_alu instid0(SALU_CYCLE_1)
	s_or_b32 s42, s42, s44
.LBB151_23:                             ;   in Loop: Header=BB151_19 Depth=3
	s_or_b32 exec_lo, exec_lo, s43
	s_mov_b32 s43, -1
	s_or_b32 s41, s41, exec_lo
                                        ; implicit-def: $vgpr1
                                        ; implicit-def: $vgpr34_vgpr35
	s_and_saveexec_b32 s44, s42
	s_cbranch_execz .LBB151_18
; %bb.24:                               ;   in Loop: Header=BB151_19 Depth=3
	v_lshl_add_u32 v1, v28, 3, 0
	s_and_not1_b32 s41, s41, exec_lo
	ds_load_b64 v[34:35], v1
	s_wait_dscnt 0x0
	v_cmp_eq_u64_e32 vcc_lo, v[34:35], v[30:31]
	s_or_not1_b32 s43, vcc_lo, exec_lo
	s_branch .LBB151_18
.LBB151_25:                             ;   in Loop: Header=BB151_16 Depth=2
	s_or_b32 exec_lo, exec_lo, s39
	s_and_saveexec_b32 s39, s40
	s_delay_alu instid0(SALU_CYCLE_1)
	s_xor_b32 s39, exec_lo, s39
	s_cbranch_execz .LBB151_14
; %bb.26:                               ;   in Loop: Header=BB151_16 Depth=2
	v_mov_b32_e32 v28, v32
	s_branch .LBB151_14
.LBB151_27:
	s_or_b32 exec_lo, exec_lo, s20
.LBB151_28:
	s_delay_alu instid0(SALU_CYCLE_1)
	s_and_not1_b32 vcc_lo, exec_lo, s33
	s_cbranch_vccnz .LBB151_45
; %bb.29:
	s_wait_kmcnt 0x0
	s_lshl_b64 s[0:1], s[34:35], 3
	v_mov_b32_e32 v1, 0
	s_add_nc_u64 s[0:1], s[12:13], s[0:1]
	s_load_b128 s[4:7], s[0:1], 0x0
	s_wait_xcnt 0x0
	s_mov_b32 s1, 0
	s_mov_b32 s0, s23
	s_delay_alu instid0(SALU_CYCLE_1) | instskip(SKIP_1) | instid1(VALU_DEP_1)
	v_sub_nc_u64_e64 v[2:3], v[0:1], s[0:1]
	s_wait_kmcnt 0x0
	v_add_nc_u64_e32 v[12:13], s[4:5], v[2:3]
	s_sub_nc_u64 s[2:3], s[6:7], s[0:1]
	s_mov_b32 s4, exec_lo
	s_delay_alu instid0(VALU_DEP_1)
	v_cmpx_gt_i64_e64 s[2:3], v[12:13]
	s_cbranch_execz .LBB151_44
; %bb.30:
	s_mov_b32 s5, s1
	s_branch .LBB151_33
.LBB151_31:                             ;   in Loop: Header=BB151_33 Depth=1
	s_or_b32 exec_lo, exec_lo, s7
.LBB151_32:                             ;   in Loop: Header=BB151_33 Depth=1
	s_delay_alu instid0(SALU_CYCLE_1)
	s_or_b32 exec_lo, exec_lo, s6
	s_wait_loadcnt 0x0
	v_mul_f64_e64 v[16:17], v[4:5], -v[6:7]
	v_mul_f64_e32 v[4:5], v[8:9], v[4:5]
	v_lshl_add_u32 v1, v14, 4, 0
	v_add_nc_u64_e32 v[12:13], 0x400, v[12:13]
	s_delay_alu instid0(VALU_DEP_1)
	v_cmp_le_i64_e32 vcc_lo, s[2:3], v[12:13]
	s_or_b32 s5, vcc_lo, s5
	v_fmac_f64_e32 v[16:17], v[8:9], v[2:3]
	v_fmac_f64_e32 v[4:5], v[6:7], v[2:3]
	ds_add_f64 v1, v[16:17] offset:32768
	ds_add_f64 v1, v[4:5] offset:32776
	s_and_not1_b32 exec_lo, exec_lo, s5
	s_cbranch_execz .LBB151_44
.LBB151_33:                             ; =>This Loop Header: Depth=1
                                        ;     Child Loop BB151_36 Depth 2
	v_lshl_add_u64 v[2:3], v[12:13], 3, s[14:15]
	s_mov_b32 s6, exec_lo
	global_load_b64 v[14:15], v[2:3], off
	s_wait_xcnt 0x0
	v_lshl_add_u64 v[2:3], v[12:13], 4, s[16:17]
	global_load_b128 v[2:5], v[2:3], off
	s_wait_loadcnt 0x1
	v_sub_nc_u64_e64 v[16:17], v[14:15], s[0:1]
	s_delay_alu instid0(VALU_DEP_1) | instskip(NEXT) | instid1(VALU_DEP_1)
	v_mul_lo_u32 v1, 0x89, v16
	v_and_b32_e32 v14, 0xfff, v1
	s_delay_alu instid0(VALU_DEP_1)
	v_lshl_add_u32 v1, v14, 3, 0
	ds_load_b64 v[20:21], v1
	s_wait_dscnt 0x0
	s_wait_xcnt 0x0
	v_cmpx_ne_u64_e64 v[20:21], v[16:17]
	s_cbranch_execz .LBB151_32
; %bb.34:                               ;   in Loop: Header=BB151_33 Depth=1
	s_mov_b32 s7, 0
                                        ; implicit-def: $sgpr8
                                        ; implicit-def: $sgpr9
	s_branch .LBB151_36
.LBB151_35:                             ;   in Loop: Header=BB151_36 Depth=2
	s_or_b32 exec_lo, exec_lo, s12
	s_delay_alu instid0(SALU_CYCLE_1) | instskip(NEXT) | instid1(SALU_CYCLE_1)
	s_and_b32 s10, exec_lo, s11
	s_or_b32 s7, s10, s7
	s_and_not1_b32 s8, s8, exec_lo
	s_and_b32 s10, s9, exec_lo
	s_delay_alu instid0(SALU_CYCLE_1)
	s_or_b32 s8, s8, s10
	s_and_not1_b32 exec_lo, exec_lo, s7
	s_cbranch_execz .LBB151_42
.LBB151_36:                             ;   Parent Loop BB151_33 Depth=1
                                        ; =>  This Inner Loop Header: Depth=2
	v_mov_b64_e32 v[18:19], v[14:15]
	s_mov_b32 s10, 0
	s_mov_b32 s11, exec_lo
                                        ; implicit-def: $vgpr14_vgpr15
	v_cmpx_ne_u64_e64 s[30:31], v[20:21]
	s_xor_b32 s11, exec_lo, s11
; %bb.37:                               ;   in Loop: Header=BB151_36 Depth=2
	s_delay_alu instid0(VALU_DEP_2) | instskip(SKIP_1) | instid1(VALU_DEP_1)
	v_add_nc_u32_e32 v1, 1, v18
	s_mov_b32 s10, exec_lo
	v_and_b32_e32 v14, 0xfff, v1
                                        ; implicit-def: $vgpr1
; %bb.38:                               ;   in Loop: Header=BB151_36 Depth=2
	s_and_not1_saveexec_b32 s11, s11
	s_cbranch_execz .LBB151_40
; %bb.39:                               ;   in Loop: Header=BB151_36 Depth=2
	v_mov_b64_e32 v[14:15], s[30:31]
	s_and_not1_b32 s10, s10, exec_lo
	ds_cmpstore_rtn_b64 v[14:15], v1, v[16:17], v[14:15]
	s_wait_dscnt 0x0
	v_cmp_ne_u64_e32 vcc_lo, s[30:31], v[14:15]
	v_mov_b64_e32 v[14:15], v[18:19]
	s_and_b32 s12, vcc_lo, exec_lo
	s_delay_alu instid0(SALU_CYCLE_1)
	s_or_b32 s10, s10, s12
.LBB151_40:                             ;   in Loop: Header=BB151_36 Depth=2
	s_or_b32 exec_lo, exec_lo, s11
	s_mov_b32 s11, -1
	s_or_b32 s9, s9, exec_lo
                                        ; implicit-def: $vgpr1
                                        ; implicit-def: $vgpr20_vgpr21
	s_and_saveexec_b32 s12, s10
	s_cbranch_execz .LBB151_35
; %bb.41:                               ;   in Loop: Header=BB151_36 Depth=2
	v_lshl_add_u32 v1, v14, 3, 0
	s_and_not1_b32 s9, s9, exec_lo
	ds_load_b64 v[20:21], v1
	s_wait_dscnt 0x0
	v_cmp_eq_u64_e32 vcc_lo, v[20:21], v[16:17]
	s_or_not1_b32 s11, vcc_lo, exec_lo
	s_branch .LBB151_35
.LBB151_42:                             ;   in Loop: Header=BB151_33 Depth=1
	s_or_b32 exec_lo, exec_lo, s7
	s_and_saveexec_b32 s7, s8
	s_delay_alu instid0(SALU_CYCLE_1)
	s_xor_b32 s7, exec_lo, s7
	s_cbranch_execz .LBB151_31
; %bb.43:                               ;   in Loop: Header=BB151_33 Depth=1
	v_mov_b32_e32 v14, v18
	s_branch .LBB151_31
.LBB151_44:
	s_or_b32 exec_lo, exec_lo, s4
.LBB151_45:
	v_dual_lshlrev_b32 v3, 3, v10 :: v_dual_bitop2_b32 v1, 31, v39 bitop3:0x14
	v_mov_b64_e32 v[6:7], 0
	s_add_co_i32 s38, 0, 0x18078
	v_mov_b32_e32 v5, 0
	s_delay_alu instid0(VALU_DEP_3)
	v_lshrrev_b32_e64 v2, v1, -1
	v_add3_u32 v1, 0x18000, 0, v3
	v_cmp_lt_u32_e64 s0, 63, v0
	v_cmp_lt_u32_e64 s1, 0x7f, v0
	;; [unrolled: 1-line block ×15, first 2 shown]
	v_mov_b32_e32 v3, s38
	s_mov_b32 s16, 0
	s_add_co_i32 s17, 0, 0x18000
	s_add_co_i32 s20, 0, 0x18008
	;; [unrolled: 1-line block ×15, first 2 shown]
	s_wait_dscnt 0x0
	s_barrier_signal -1
	s_barrier_wait -1
	v_cmp_eq_u32_e32 vcc_lo, 0x3ff, v0
	s_branch .LBB151_47
.LBB151_46:                             ;   in Loop: Header=BB151_47 Depth=1
	s_or_b32 exec_lo, exec_lo, s15
	s_wait_dscnt 0x0
	s_barrier_signal -1
	s_barrier_wait -1
	ds_load_b64 v[8:9], v3
	v_add_nc_u32_e32 v36, 0x400, v36
	v_add_nc_u32_e32 v38, 0x4000, v38
	;; [unrolled: 1-line block ×3, first 2 shown]
	s_delay_alu instid0(VALU_DEP_3)
	v_cmp_lt_u32_e64 s15, 0xbff, v36
	s_or_b32 s16, s15, s16
	s_wait_dscnt 0x0
	v_add_nc_u64_e32 v[6:7], v[8:9], v[6:7]
	s_and_not1_b32 exec_lo, exec_lo, s16
	s_cbranch_execz .LBB151_81
.LBB151_47:                             ; =>This Inner Loop Header: Depth=1
	ds_load_b64 v[8:9], v37
	ds_load_2addr_b64 v[10:13], v38 offset1:1
	s_wait_dscnt 0x1
	v_cmp_gt_i64_e64 s15, s[30:31], v[8:9]
	s_wait_dscnt 0x0
	scratch_store_b128 off, v[10:13], off
	s_wait_storecnt 0x0
	s_barrier_signal -1
	s_barrier_wait -1
	s_bcnt1_i32_b32 s43, s15
	s_wait_xcnt 0x0
	v_dual_mov_b32 v4, s43 :: v_dual_bitop2_b32 v10, s15, v2 bitop3:0x40
	s_delay_alu instid0(VALU_DEP_1)
	v_bcnt_u32_b32 v10, v10, 0
	ds_store_b64 v1, v[4:5]
	s_wait_dscnt 0x0
	s_barrier_signal -1
	s_barrier_wait -1
	s_and_saveexec_b32 s43, s0
	s_cbranch_execnz .LBB151_64
; %bb.48:                               ;   in Loop: Header=BB151_47 Depth=1
	s_or_b32 exec_lo, exec_lo, s43
	s_and_saveexec_b32 s43, s1
	s_cbranch_execnz .LBB151_65
.LBB151_49:                             ;   in Loop: Header=BB151_47 Depth=1
	s_or_b32 exec_lo, exec_lo, s43
	s_and_saveexec_b32 s43, s2
	s_cbranch_execnz .LBB151_66
.LBB151_50:                             ;   in Loop: Header=BB151_47 Depth=1
	s_or_b32 exec_lo, exec_lo, s43
	s_and_saveexec_b32 s43, s3
	s_cbranch_execnz .LBB151_67
.LBB151_51:                             ;   in Loop: Header=BB151_47 Depth=1
	s_or_b32 exec_lo, exec_lo, s43
	s_and_saveexec_b32 s43, s4
	s_cbranch_execnz .LBB151_68
.LBB151_52:                             ;   in Loop: Header=BB151_47 Depth=1
	s_or_b32 exec_lo, exec_lo, s43
	s_and_saveexec_b32 s43, s5
	s_cbranch_execnz .LBB151_69
.LBB151_53:                             ;   in Loop: Header=BB151_47 Depth=1
	s_or_b32 exec_lo, exec_lo, s43
	s_and_saveexec_b32 s43, s6
	s_cbranch_execnz .LBB151_70
.LBB151_54:                             ;   in Loop: Header=BB151_47 Depth=1
	s_or_b32 exec_lo, exec_lo, s43
	s_and_saveexec_b32 s43, s7
	s_cbranch_execnz .LBB151_71
.LBB151_55:                             ;   in Loop: Header=BB151_47 Depth=1
	s_or_b32 exec_lo, exec_lo, s43
	s_and_saveexec_b32 s43, s8
	s_cbranch_execnz .LBB151_72
.LBB151_56:                             ;   in Loop: Header=BB151_47 Depth=1
	s_or_b32 exec_lo, exec_lo, s43
	s_and_saveexec_b32 s43, s9
	s_cbranch_execnz .LBB151_73
.LBB151_57:                             ;   in Loop: Header=BB151_47 Depth=1
	s_or_b32 exec_lo, exec_lo, s43
	s_and_saveexec_b32 s43, s10
	s_cbranch_execnz .LBB151_74
.LBB151_58:                             ;   in Loop: Header=BB151_47 Depth=1
	s_or_b32 exec_lo, exec_lo, s43
	s_and_saveexec_b32 s43, s11
	s_cbranch_execnz .LBB151_75
.LBB151_59:                             ;   in Loop: Header=BB151_47 Depth=1
	s_or_b32 exec_lo, exec_lo, s43
	s_and_saveexec_b32 s43, s12
	s_cbranch_execnz .LBB151_76
.LBB151_60:                             ;   in Loop: Header=BB151_47 Depth=1
	s_or_b32 exec_lo, exec_lo, s43
	s_and_saveexec_b32 s43, s13
	s_cbranch_execnz .LBB151_77
.LBB151_61:                             ;   in Loop: Header=BB151_47 Depth=1
	s_or_b32 exec_lo, exec_lo, s43
	s_and_saveexec_b32 s43, s14
	s_cbranch_execnz .LBB151_78
.LBB151_62:                             ;   in Loop: Header=BB151_47 Depth=1
	s_or_b32 exec_lo, exec_lo, s43
	v_ashrrev_i32_e32 v11, 31, v10
	s_and_saveexec_b32 s43, s15
	s_cbranch_execnz .LBB151_79
.LBB151_63:                             ;   in Loop: Header=BB151_47 Depth=1
	s_or_b32 exec_lo, exec_lo, s43
	s_and_saveexec_b32 s15, vcc_lo
	s_cbranch_execz .LBB151_46
	s_branch .LBB151_80
.LBB151_64:                             ;   in Loop: Header=BB151_47 Depth=1
	v_mov_b32_e32 v4, s17
	ds_load_b32 v4, v4
	s_wait_dscnt 0x0
	v_add_nc_u32_e32 v10, v4, v10
	s_or_b32 exec_lo, exec_lo, s43
	s_and_saveexec_b32 s43, s1
	s_cbranch_execz .LBB151_49
.LBB151_65:                             ;   in Loop: Header=BB151_47 Depth=1
	v_mov_b32_e32 v4, s20
	ds_load_b32 v4, v4
	s_wait_dscnt 0x0
	v_add_nc_u32_e32 v10, v10, v4
	s_or_b32 exec_lo, exec_lo, s43
	s_and_saveexec_b32 s43, s2
	s_cbranch_execz .LBB151_50
.LBB151_66:                             ;   in Loop: Header=BB151_47 Depth=1
	v_mov_b32_e32 v4, s21
	ds_load_b32 v4, v4
	s_wait_dscnt 0x0
	v_add_nc_u32_e32 v10, v10, v4
	s_or_b32 exec_lo, exec_lo, s43
	s_and_saveexec_b32 s43, s3
	s_cbranch_execz .LBB151_51
.LBB151_67:                             ;   in Loop: Header=BB151_47 Depth=1
	v_mov_b32_e32 v4, s23
	ds_load_b32 v4, v4
	s_wait_dscnt 0x0
	v_add_nc_u32_e32 v10, v10, v4
	s_or_b32 exec_lo, exec_lo, s43
	s_and_saveexec_b32 s43, s4
	s_cbranch_execz .LBB151_52
.LBB151_68:                             ;   in Loop: Header=BB151_47 Depth=1
	v_mov_b32_e32 v4, s24
	ds_load_b32 v4, v4
	s_wait_dscnt 0x0
	v_add_nc_u32_e32 v10, v10, v4
	s_or_b32 exec_lo, exec_lo, s43
	s_and_saveexec_b32 s43, s5
	s_cbranch_execz .LBB151_53
.LBB151_69:                             ;   in Loop: Header=BB151_47 Depth=1
	v_mov_b32_e32 v4, s25
	ds_load_b32 v4, v4
	s_wait_dscnt 0x0
	v_add_nc_u32_e32 v10, v10, v4
	s_or_b32 exec_lo, exec_lo, s43
	s_and_saveexec_b32 s43, s6
	s_cbranch_execz .LBB151_54
.LBB151_70:                             ;   in Loop: Header=BB151_47 Depth=1
	v_mov_b32_e32 v4, s26
	ds_load_b32 v4, v4
	s_wait_dscnt 0x0
	v_add_nc_u32_e32 v10, v10, v4
	s_or_b32 exec_lo, exec_lo, s43
	s_and_saveexec_b32 s43, s7
	s_cbranch_execz .LBB151_55
.LBB151_71:                             ;   in Loop: Header=BB151_47 Depth=1
	v_mov_b32_e32 v4, s27
	ds_load_b32 v4, v4
	s_wait_dscnt 0x0
	v_add_nc_u32_e32 v10, v10, v4
	s_or_b32 exec_lo, exec_lo, s43
	s_and_saveexec_b32 s43, s8
	s_cbranch_execz .LBB151_56
.LBB151_72:                             ;   in Loop: Header=BB151_47 Depth=1
	v_mov_b32_e32 v4, s33
	ds_load_b32 v4, v4
	s_wait_dscnt 0x0
	v_add_nc_u32_e32 v10, v10, v4
	s_or_b32 exec_lo, exec_lo, s43
	s_and_saveexec_b32 s43, s9
	s_cbranch_execz .LBB151_57
.LBB151_73:                             ;   in Loop: Header=BB151_47 Depth=1
	v_mov_b32_e32 v4, s36
	ds_load_b32 v4, v4
	s_wait_dscnt 0x0
	v_add_nc_u32_e32 v10, v10, v4
	s_or_b32 exec_lo, exec_lo, s43
	s_and_saveexec_b32 s43, s10
	s_cbranch_execz .LBB151_58
.LBB151_74:                             ;   in Loop: Header=BB151_47 Depth=1
	v_mov_b32_e32 v4, s37
	ds_load_b32 v4, v4
	s_wait_dscnt 0x0
	v_add_nc_u32_e32 v10, v10, v4
	s_or_b32 exec_lo, exec_lo, s43
	s_and_saveexec_b32 s43, s11
	s_cbranch_execz .LBB151_59
.LBB151_75:                             ;   in Loop: Header=BB151_47 Depth=1
	v_mov_b32_e32 v4, s39
	ds_load_b32 v4, v4
	s_wait_dscnt 0x0
	v_add_nc_u32_e32 v10, v10, v4
	s_or_b32 exec_lo, exec_lo, s43
	s_and_saveexec_b32 s43, s12
	s_cbranch_execz .LBB151_60
.LBB151_76:                             ;   in Loop: Header=BB151_47 Depth=1
	v_mov_b32_e32 v4, s40
	ds_load_b32 v4, v4
	s_wait_dscnt 0x0
	v_add_nc_u32_e32 v10, v10, v4
	s_or_b32 exec_lo, exec_lo, s43
	s_and_saveexec_b32 s43, s13
	s_cbranch_execz .LBB151_61
.LBB151_77:                             ;   in Loop: Header=BB151_47 Depth=1
	v_mov_b32_e32 v4, s41
	ds_load_b32 v4, v4
	s_wait_dscnt 0x0
	v_add_nc_u32_e32 v10, v10, v4
	s_or_b32 exec_lo, exec_lo, s43
	s_and_saveexec_b32 s43, s14
	s_cbranch_execz .LBB151_62
.LBB151_78:                             ;   in Loop: Header=BB151_47 Depth=1
	v_mov_b32_e32 v4, s42
	ds_load_b32 v4, v4
	s_wait_dscnt 0x0
	v_add_nc_u32_e32 v10, v10, v4
	s_or_b32 exec_lo, exec_lo, s43
	s_delay_alu instid0(VALU_DEP_1)
	v_ashrrev_i32_e32 v11, 31, v10
	s_and_saveexec_b32 s43, s15
	s_cbranch_execz .LBB151_63
.LBB151_79:                             ;   in Loop: Header=BB151_47 Depth=1
	scratch_load_b128 v[12:15], off, off
	v_add3_u32 v4, v6, -1, v10
	v_add_lshl_u32 v16, v6, v10, 4
	s_delay_alu instid0(VALU_DEP_2) | instskip(NEXT) | instid1(VALU_DEP_2)
	v_lshl_add_u32 v4, v4, 3, 0
	v_add3_u32 v16, 0, v16, 0x7ff0
	ds_store_b64 v4, v[8:9]
	s_wait_loadcnt 0x0
	ds_store_2addr_b64 v16, v[12:13], v[14:15] offset1:1
	s_or_b32 exec_lo, exec_lo, s43
	s_and_saveexec_b32 s15, vcc_lo
	s_cbranch_execz .LBB151_46
.LBB151_80:                             ;   in Loop: Header=BB151_47 Depth=1
	v_mov_b32_e32 v4, s38
	ds_store_b64 v4, v[10:11]
	s_branch .LBB151_46
.LBB151_81:
	s_or_b32 exec_lo, exec_lo, s16
	s_wait_kmcnt 0x0
	s_lshl_b64 s[0:1], s[34:35], 3
	v_mov_b32_e32 v1, 0
	s_add_nc_u64 s[4:5], s[18:19], s[0:1]
	s_mov_b32 s6, exec_lo
	s_load_b128 s[0:3], s[4:5], 0x0
	s_wait_kmcnt 0x0
	s_sub_nc_u64 s[4:5], s[2:3], s[0:1]
	s_delay_alu instid0(SALU_CYCLE_1)
	v_cmpx_gt_i64_e64 s[4:5], v[0:1]
	s_cbranch_execz .LBB151_91
; %bb.82:
	s_sub_nc_u64 s[8:9], s[0:1], s[2:3]
	s_and_b64 s[6:7], s[4:5], 7
	v_cmp_lt_u64_e64 s10, s[8:9], -7
	s_and_b64 s[2:3], s[4:5], -8
	s_mov_b32 s23, 0
	s_cmp_lg_u64 s[6:7], 0
	s_sub_nc_u64 s[0:1], s[0:1], s[22:23]
	s_cselect_b32 s11, -1, 0
	s_mov_b32 s12, 0
	s_branch .LBB151_84
.LBB151_83:                             ;   in Loop: Header=BB151_84 Depth=1
	s_wait_dscnt 0x0
	v_lshlrev_b32_e32 v2, 3, v0
	v_add_nc_u64_e32 v[0:1], 0x400, v[0:1]
	s_delay_alu instid0(VALU_DEP_2) | instskip(NEXT) | instid1(VALU_DEP_2)
	v_add3_u32 v2, v6, v2, 0x8000
	v_cmp_le_i64_e32 vcc_lo, s[4:5], v[0:1]
	ds_load_2addr_b64 v[6:9], v2 offset1:1
	v_lshl_add_u64 v[2:3], v[4:5], 4, s[28:29]
	s_or_b32 s12, vcc_lo, s12
	s_wait_dscnt 0x0
	global_store_b128 v[2:3], v[6:9], off
	s_wait_xcnt 0x0
	s_and_not1_b32 exec_lo, exec_lo, s12
	s_cbranch_execz .LBB151_91
.LBB151_84:                             ; =>This Loop Header: Depth=1
                                        ;     Child Loop BB151_86 Depth 2
                                        ;     Child Loop BB151_90 Depth 2
	v_lshl_add_u32 v6, v0, 3, 0
	v_mov_b64_e32 v[4:5], s[0:1]
	s_and_not1_b32 vcc_lo, exec_lo, s10
	s_mov_b64 s[8:9], 0
	ds_load_b64 v[2:3], v6
	s_cbranch_vccnz .LBB151_88
; %bb.85:                               ;   in Loop: Header=BB151_84 Depth=1
	v_mov_b64_e32 v[4:5], s[0:1]
	s_mov_b32 s13, 0
.LBB151_86:                             ;   Parent Loop BB151_84 Depth=1
                                        ; =>  This Inner Loop Header: Depth=2
	s_delay_alu instid0(SALU_CYCLE_1)
	v_dual_mov_b32 v7, s13 :: v_dual_mov_b32 v17, s23
	s_add_nc_u64 s[8:9], s[8:9], 8
	s_add_co_i32 s13, s13, 64
	s_cmp_eq_u64 s[2:3], s[8:9]
	ds_load_2addr_b64 v[8:11], v7 offset1:1
	ds_load_2addr_b64 v[12:15], v7 offset0:2 offset1:3
	s_wait_dscnt 0x1
	v_cmp_gt_i64_e32 vcc_lo, v[2:3], v[8:9]
	v_cndmask_b32_e64 v16, 0, 1, vcc_lo
	v_cmp_gt_i64_e32 vcc_lo, v[2:3], v[10:11]
	ds_load_2addr_b64 v[8:11], v7 offset0:4 offset1:5
	v_add_nc_u64_e32 v[4:5], v[4:5], v[16:17]
	v_cndmask_b32_e64 v18, 0, 1, vcc_lo
	s_wait_dscnt 0x1
	v_cmp_gt_i64_e32 vcc_lo, v[2:3], v[12:13]
	v_cndmask_b32_e64 v16, 0, 1, vcc_lo
	v_cmp_gt_i64_e32 vcc_lo, v[2:3], v[14:15]
	ds_load_2addr_b64 v[12:15], v7 offset0:6 offset1:7
	v_mov_b32_e32 v19, s23
	s_delay_alu instid0(VALU_DEP_1) | instskip(SKIP_4) | instid1(VALU_DEP_4)
	v_add_nc_u64_e32 v[4:5], v[4:5], v[18:19]
	v_cndmask_b32_e64 v18, 0, 1, vcc_lo
	s_wait_dscnt 0x1
	v_cmp_gt_i64_e32 vcc_lo, v[2:3], v[8:9]
	v_mov_b32_e32 v9, s23
	v_add_nc_u64_e32 v[4:5], v[4:5], v[16:17]
	v_cndmask_b32_e64 v16, 0, 1, vcc_lo
	v_cmp_gt_i64_e32 vcc_lo, v[2:3], v[10:11]
	v_mov_b32_e32 v11, s23
	s_delay_alu instid0(VALU_DEP_4) | instskip(SKIP_3) | instid1(VALU_DEP_3)
	v_add_nc_u64_e32 v[4:5], v[4:5], v[18:19]
	v_cndmask_b32_e64 v8, 0, 1, vcc_lo
	s_wait_dscnt 0x0
	v_cmp_gt_i64_e32 vcc_lo, v[2:3], v[12:13]
	v_add_nc_u64_e32 v[4:5], v[4:5], v[16:17]
	v_cndmask_b32_e64 v10, 0, 1, vcc_lo
	v_cmp_gt_i64_e32 vcc_lo, v[2:3], v[14:15]
	s_delay_alu instid0(VALU_DEP_3) | instskip(SKIP_1) | instid1(VALU_DEP_2)
	v_add_nc_u64_e32 v[4:5], v[4:5], v[8:9]
	v_cndmask_b32_e64 v8, 0, 1, vcc_lo
	v_add_nc_u64_e32 v[4:5], v[4:5], v[10:11]
	s_delay_alu instid0(VALU_DEP_1)
	v_add_nc_u64_e32 v[4:5], v[4:5], v[8:9]
	s_cbranch_scc0 .LBB151_86
; %bb.87:                               ;   in Loop: Header=BB151_84 Depth=1
	s_mov_b64 s[8:9], s[2:3]
.LBB151_88:                             ;   in Loop: Header=BB151_84 Depth=1
	s_and_not1_b32 vcc_lo, exec_lo, s11
	s_cbranch_vccnz .LBB151_83
; %bb.89:                               ;   in Loop: Header=BB151_84 Depth=1
	s_lshl_b32 s8, s8, 3
	s_delay_alu instid0(SALU_CYCLE_1)
	s_add_co_i32 s13, s8, 0
	s_mov_b64 s[8:9], s[6:7]
.LBB151_90:                             ;   Parent Loop BB151_84 Depth=1
                                        ; =>  This Inner Loop Header: Depth=2
	v_dual_mov_b32 v7, s13 :: v_dual_mov_b32 v11, s23
	s_add_nc_u64 s[8:9], s[8:9], -1
	s_add_co_i32 s13, s13, 8
	s_cmp_lg_u64 s[8:9], 0
	ds_load_b64 v[8:9], v7
	s_wait_dscnt 0x0
	v_cmp_gt_i64_e32 vcc_lo, v[2:3], v[8:9]
	v_cndmask_b32_e64 v10, 0, 1, vcc_lo
	s_delay_alu instid0(VALU_DEP_1)
	v_add_nc_u64_e32 v[4:5], v[4:5], v[10:11]
	s_cbranch_scc1 .LBB151_90
	s_branch .LBB151_83
.LBB151_91:
	s_endpgm
	.section	.rodata,"a",@progbits
	.p2align	6, 0x0
	.amdhsa_kernel _ZN9rocsparseL41csrgemm_numeric_fill_block_per_row_kernelILj1024ELj64ELj4096ELj137ELj64Ell21rocsparse_complex_numIdEEEvT5_PKS3_S5_NS_24const_host_device_scalarIT6_EEPKT4_S5_PKS7_SB_S5_SD_S8_SB_S5_SD_SB_S5_PS7_21rocsparse_index_base_SF_SF_SF_bbb
		.amdhsa_group_segment_fixed_size 0
		.amdhsa_private_segment_fixed_size 40
		.amdhsa_kernarg_size 172
		.amdhsa_user_sgpr_count 2
		.amdhsa_user_sgpr_dispatch_ptr 0
		.amdhsa_user_sgpr_queue_ptr 0
		.amdhsa_user_sgpr_kernarg_segment_ptr 1
		.amdhsa_user_sgpr_dispatch_id 0
		.amdhsa_user_sgpr_kernarg_preload_length 0
		.amdhsa_user_sgpr_kernarg_preload_offset 0
		.amdhsa_user_sgpr_private_segment_size 0
		.amdhsa_wavefront_size32 1
		.amdhsa_uses_dynamic_stack 0
		.amdhsa_enable_private_segment 1
		.amdhsa_system_sgpr_workgroup_id_x 1
		.amdhsa_system_sgpr_workgroup_id_y 0
		.amdhsa_system_sgpr_workgroup_id_z 0
		.amdhsa_system_sgpr_workgroup_info 0
		.amdhsa_system_vgpr_workitem_id 0
		.amdhsa_next_free_vgpr 40
		.amdhsa_next_free_sgpr 45
		.amdhsa_named_barrier_count 0
		.amdhsa_reserve_vcc 1
		.amdhsa_float_round_mode_32 0
		.amdhsa_float_round_mode_16_64 0
		.amdhsa_float_denorm_mode_32 3
		.amdhsa_float_denorm_mode_16_64 3
		.amdhsa_fp16_overflow 0
		.amdhsa_memory_ordered 1
		.amdhsa_forward_progress 1
		.amdhsa_inst_pref_size 31
		.amdhsa_round_robin_scheduling 0
		.amdhsa_exception_fp_ieee_invalid_op 0
		.amdhsa_exception_fp_denorm_src 0
		.amdhsa_exception_fp_ieee_div_zero 0
		.amdhsa_exception_fp_ieee_overflow 0
		.amdhsa_exception_fp_ieee_underflow 0
		.amdhsa_exception_fp_ieee_inexact 0
		.amdhsa_exception_int_div_zero 0
	.end_amdhsa_kernel
	.section	.text._ZN9rocsparseL41csrgemm_numeric_fill_block_per_row_kernelILj1024ELj64ELj4096ELj137ELj64Ell21rocsparse_complex_numIdEEEvT5_PKS3_S5_NS_24const_host_device_scalarIT6_EEPKT4_S5_PKS7_SB_S5_SD_S8_SB_S5_SD_SB_S5_PS7_21rocsparse_index_base_SF_SF_SF_bbb,"axG",@progbits,_ZN9rocsparseL41csrgemm_numeric_fill_block_per_row_kernelILj1024ELj64ELj4096ELj137ELj64Ell21rocsparse_complex_numIdEEEvT5_PKS3_S5_NS_24const_host_device_scalarIT6_EEPKT4_S5_PKS7_SB_S5_SD_S8_SB_S5_SD_SB_S5_PS7_21rocsparse_index_base_SF_SF_SF_bbb,comdat
.Lfunc_end151:
	.size	_ZN9rocsparseL41csrgemm_numeric_fill_block_per_row_kernelILj1024ELj64ELj4096ELj137ELj64Ell21rocsparse_complex_numIdEEEvT5_PKS3_S5_NS_24const_host_device_scalarIT6_EEPKT4_S5_PKS7_SB_S5_SD_S8_SB_S5_SD_SB_S5_PS7_21rocsparse_index_base_SF_SF_SF_bbb, .Lfunc_end151-_ZN9rocsparseL41csrgemm_numeric_fill_block_per_row_kernelILj1024ELj64ELj4096ELj137ELj64Ell21rocsparse_complex_numIdEEEvT5_PKS3_S5_NS_24const_host_device_scalarIT6_EEPKT4_S5_PKS7_SB_S5_SD_S8_SB_S5_SD_SB_S5_PS7_21rocsparse_index_base_SF_SF_SF_bbb
                                        ; -- End function
	.set _ZN9rocsparseL41csrgemm_numeric_fill_block_per_row_kernelILj1024ELj64ELj4096ELj137ELj64Ell21rocsparse_complex_numIdEEEvT5_PKS3_S5_NS_24const_host_device_scalarIT6_EEPKT4_S5_PKS7_SB_S5_SD_S8_SB_S5_SD_SB_S5_PS7_21rocsparse_index_base_SF_SF_SF_bbb.num_vgpr, 40
	.set _ZN9rocsparseL41csrgemm_numeric_fill_block_per_row_kernelILj1024ELj64ELj4096ELj137ELj64Ell21rocsparse_complex_numIdEEEvT5_PKS3_S5_NS_24const_host_device_scalarIT6_EEPKT4_S5_PKS7_SB_S5_SD_S8_SB_S5_SD_SB_S5_PS7_21rocsparse_index_base_SF_SF_SF_bbb.num_agpr, 0
	.set _ZN9rocsparseL41csrgemm_numeric_fill_block_per_row_kernelILj1024ELj64ELj4096ELj137ELj64Ell21rocsparse_complex_numIdEEEvT5_PKS3_S5_NS_24const_host_device_scalarIT6_EEPKT4_S5_PKS7_SB_S5_SD_S8_SB_S5_SD_SB_S5_PS7_21rocsparse_index_base_SF_SF_SF_bbb.numbered_sgpr, 45
	.set _ZN9rocsparseL41csrgemm_numeric_fill_block_per_row_kernelILj1024ELj64ELj4096ELj137ELj64Ell21rocsparse_complex_numIdEEEvT5_PKS3_S5_NS_24const_host_device_scalarIT6_EEPKT4_S5_PKS7_SB_S5_SD_S8_SB_S5_SD_SB_S5_PS7_21rocsparse_index_base_SF_SF_SF_bbb.num_named_barrier, 0
	.set _ZN9rocsparseL41csrgemm_numeric_fill_block_per_row_kernelILj1024ELj64ELj4096ELj137ELj64Ell21rocsparse_complex_numIdEEEvT5_PKS3_S5_NS_24const_host_device_scalarIT6_EEPKT4_S5_PKS7_SB_S5_SD_S8_SB_S5_SD_SB_S5_PS7_21rocsparse_index_base_SF_SF_SF_bbb.private_seg_size, 40
	.set _ZN9rocsparseL41csrgemm_numeric_fill_block_per_row_kernelILj1024ELj64ELj4096ELj137ELj64Ell21rocsparse_complex_numIdEEEvT5_PKS3_S5_NS_24const_host_device_scalarIT6_EEPKT4_S5_PKS7_SB_S5_SD_S8_SB_S5_SD_SB_S5_PS7_21rocsparse_index_base_SF_SF_SF_bbb.uses_vcc, 1
	.set _ZN9rocsparseL41csrgemm_numeric_fill_block_per_row_kernelILj1024ELj64ELj4096ELj137ELj64Ell21rocsparse_complex_numIdEEEvT5_PKS3_S5_NS_24const_host_device_scalarIT6_EEPKT4_S5_PKS7_SB_S5_SD_S8_SB_S5_SD_SB_S5_PS7_21rocsparse_index_base_SF_SF_SF_bbb.uses_flat_scratch, 1
	.set _ZN9rocsparseL41csrgemm_numeric_fill_block_per_row_kernelILj1024ELj64ELj4096ELj137ELj64Ell21rocsparse_complex_numIdEEEvT5_PKS3_S5_NS_24const_host_device_scalarIT6_EEPKT4_S5_PKS7_SB_S5_SD_S8_SB_S5_SD_SB_S5_PS7_21rocsparse_index_base_SF_SF_SF_bbb.has_dyn_sized_stack, 0
	.set _ZN9rocsparseL41csrgemm_numeric_fill_block_per_row_kernelILj1024ELj64ELj4096ELj137ELj64Ell21rocsparse_complex_numIdEEEvT5_PKS3_S5_NS_24const_host_device_scalarIT6_EEPKT4_S5_PKS7_SB_S5_SD_S8_SB_S5_SD_SB_S5_PS7_21rocsparse_index_base_SF_SF_SF_bbb.has_recursion, 0
	.set _ZN9rocsparseL41csrgemm_numeric_fill_block_per_row_kernelILj1024ELj64ELj4096ELj137ELj64Ell21rocsparse_complex_numIdEEEvT5_PKS3_S5_NS_24const_host_device_scalarIT6_EEPKT4_S5_PKS7_SB_S5_SD_S8_SB_S5_SD_SB_S5_PS7_21rocsparse_index_base_SF_SF_SF_bbb.has_indirect_call, 0
	.section	.AMDGPU.csdata,"",@progbits
; Kernel info:
; codeLenInByte = 3844
; TotalNumSgprs: 47
; NumVgprs: 40
; ScratchSize: 40
; MemoryBound: 0
; FloatMode: 240
; IeeeMode: 1
; LDSByteSize: 0 bytes/workgroup (compile time only)
; SGPRBlocks: 0
; VGPRBlocks: 2
; NumSGPRsForWavesPerEU: 47
; NumVGPRsForWavesPerEU: 40
; NamedBarCnt: 0
; Occupancy: 16
; WaveLimiterHint : 1
; COMPUTE_PGM_RSRC2:SCRATCH_EN: 1
; COMPUTE_PGM_RSRC2:USER_SGPR: 2
; COMPUTE_PGM_RSRC2:TRAP_HANDLER: 0
; COMPUTE_PGM_RSRC2:TGID_X_EN: 1
; COMPUTE_PGM_RSRC2:TGID_Y_EN: 0
; COMPUTE_PGM_RSRC2:TGID_Z_EN: 0
; COMPUTE_PGM_RSRC2:TIDIG_COMP_CNT: 0
	.section	.text._ZN9rocsparseL41csrgemm_numeric_fill_block_per_row_kernelILj1024ELj64ELj8192ELj137ELj32Ell21rocsparse_complex_numIdEEEvT5_PKS3_S5_NS_24const_host_device_scalarIT6_EEPKT4_S5_PKS7_SB_S5_SD_S8_SB_S5_SD_SB_S5_PS7_21rocsparse_index_base_SF_SF_SF_bbb,"axG",@progbits,_ZN9rocsparseL41csrgemm_numeric_fill_block_per_row_kernelILj1024ELj64ELj8192ELj137ELj32Ell21rocsparse_complex_numIdEEEvT5_PKS3_S5_NS_24const_host_device_scalarIT6_EEPKT4_S5_PKS7_SB_S5_SD_S8_SB_S5_SD_SB_S5_PS7_21rocsparse_index_base_SF_SF_SF_bbb,comdat
	.globl	_ZN9rocsparseL41csrgemm_numeric_fill_block_per_row_kernelILj1024ELj64ELj8192ELj137ELj32Ell21rocsparse_complex_numIdEEEvT5_PKS3_S5_NS_24const_host_device_scalarIT6_EEPKT4_S5_PKS7_SB_S5_SD_S8_SB_S5_SD_SB_S5_PS7_21rocsparse_index_base_SF_SF_SF_bbb ; -- Begin function _ZN9rocsparseL41csrgemm_numeric_fill_block_per_row_kernelILj1024ELj64ELj8192ELj137ELj32Ell21rocsparse_complex_numIdEEEvT5_PKS3_S5_NS_24const_host_device_scalarIT6_EEPKT4_S5_PKS7_SB_S5_SD_S8_SB_S5_SD_SB_S5_PS7_21rocsparse_index_base_SF_SF_SF_bbb
	.p2align	8
	.type	_ZN9rocsparseL41csrgemm_numeric_fill_block_per_row_kernelILj1024ELj64ELj8192ELj137ELj32Ell21rocsparse_complex_numIdEEEvT5_PKS3_S5_NS_24const_host_device_scalarIT6_EEPKT4_S5_PKS7_SB_S5_SD_S8_SB_S5_SD_SB_S5_PS7_21rocsparse_index_base_SF_SF_SF_bbb,@function
_ZN9rocsparseL41csrgemm_numeric_fill_block_per_row_kernelILj1024ELj64ELj8192ELj137ELj32Ell21rocsparse_complex_numIdEEEvT5_PKS3_S5_NS_24const_host_device_scalarIT6_EEPKT4_S5_PKS7_SB_S5_SD_S8_SB_S5_SD_SB_S5_PS7_21rocsparse_index_base_SF_SF_SF_bbb: ; @_ZN9rocsparseL41csrgemm_numeric_fill_block_per_row_kernelILj1024ELj64ELj8192ELj137ELj32Ell21rocsparse_complex_numIdEEEvT5_PKS3_S5_NS_24const_host_device_scalarIT6_EEPKT4_S5_PKS7_SB_S5_SD_S8_SB_S5_SD_SB_S5_PS7_21rocsparse_index_base_SF_SF_SF_bbb
; %bb.0:
	s_clause 0x4
	s_load_b32 s3, s[0:1], 0xa8
	s_load_b128 s[8:11], s[0:1], 0x18
	s_load_b128 s[4:7], s[0:1], 0x58
	s_load_b64 s[12:13], s[0:1], 0x8
	s_load_b128 s[36:39], s[0:1], 0x98
	v_mov_b64_e32 v[6:7], 0
	v_mov_b64_e32 v[10:11], 0
	;; [unrolled: 1-line block ×3, first 2 shown]
	v_mbcnt_lo_u32_b32 v35, -1, 0
	s_wait_kmcnt 0x0
	s_bitcmp1_b32 s3, 0
	v_mov_b64_e32 v[2:3], s[8:9]
	s_cselect_b32 s14, -1, 0
	s_bitcmp1_b32 s3, 16
	v_mov_b64_e32 v[4:5], s[4:5]
	s_cselect_b32 s2, -1, 0
	s_clause 0x1
	scratch_store_b64 off, v[2:3], off offset:16
	scratch_store_b64 off, v[4:5], off offset:24
	s_xor_b32 s15, s2, -1
	s_bitcmp0_b32 s3, 0
	v_cndmask_b32_e64 v1, 0, 1, s15
	s_delay_alu instid0(VALU_DEP_1)
	v_cmp_ne_u32_e32 vcc_lo, 1, v1
	s_cbranch_scc1 .LBB152_3
; %bb.1:
	s_wait_xcnt 0x1
	v_dual_mov_b32 v2, 16 :: v_dual_lshlrev_b32 v3, 20, v35
	v_mov_b64_e32 v[12:13], s[10:11]
	s_and_b32 vcc_lo, exec_lo, vcc_lo
	s_delay_alu instid0(VALU_DEP_2) | instskip(NEXT) | instid1(VALU_DEP_1)
	v_add_nc_u64_e32 v[2:3], src_flat_scratch_base_lo, v[2:3]
	v_cndmask_b32_e64 v3, s9, v3, s2
	s_delay_alu instid0(VALU_DEP_2)
	v_cndmask_b32_e64 v2, s8, v2, s2
	flat_load_b64 v[10:11], v[2:3]
	s_cbranch_vccnz .LBB152_3
; %bb.2:
	v_mov_b32_e32 v1, 0
	flat_load_b64 v[12:13], v1, s[8:9] offset:8
.LBB152_3:
	s_wait_xcnt 0x0
	s_load_b64 s[8:9], s[0:1], 0x10
	v_mov_b64_e32 v[8:9], 0
	s_bitcmp1_b32 s3, 8
	s_cselect_b32 s18, -1, 0
	s_bfe_u32 s3, s3, 0x10008
	s_delay_alu instid0(SALU_CYCLE_1)
	s_cmp_eq_u32 s3, 0
	s_cbranch_scc1 .LBB152_6
; %bb.4:
	v_dual_mov_b32 v2, 24 :: v_dual_lshlrev_b32 v3, 20, v35
	v_mov_b64_e32 v[6:7], s[6:7]
	s_and_not1_b32 vcc_lo, exec_lo, s15
	s_delay_alu instid0(VALU_DEP_2) | instskip(NEXT) | instid1(VALU_DEP_1)
	v_add_nc_u64_e32 v[2:3], src_flat_scratch_base_lo, v[2:3]
	v_cndmask_b32_e64 v3, s5, v3, s2
	s_delay_alu instid0(VALU_DEP_2)
	v_cndmask_b32_e64 v2, s4, v2, s2
	flat_load_b64 v[8:9], v[2:3]
	s_cbranch_vccnz .LBB152_6
; %bb.5:
	v_mov_b32_e32 v1, 0
	flat_load_b64 v[6:7], v1, s[4:5] offset:8
.LBB152_6:
	s_load_b64 s[34:35], s[0:1], 0x0
	v_lshl_add_u32 v1, v0, 4, 0
	s_mov_b32 s3, 0
	v_lshl_add_u32 v34, v0, 3, 0
	s_mov_b32 s2, s3
	s_mov_b32 s4, s3
	v_add_nc_u32_e32 v14, 0x10000, v1
	s_mov_b32 s5, s3
	v_mov_b64_e32 v[2:3], s[2:3]
	v_mov_b64_e32 v[4:5], s[4:5]
	v_add_nc_u32_e32 v26, 0x20000, v1
	v_add_nc_u32_e32 v15, 0x4000, v14
	;; [unrolled: 1-line block ×4, first 2 shown]
	ds_store_2addr_b64 v14, v[2:3], v[4:5] offset1:1
	ds_store_2addr_b64 v15, v[2:3], v[4:5] offset1:1
	s_bfe_u32 s2, ttmp6, 0x4000c
	s_and_b32 s6, ttmp6, 15
	s_add_co_i32 s2, s2, 1
	s_wait_kmcnt 0x0
	v_mov_b64_e32 v[14:15], s[34:35]
	v_mov_b64_e32 v[16:17], s[34:35]
	;; [unrolled: 1-line block ×6, first 2 shown]
	ds_store_2addr_b64 v27, v[2:3], v[4:5] offset1:1
	ds_store_2addr_b64 v28, v[2:3], v[4:5] offset1:1
	ds_store_2addr_stride64_b64 v34, v[14:15], v[16:17] offset1:16
	ds_store_2addr_stride64_b64 v34, v[18:19], v[20:21] offset0:32 offset1:48
	ds_store_2addr_stride64_b64 v34, v[22:23], v[24:25] offset0:64 offset1:80
	v_add_nc_u32_e32 v18, 0x24000, v1
	v_add_nc_u32_e32 v19, 0x28000, v1
	;; [unrolled: 1-line block ×3, first 2 shown]
	ds_store_2addr_b64 v26, v[2:3], v[4:5] offset1:1
	ds_store_2addr_b64 v18, v[2:3], v[4:5] offset1:1
	ds_store_2addr_stride64_b64 v34, v[14:15], v[16:17] offset0:96 offset1:112
	ds_store_2addr_b64 v19, v[2:3], v[4:5] offset1:1
	ds_store_2addr_b64 v1, v[2:3], v[4:5] offset1:1
	s_wait_storecnt 0x0
	s_wait_loadcnt_dscnt 0x0
	s_barrier_signal -1
	s_barrier_wait -1
	s_load_b64 s[4:5], s[12:13], 0x0
	s_mul_i32 s2, ttmp9, s2
	s_getreg_b32 s7, hwreg(HW_REG_IB_STS2, 6, 4)
	s_add_co_i32 s6, s6, s2
	s_wait_kmcnt 0x0
	s_lshl_b64 s[4:5], s[4:5], 3
	s_cmp_eq_u32 s7, 0
	s_add_nc_u64 s[4:5], s[8:9], s[4:5]
	s_cselect_b32 s2, ttmp9, s6
	s_and_not1_b32 vcc_lo, exec_lo, s14
	s_load_b64 s[40:41], s[4:5], s2 offset:0x0 scale_offset
	s_cbranch_vccnz .LBB152_26
; %bb.7:
	s_wait_xcnt 0x0
	s_load_b64 s[4:5], s[0:1], 0x28
	s_wait_kmcnt 0x0
	s_lshl_b64 s[6:7], s[40:41], 3
	v_dual_mov_b32 v3, 0 :: v_dual_lshrrev_b32 v2, 6, v0
	s_mov_b32 s2, s36
	s_mov_b32 s19, exec_lo
	s_delay_alu instid0(VALU_DEP_1) | instskip(SKIP_3) | instid1(VALU_DEP_1)
	v_sub_nc_u64_e64 v[4:5], v[2:3], s[2:3]
	s_add_nc_u64 s[8:9], s[4:5], s[6:7]
	s_load_b128 s[4:7], s[8:9], 0x0
	s_wait_kmcnt 0x0
	v_add_nc_u64_e32 v[14:15], s[4:5], v[4:5]
	s_sub_nc_u64 s[12:13], s[6:7], s[2:3]
	s_delay_alu instid0(VALU_DEP_1) | instid1(SALU_CYCLE_1)
	v_cmpx_gt_i64_e64 s[12:13], v[14:15]
	s_cbranch_execz .LBB152_25
; %bb.8:
	s_clause 0x1
	s_load_b64 s[14:15], s[0:1], 0x50
	s_load_b256 s[4:11], s[0:1], 0x30
	v_and_b32_e32 v2, 63, v0
	s_mov_b32 s17, 0
	s_mov_b32 s16, s37
	;; [unrolled: 1-line block ×3, first 2 shown]
	s_delay_alu instid0(VALU_DEP_1)
	v_sub_nc_u64_e64 v[16:17], v[2:3], s[16:17]
	s_branch .LBB152_10
.LBB152_9:                              ;   in Loop: Header=BB152_10 Depth=1
	s_or_b32 exec_lo, exec_lo, s21
	v_add_nc_u64_e32 v[14:15], 16, v[14:15]
	s_delay_alu instid0(VALU_DEP_1) | instskip(SKIP_1) | instid1(SALU_CYCLE_1)
	v_cmp_le_i64_e32 vcc_lo, s[12:13], v[14:15]
	s_or_b32 s20, vcc_lo, s20
	s_and_not1_b32 exec_lo, exec_lo, s20
	s_cbranch_execz .LBB152_25
.LBB152_10:                             ; =>This Loop Header: Depth=1
                                        ;     Child Loop BB152_14 Depth 2
                                        ;       Child Loop BB152_17 Depth 3
	s_wait_kmcnt 0x0
	v_lshl_add_u64 v[2:3], v[14:15], 3, s[4:5]
	s_mov_b32 s21, exec_lo
	global_load_b64 v[2:3], v[2:3], off
	s_wait_loadcnt 0x0
	s_wait_xcnt 0x0
	v_sub_nc_u64_e64 v[2:3], v[2:3], s[2:3]
	s_delay_alu instid0(VALU_DEP_1)
	v_lshl_add_u64 v[2:3], v[2:3], 3, s[8:9]
	global_load_b128 v[2:5], v[2:3], off
	s_wait_loadcnt 0x0
	v_sub_nc_u64_e64 v[18:19], v[4:5], s[16:17]
	v_add_nc_u64_e32 v[20:21], v[2:3], v[16:17]
	s_wait_xcnt 0x0
	s_delay_alu instid0(VALU_DEP_1)
	v_cmpx_lt_i64_e64 v[20:21], v[18:19]
	s_cbranch_execz .LBB152_9
; %bb.11:                               ;   in Loop: Header=BB152_10 Depth=1
	v_lshl_add_u64 v[2:3], v[14:15], 4, s[6:7]
	s_mov_b32 s22, 0
	global_load_b128 v[2:5], v[2:3], off
	s_wait_loadcnt 0x0
	v_mul_f64_e64 v[22:23], v[4:5], -v[12:13]
	v_mul_f64_e32 v[24:25], v[10:11], v[4:5]
	s_delay_alu instid0(VALU_DEP_2) | instskip(NEXT) | instid1(VALU_DEP_2)
	v_fmac_f64_e32 v[22:23], v[10:11], v[2:3]
	v_fmac_f64_e32 v[24:25], v[12:13], v[2:3]
	s_branch .LBB152_14
.LBB152_12:                             ;   in Loop: Header=BB152_14 Depth=2
	s_or_b32 exec_lo, exec_lo, s24
.LBB152_13:                             ;   in Loop: Header=BB152_14 Depth=2
	s_delay_alu instid0(SALU_CYCLE_1) | instskip(SKIP_4) | instid1(VALU_DEP_3)
	s_or_b32 exec_lo, exec_lo, s23
	s_wait_loadcnt 0x0
	v_dual_mul_f64 v[28:29], v[4:5], -v[24:25] :: v_dual_lshlrev_b32 v1, 4, v26
	v_mul_f64_e32 v[4:5], v[22:23], v[4:5]
	v_add_nc_u64_e32 v[20:21], 64, v[20:21]
	v_add3_u32 v1, 0, v1, 0x10000
	s_delay_alu instid0(VALU_DEP_2)
	v_cmp_ge_i64_e32 vcc_lo, v[20:21], v[18:19]
	s_or_b32 s22, vcc_lo, s22
	v_fmac_f64_e32 v[28:29], v[22:23], v[2:3]
	v_fmac_f64_e32 v[4:5], v[24:25], v[2:3]
	ds_add_f64 v1, v[28:29]
	ds_add_f64 v1, v[4:5] offset:8
	s_and_not1_b32 exec_lo, exec_lo, s22
	s_cbranch_execz .LBB152_9
.LBB152_14:                             ;   Parent Loop BB152_10 Depth=1
                                        ; =>  This Loop Header: Depth=2
                                        ;       Child Loop BB152_17 Depth 3
	s_wait_xcnt 0x0
	v_lshl_add_u64 v[2:3], v[20:21], 3, s[10:11]
	s_mov_b32 s23, exec_lo
	global_load_b64 v[26:27], v[2:3], off
	s_wait_xcnt 0x0
	v_lshl_add_u64 v[2:3], v[20:21], 4, s[14:15]
	global_load_b128 v[2:5], v[2:3], off
	s_wait_loadcnt 0x1
	v_sub_nc_u64_e64 v[28:29], v[26:27], s[16:17]
	s_delay_alu instid0(VALU_DEP_1) | instskip(NEXT) | instid1(VALU_DEP_1)
	v_mul_lo_u32 v1, 0x89, v28
	v_and_b32_e32 v26, 0x1fff, v1
	s_delay_alu instid0(VALU_DEP_1)
	v_lshl_add_u32 v1, v26, 3, 0
	ds_load_b64 v[32:33], v1
	s_wait_dscnt 0x0
	s_wait_xcnt 0x0
	v_cmpx_ne_u64_e64 v[32:33], v[28:29]
	s_cbranch_execz .LBB152_13
; %bb.15:                               ;   in Loop: Header=BB152_14 Depth=2
	s_mov_b32 s24, 0
                                        ; implicit-def: $sgpr25
                                        ; implicit-def: $sgpr26
	s_branch .LBB152_17
.LBB152_16:                             ;   in Loop: Header=BB152_17 Depth=3
	s_or_b32 exec_lo, exec_lo, s29
	s_delay_alu instid0(SALU_CYCLE_1) | instskip(NEXT) | instid1(SALU_CYCLE_1)
	s_and_b32 s27, exec_lo, s28
	s_or_b32 s24, s27, s24
	s_and_not1_b32 s25, s25, exec_lo
	s_and_b32 s27, s26, exec_lo
	s_delay_alu instid0(SALU_CYCLE_1)
	s_or_b32 s25, s25, s27
	s_and_not1_b32 exec_lo, exec_lo, s24
	s_cbranch_execz .LBB152_23
.LBB152_17:                             ;   Parent Loop BB152_10 Depth=1
                                        ;     Parent Loop BB152_14 Depth=2
                                        ; =>    This Inner Loop Header: Depth=3
	v_mov_b64_e32 v[30:31], v[26:27]
	s_mov_b32 s27, 0
	s_mov_b32 s28, exec_lo
                                        ; implicit-def: $vgpr26_vgpr27
	v_cmpx_ne_u64_e64 s[34:35], v[32:33]
	s_xor_b32 s28, exec_lo, s28
; %bb.18:                               ;   in Loop: Header=BB152_17 Depth=3
	s_delay_alu instid0(VALU_DEP_2) | instskip(SKIP_1) | instid1(VALU_DEP_1)
	v_add_nc_u32_e32 v1, 1, v30
	s_mov_b32 s27, exec_lo
	v_and_b32_e32 v26, 0x1fff, v1
                                        ; implicit-def: $vgpr1
; %bb.19:                               ;   in Loop: Header=BB152_17 Depth=3
	s_and_not1_saveexec_b32 s28, s28
	s_cbranch_execz .LBB152_21
; %bb.20:                               ;   in Loop: Header=BB152_17 Depth=3
	v_mov_b64_e32 v[26:27], s[34:35]
	s_and_not1_b32 s27, s27, exec_lo
	ds_cmpstore_rtn_b64 v[26:27], v1, v[28:29], v[26:27]
	s_wait_dscnt 0x0
	v_cmp_ne_u64_e32 vcc_lo, s[34:35], v[26:27]
	v_mov_b64_e32 v[26:27], v[30:31]
	s_and_b32 s29, vcc_lo, exec_lo
	s_delay_alu instid0(SALU_CYCLE_1)
	s_or_b32 s27, s27, s29
.LBB152_21:                             ;   in Loop: Header=BB152_17 Depth=3
	s_or_b32 exec_lo, exec_lo, s28
	s_mov_b32 s28, -1
	s_or_b32 s26, s26, exec_lo
                                        ; implicit-def: $vgpr1
                                        ; implicit-def: $vgpr32_vgpr33
	s_and_saveexec_b32 s29, s27
	s_cbranch_execz .LBB152_16
; %bb.22:                               ;   in Loop: Header=BB152_17 Depth=3
	v_lshl_add_u32 v1, v26, 3, 0
	s_and_not1_b32 s26, s26, exec_lo
	ds_load_b64 v[32:33], v1
	s_wait_dscnt 0x0
	v_cmp_eq_u64_e32 vcc_lo, v[32:33], v[28:29]
	s_or_not1_b32 s28, vcc_lo, exec_lo
	s_branch .LBB152_16
.LBB152_23:                             ;   in Loop: Header=BB152_14 Depth=2
	s_or_b32 exec_lo, exec_lo, s24
	s_and_saveexec_b32 s24, s25
	s_delay_alu instid0(SALU_CYCLE_1)
	s_xor_b32 s24, exec_lo, s24
	s_cbranch_execz .LBB152_12
; %bb.24:                               ;   in Loop: Header=BB152_14 Depth=2
	v_mov_b32_e32 v26, v30
	s_branch .LBB152_12
.LBB152_25:
	s_or_b32 exec_lo, exec_lo, s19
.LBB152_26:
	s_delay_alu instid0(SALU_CYCLE_1)
	s_and_not1_b32 vcc_lo, exec_lo, s18
	s_cbranch_vccnz .LBB152_43
; %bb.27:
	s_wait_xcnt 0x0
	s_load_b64 s[2:3], s[0:1], 0x68
	s_wait_kmcnt 0x0
	s_lshl_b64 s[4:5], s[40:41], 3
	v_mov_b32_e32 v1, 0
	s_mov_b32 s10, exec_lo
	s_add_nc_u64 s[2:3], s[2:3], s[4:5]
	s_load_b128 s[4:7], s[2:3], 0x0
	s_wait_xcnt 0x0
	s_mov_b32 s3, 0
	s_mov_b32 s2, s39
	s_delay_alu instid0(SALU_CYCLE_1) | instskip(SKIP_1) | instid1(VALU_DEP_1)
	v_sub_nc_u64_e64 v[2:3], v[0:1], s[2:3]
	s_wait_kmcnt 0x0
	v_add_nc_u64_e32 v[10:11], s[4:5], v[2:3]
	s_sub_nc_u64 s[8:9], s[6:7], s[2:3]
	s_delay_alu instid0(VALU_DEP_1) | instid1(SALU_CYCLE_1)
	v_cmpx_gt_i64_e64 s[8:9], v[10:11]
	s_cbranch_execz .LBB152_42
; %bb.28:
	s_load_b128 s[4:7], s[0:1], 0x70
	s_mov_b32 s11, s3
	s_branch .LBB152_31
.LBB152_29:                             ;   in Loop: Header=BB152_31 Depth=1
	s_or_b32 exec_lo, exec_lo, s13
.LBB152_30:                             ;   in Loop: Header=BB152_31 Depth=1
	s_delay_alu instid0(SALU_CYCLE_1) | instskip(SKIP_4) | instid1(VALU_DEP_3)
	s_or_b32 exec_lo, exec_lo, s12
	s_wait_loadcnt 0x0
	v_dual_mul_f64 v[14:15], v[4:5], -v[6:7] :: v_dual_lshlrev_b32 v1, 4, v12
	v_mul_f64_e32 v[4:5], v[8:9], v[4:5]
	v_add_nc_u64_e32 v[10:11], 0x400, v[10:11]
	v_add3_u32 v1, 0, v1, 0x10000
	s_delay_alu instid0(VALU_DEP_2)
	v_cmp_le_i64_e32 vcc_lo, s[8:9], v[10:11]
	s_or_b32 s11, vcc_lo, s11
	v_fmac_f64_e32 v[14:15], v[8:9], v[2:3]
	v_fmac_f64_e32 v[4:5], v[6:7], v[2:3]
	ds_add_f64 v1, v[14:15]
	ds_add_f64 v1, v[4:5] offset:8
	s_and_not1_b32 exec_lo, exec_lo, s11
	s_cbranch_execz .LBB152_42
.LBB152_31:                             ; =>This Loop Header: Depth=1
                                        ;     Child Loop BB152_34 Depth 2
	s_wait_kmcnt 0x0
	v_lshl_add_u64 v[2:3], v[10:11], 3, s[4:5]
	s_mov_b32 s12, exec_lo
	global_load_b64 v[12:13], v[2:3], off
	s_wait_xcnt 0x0
	v_lshl_add_u64 v[2:3], v[10:11], 4, s[6:7]
	global_load_b128 v[2:5], v[2:3], off
	s_wait_loadcnt 0x1
	v_sub_nc_u64_e64 v[14:15], v[12:13], s[2:3]
	s_delay_alu instid0(VALU_DEP_1) | instskip(NEXT) | instid1(VALU_DEP_1)
	v_mul_lo_u32 v1, 0x89, v14
	v_and_b32_e32 v12, 0x1fff, v1
	s_delay_alu instid0(VALU_DEP_1)
	v_lshl_add_u32 v1, v12, 3, 0
	ds_load_b64 v[18:19], v1
	s_wait_dscnt 0x0
	s_wait_xcnt 0x0
	v_cmpx_ne_u64_e64 v[18:19], v[14:15]
	s_cbranch_execz .LBB152_30
; %bb.32:                               ;   in Loop: Header=BB152_31 Depth=1
	s_mov_b32 s13, 0
                                        ; implicit-def: $sgpr14
                                        ; implicit-def: $sgpr15
	s_branch .LBB152_34
.LBB152_33:                             ;   in Loop: Header=BB152_34 Depth=2
	s_or_b32 exec_lo, exec_lo, s18
	s_delay_alu instid0(SALU_CYCLE_1) | instskip(NEXT) | instid1(SALU_CYCLE_1)
	s_and_b32 s16, exec_lo, s17
	s_or_b32 s13, s16, s13
	s_and_not1_b32 s14, s14, exec_lo
	s_and_b32 s16, s15, exec_lo
	s_delay_alu instid0(SALU_CYCLE_1)
	s_or_b32 s14, s14, s16
	s_and_not1_b32 exec_lo, exec_lo, s13
	s_cbranch_execz .LBB152_40
.LBB152_34:                             ;   Parent Loop BB152_31 Depth=1
                                        ; =>  This Inner Loop Header: Depth=2
	v_mov_b64_e32 v[16:17], v[12:13]
	s_mov_b32 s16, 0
	s_mov_b32 s17, exec_lo
                                        ; implicit-def: $vgpr12_vgpr13
	v_cmpx_ne_u64_e64 s[34:35], v[18:19]
	s_xor_b32 s17, exec_lo, s17
; %bb.35:                               ;   in Loop: Header=BB152_34 Depth=2
	s_delay_alu instid0(VALU_DEP_2) | instskip(SKIP_1) | instid1(VALU_DEP_1)
	v_add_nc_u32_e32 v1, 1, v16
	s_mov_b32 s16, exec_lo
	v_and_b32_e32 v12, 0x1fff, v1
                                        ; implicit-def: $vgpr1
; %bb.36:                               ;   in Loop: Header=BB152_34 Depth=2
	s_and_not1_saveexec_b32 s17, s17
	s_cbranch_execz .LBB152_38
; %bb.37:                               ;   in Loop: Header=BB152_34 Depth=2
	v_mov_b64_e32 v[12:13], s[34:35]
	s_and_not1_b32 s16, s16, exec_lo
	ds_cmpstore_rtn_b64 v[12:13], v1, v[14:15], v[12:13]
	s_wait_dscnt 0x0
	v_cmp_ne_u64_e32 vcc_lo, s[34:35], v[12:13]
	v_mov_b64_e32 v[12:13], v[16:17]
	s_and_b32 s18, vcc_lo, exec_lo
	s_delay_alu instid0(SALU_CYCLE_1)
	s_or_b32 s16, s16, s18
.LBB152_38:                             ;   in Loop: Header=BB152_34 Depth=2
	s_or_b32 exec_lo, exec_lo, s17
	s_mov_b32 s17, -1
	s_or_b32 s15, s15, exec_lo
                                        ; implicit-def: $vgpr1
                                        ; implicit-def: $vgpr18_vgpr19
	s_and_saveexec_b32 s18, s16
	s_cbranch_execz .LBB152_33
; %bb.39:                               ;   in Loop: Header=BB152_34 Depth=2
	v_lshl_add_u32 v1, v12, 3, 0
	s_and_not1_b32 s15, s15, exec_lo
	ds_load_b64 v[18:19], v1
	s_wait_dscnt 0x0
	v_cmp_eq_u64_e32 vcc_lo, v[18:19], v[14:15]
	s_or_not1_b32 s17, vcc_lo, exec_lo
	s_branch .LBB152_33
.LBB152_40:                             ;   in Loop: Header=BB152_31 Depth=1
	s_or_b32 exec_lo, exec_lo, s13
	s_and_saveexec_b32 s13, s14
	s_delay_alu instid0(SALU_CYCLE_1)
	s_xor_b32 s13, exec_lo, s13
	s_cbranch_execz .LBB152_29
; %bb.41:                               ;   in Loop: Header=BB152_31 Depth=1
	v_mov_b32_e32 v12, v16
	s_branch .LBB152_29
.LBB152_42:
	s_or_b32 exec_lo, exec_lo, s10
.LBB152_43:
	s_clause 0x1
	s_load_b64 s[36:37], s[0:1], 0x90
	s_load_b64 s[42:43], s[0:1], 0x80
	v_dual_lshrrev_b32 v1, 2, v0 :: v_dual_bitop2_b32 v2, 31, v35 bitop3:0x14
	v_dual_mov_b32 v5, 0 :: v_dual_lshlrev_b32 v4, 4, v0
	v_mov_b64_e32 v[6:7], 0
	s_delay_alu instid0(VALU_DEP_3) | instskip(NEXT) | instid1(VALU_DEP_4)
	v_and_b32_e32 v1, 0xf8, v1
	v_lshrrev_b32_e64 v2, v2, -1
	s_wait_xcnt 0x0
	v_cmp_lt_u32_e64 s0, 31, v0
	v_cmp_lt_u32_e64 s1, 63, v0
	;; [unrolled: 1-line block ×3, first 2 shown]
	v_add3_u32 v1, 0x30000, 0, v1
	v_cmp_lt_u32_e64 s3, 0x7f, v0
	v_cmp_lt_u32_e64 s4, 0x9f, v0
	v_cmp_lt_u32_e64 s5, 0xbf, v0
	v_cmp_lt_u32_e64 s6, 0xdf, v0
	v_cmp_lt_u32_e64 s7, 0xff, v0
	v_cmp_lt_u32_e64 s8, 0x11f, v0
	v_cmp_lt_u32_e64 s9, 0x13f, v0
	v_cmp_lt_u32_e64 s10, 0x15f, v0
	v_cmp_lt_u32_e64 s11, 0x17f, v0
	v_cmp_lt_u32_e64 s12, 0x19f, v0
	v_cmp_lt_u32_e64 s13, 0x1bf, v0
	v_cmp_lt_u32_e64 s14, 0x1df, v0
	v_cmp_lt_u32_e64 s15, 0x1ff, v0
	v_cmp_lt_u32_e64 s16, 0x21f, v0
	v_cmp_lt_u32_e64 s17, 0x23f, v0
	v_cmp_lt_u32_e64 s18, 0x25f, v0
	v_cmp_lt_u32_e64 s19, 0x27f, v0
	v_cmp_lt_u32_e64 s20, 0x29f, v0
	v_cmp_lt_u32_e64 s21, 0x2bf, v0
	v_cmp_lt_u32_e64 s22, 0x2df, v0
	v_cmp_lt_u32_e64 s23, 0x2ff, v0
	v_cmp_lt_u32_e64 s24, 0x31f, v0
	v_cmp_lt_u32_e64 s25, 0x33f, v0
	v_cmp_lt_u32_e64 s26, 0x35f, v0
	v_cmp_lt_u32_e64 s27, 0x37f, v0
	v_cmp_lt_u32_e64 s28, 0x39f, v0
	v_cmp_lt_u32_e64 s29, 0x3bf, v0
	v_cmp_lt_u32_e64 s30, 0x3df, v0
	v_or_b32_e32 v3, 0xfffffc00, v0
	v_add3_u32 v12, v4, 0, 0x10000
	s_mov_b32 s33, 0
	s_add_co_i32 s39, 0, 0x30000
	s_add_co_i32 s44, 0, 0x30008
	;; [unrolled: 1-line block ×32, first 2 shown]
	s_wait_dscnt 0x0
	s_barrier_signal -1
	s_barrier_wait -1
	v_cmp_eq_u32_e32 vcc_lo, 0x3ff, v0
	s_branch .LBB152_45
.LBB152_44:                             ;   in Loop: Header=BB152_45 Depth=1
	s_or_b32 exec_lo, exec_lo, s31
	v_dual_mov_b32 v4, s74 :: v_dual_add_nc_u32 v3, 0x400, v3
	s_wait_dscnt 0x0
	s_barrier_signal -1
	s_barrier_wait -1
	ds_load_b64 v[8:9], v4
	v_cmp_lt_u32_e64 s31, 0x1bff, v3
	v_add_nc_u32_e32 v12, 0x4000, v12
	v_add_nc_u32_e32 v34, 0x2000, v34
	s_or_b32 s33, s31, s33
	s_wait_dscnt 0x0
	v_add_nc_u64_e32 v[6:7], v[8:9], v[6:7]
	s_and_not1_b32 exec_lo, exec_lo, s33
	s_cbranch_execz .LBB152_111
.LBB152_45:                             ; =>This Inner Loop Header: Depth=1
	ds_load_b64 v[8:9], v34
	ds_load_2addr_b64 v[14:17], v12 offset1:1
	s_wait_dscnt 0x1
	v_cmp_gt_i64_e64 s31, s[34:35], v[8:9]
	s_wait_dscnt 0x0
	scratch_store_b128 off, v[14:17], off
	s_wait_storecnt 0x0
	s_barrier_signal -1
	s_barrier_wait -1
	s_bcnt1_i32_b32 s75, s31
	s_delay_alu instid0(SALU_CYCLE_1) | instskip(NEXT) | instid1(VALU_DEP_1)
	v_dual_mov_b32 v4, s75 :: v_dual_bitop2_b32 v10, s31, v2 bitop3:0x40
	v_bcnt_u32_b32 v10, v10, 0
	ds_store_b64 v1, v[4:5]
	s_wait_dscnt 0x0
	s_barrier_signal -1
	s_barrier_wait -1
	s_wait_xcnt 0x0
	s_and_saveexec_b32 s75, s0
	s_cbranch_execnz .LBB152_78
; %bb.46:                               ;   in Loop: Header=BB152_45 Depth=1
	s_or_b32 exec_lo, exec_lo, s75
	s_and_saveexec_b32 s75, s1
	s_cbranch_execnz .LBB152_79
.LBB152_47:                             ;   in Loop: Header=BB152_45 Depth=1
	s_or_b32 exec_lo, exec_lo, s75
	s_and_saveexec_b32 s75, s2
	s_cbranch_execnz .LBB152_80
.LBB152_48:                             ;   in Loop: Header=BB152_45 Depth=1
	s_or_b32 exec_lo, exec_lo, s75
	s_and_saveexec_b32 s75, s3
	s_cbranch_execnz .LBB152_81
.LBB152_49:                             ;   in Loop: Header=BB152_45 Depth=1
	s_or_b32 exec_lo, exec_lo, s75
	s_and_saveexec_b32 s75, s4
	s_cbranch_execnz .LBB152_82
.LBB152_50:                             ;   in Loop: Header=BB152_45 Depth=1
	s_or_b32 exec_lo, exec_lo, s75
	s_and_saveexec_b32 s75, s5
	s_cbranch_execnz .LBB152_83
.LBB152_51:                             ;   in Loop: Header=BB152_45 Depth=1
	s_or_b32 exec_lo, exec_lo, s75
	s_and_saveexec_b32 s75, s6
	s_cbranch_execnz .LBB152_84
.LBB152_52:                             ;   in Loop: Header=BB152_45 Depth=1
	s_or_b32 exec_lo, exec_lo, s75
	s_and_saveexec_b32 s75, s7
	s_cbranch_execnz .LBB152_85
.LBB152_53:                             ;   in Loop: Header=BB152_45 Depth=1
	s_or_b32 exec_lo, exec_lo, s75
	s_and_saveexec_b32 s75, s8
	s_cbranch_execnz .LBB152_86
.LBB152_54:                             ;   in Loop: Header=BB152_45 Depth=1
	s_or_b32 exec_lo, exec_lo, s75
	s_and_saveexec_b32 s75, s9
	s_cbranch_execnz .LBB152_87
.LBB152_55:                             ;   in Loop: Header=BB152_45 Depth=1
	s_or_b32 exec_lo, exec_lo, s75
	s_and_saveexec_b32 s75, s10
	s_cbranch_execnz .LBB152_88
.LBB152_56:                             ;   in Loop: Header=BB152_45 Depth=1
	s_or_b32 exec_lo, exec_lo, s75
	s_and_saveexec_b32 s75, s11
	s_cbranch_execnz .LBB152_89
.LBB152_57:                             ;   in Loop: Header=BB152_45 Depth=1
	s_or_b32 exec_lo, exec_lo, s75
	s_and_saveexec_b32 s75, s12
	s_cbranch_execnz .LBB152_90
.LBB152_58:                             ;   in Loop: Header=BB152_45 Depth=1
	s_or_b32 exec_lo, exec_lo, s75
	s_and_saveexec_b32 s75, s13
	s_cbranch_execnz .LBB152_91
.LBB152_59:                             ;   in Loop: Header=BB152_45 Depth=1
	s_or_b32 exec_lo, exec_lo, s75
	s_and_saveexec_b32 s75, s14
	s_cbranch_execnz .LBB152_92
.LBB152_60:                             ;   in Loop: Header=BB152_45 Depth=1
	s_or_b32 exec_lo, exec_lo, s75
	s_and_saveexec_b32 s75, s15
	s_cbranch_execnz .LBB152_93
.LBB152_61:                             ;   in Loop: Header=BB152_45 Depth=1
	s_or_b32 exec_lo, exec_lo, s75
	s_and_saveexec_b32 s75, s16
	s_cbranch_execnz .LBB152_94
.LBB152_62:                             ;   in Loop: Header=BB152_45 Depth=1
	s_or_b32 exec_lo, exec_lo, s75
	s_and_saveexec_b32 s75, s17
	s_cbranch_execnz .LBB152_95
.LBB152_63:                             ;   in Loop: Header=BB152_45 Depth=1
	s_or_b32 exec_lo, exec_lo, s75
	s_and_saveexec_b32 s75, s18
	s_cbranch_execnz .LBB152_96
.LBB152_64:                             ;   in Loop: Header=BB152_45 Depth=1
	s_or_b32 exec_lo, exec_lo, s75
	s_and_saveexec_b32 s75, s19
	s_cbranch_execnz .LBB152_97
.LBB152_65:                             ;   in Loop: Header=BB152_45 Depth=1
	s_or_b32 exec_lo, exec_lo, s75
	s_and_saveexec_b32 s75, s20
	s_cbranch_execnz .LBB152_98
.LBB152_66:                             ;   in Loop: Header=BB152_45 Depth=1
	s_or_b32 exec_lo, exec_lo, s75
	s_and_saveexec_b32 s75, s21
	s_cbranch_execnz .LBB152_99
.LBB152_67:                             ;   in Loop: Header=BB152_45 Depth=1
	s_or_b32 exec_lo, exec_lo, s75
	s_and_saveexec_b32 s75, s22
	s_cbranch_execnz .LBB152_100
.LBB152_68:                             ;   in Loop: Header=BB152_45 Depth=1
	s_or_b32 exec_lo, exec_lo, s75
	s_and_saveexec_b32 s75, s23
	s_cbranch_execnz .LBB152_101
.LBB152_69:                             ;   in Loop: Header=BB152_45 Depth=1
	s_or_b32 exec_lo, exec_lo, s75
	s_and_saveexec_b32 s75, s24
	s_cbranch_execnz .LBB152_102
.LBB152_70:                             ;   in Loop: Header=BB152_45 Depth=1
	s_or_b32 exec_lo, exec_lo, s75
	s_and_saveexec_b32 s75, s25
	s_cbranch_execnz .LBB152_103
.LBB152_71:                             ;   in Loop: Header=BB152_45 Depth=1
	s_or_b32 exec_lo, exec_lo, s75
	s_and_saveexec_b32 s75, s26
	s_cbranch_execnz .LBB152_104
.LBB152_72:                             ;   in Loop: Header=BB152_45 Depth=1
	s_or_b32 exec_lo, exec_lo, s75
	s_and_saveexec_b32 s75, s27
	s_cbranch_execnz .LBB152_105
.LBB152_73:                             ;   in Loop: Header=BB152_45 Depth=1
	s_or_b32 exec_lo, exec_lo, s75
	s_and_saveexec_b32 s75, s28
	s_cbranch_execnz .LBB152_106
.LBB152_74:                             ;   in Loop: Header=BB152_45 Depth=1
	s_or_b32 exec_lo, exec_lo, s75
	s_and_saveexec_b32 s75, s29
	s_cbranch_execnz .LBB152_107
.LBB152_75:                             ;   in Loop: Header=BB152_45 Depth=1
	s_or_b32 exec_lo, exec_lo, s75
	s_and_saveexec_b32 s75, s30
	s_cbranch_execnz .LBB152_108
.LBB152_76:                             ;   in Loop: Header=BB152_45 Depth=1
	s_or_b32 exec_lo, exec_lo, s75
	v_ashrrev_i32_e32 v11, 31, v10
	s_and_saveexec_b32 s75, s31
	s_cbranch_execnz .LBB152_109
.LBB152_77:                             ;   in Loop: Header=BB152_45 Depth=1
	s_or_b32 exec_lo, exec_lo, s75
	s_and_saveexec_b32 s31, vcc_lo
	s_cbranch_execz .LBB152_44
	s_branch .LBB152_110
.LBB152_78:                             ;   in Loop: Header=BB152_45 Depth=1
	v_mov_b32_e32 v4, s39
	ds_load_b32 v4, v4
	s_wait_dscnt 0x0
	v_add_nc_u32_e32 v10, v4, v10
	s_or_b32 exec_lo, exec_lo, s75
	s_and_saveexec_b32 s75, s1
	s_cbranch_execz .LBB152_47
.LBB152_79:                             ;   in Loop: Header=BB152_45 Depth=1
	v_mov_b32_e32 v4, s44
	ds_load_b32 v4, v4
	s_wait_dscnt 0x0
	v_add_nc_u32_e32 v10, v10, v4
	s_or_b32 exec_lo, exec_lo, s75
	s_and_saveexec_b32 s75, s2
	s_cbranch_execz .LBB152_48
.LBB152_80:                             ;   in Loop: Header=BB152_45 Depth=1
	v_mov_b32_e32 v4, s45
	ds_load_b32 v4, v4
	s_wait_dscnt 0x0
	v_add_nc_u32_e32 v10, v10, v4
	s_or_b32 exec_lo, exec_lo, s75
	s_and_saveexec_b32 s75, s3
	s_cbranch_execz .LBB152_49
.LBB152_81:                             ;   in Loop: Header=BB152_45 Depth=1
	v_mov_b32_e32 v4, s46
	ds_load_b32 v4, v4
	s_wait_dscnt 0x0
	v_add_nc_u32_e32 v10, v10, v4
	s_or_b32 exec_lo, exec_lo, s75
	s_and_saveexec_b32 s75, s4
	s_cbranch_execz .LBB152_50
.LBB152_82:                             ;   in Loop: Header=BB152_45 Depth=1
	v_mov_b32_e32 v4, s47
	ds_load_b32 v4, v4
	s_wait_dscnt 0x0
	v_add_nc_u32_e32 v10, v10, v4
	s_or_b32 exec_lo, exec_lo, s75
	s_and_saveexec_b32 s75, s5
	s_cbranch_execz .LBB152_51
.LBB152_83:                             ;   in Loop: Header=BB152_45 Depth=1
	v_mov_b32_e32 v4, s48
	ds_load_b32 v4, v4
	s_wait_dscnt 0x0
	v_add_nc_u32_e32 v10, v10, v4
	s_or_b32 exec_lo, exec_lo, s75
	s_and_saveexec_b32 s75, s6
	s_cbranch_execz .LBB152_52
.LBB152_84:                             ;   in Loop: Header=BB152_45 Depth=1
	v_mov_b32_e32 v4, s49
	ds_load_b32 v4, v4
	s_wait_dscnt 0x0
	v_add_nc_u32_e32 v10, v10, v4
	s_or_b32 exec_lo, exec_lo, s75
	s_and_saveexec_b32 s75, s7
	s_cbranch_execz .LBB152_53
.LBB152_85:                             ;   in Loop: Header=BB152_45 Depth=1
	v_mov_b32_e32 v4, s50
	ds_load_b32 v4, v4
	s_wait_dscnt 0x0
	v_add_nc_u32_e32 v10, v10, v4
	s_or_b32 exec_lo, exec_lo, s75
	s_and_saveexec_b32 s75, s8
	s_cbranch_execz .LBB152_54
.LBB152_86:                             ;   in Loop: Header=BB152_45 Depth=1
	v_mov_b32_e32 v4, s51
	ds_load_b32 v4, v4
	s_wait_dscnt 0x0
	v_add_nc_u32_e32 v10, v10, v4
	s_or_b32 exec_lo, exec_lo, s75
	s_and_saveexec_b32 s75, s9
	s_cbranch_execz .LBB152_55
.LBB152_87:                             ;   in Loop: Header=BB152_45 Depth=1
	v_mov_b32_e32 v4, s52
	ds_load_b32 v4, v4
	s_wait_dscnt 0x0
	v_add_nc_u32_e32 v10, v10, v4
	s_or_b32 exec_lo, exec_lo, s75
	s_and_saveexec_b32 s75, s10
	s_cbranch_execz .LBB152_56
.LBB152_88:                             ;   in Loop: Header=BB152_45 Depth=1
	v_mov_b32_e32 v4, s53
	ds_load_b32 v4, v4
	s_wait_dscnt 0x0
	v_add_nc_u32_e32 v10, v10, v4
	s_or_b32 exec_lo, exec_lo, s75
	s_and_saveexec_b32 s75, s11
	s_cbranch_execz .LBB152_57
.LBB152_89:                             ;   in Loop: Header=BB152_45 Depth=1
	v_mov_b32_e32 v4, s54
	ds_load_b32 v4, v4
	s_wait_dscnt 0x0
	v_add_nc_u32_e32 v10, v10, v4
	s_or_b32 exec_lo, exec_lo, s75
	s_and_saveexec_b32 s75, s12
	s_cbranch_execz .LBB152_58
.LBB152_90:                             ;   in Loop: Header=BB152_45 Depth=1
	v_mov_b32_e32 v4, s55
	ds_load_b32 v4, v4
	s_wait_dscnt 0x0
	v_add_nc_u32_e32 v10, v10, v4
	s_or_b32 exec_lo, exec_lo, s75
	s_and_saveexec_b32 s75, s13
	s_cbranch_execz .LBB152_59
.LBB152_91:                             ;   in Loop: Header=BB152_45 Depth=1
	v_mov_b32_e32 v4, s56
	ds_load_b32 v4, v4
	s_wait_dscnt 0x0
	v_add_nc_u32_e32 v10, v10, v4
	s_or_b32 exec_lo, exec_lo, s75
	s_and_saveexec_b32 s75, s14
	s_cbranch_execz .LBB152_60
.LBB152_92:                             ;   in Loop: Header=BB152_45 Depth=1
	v_mov_b32_e32 v4, s57
	ds_load_b32 v4, v4
	s_wait_dscnt 0x0
	v_add_nc_u32_e32 v10, v10, v4
	s_or_b32 exec_lo, exec_lo, s75
	s_and_saveexec_b32 s75, s15
	s_cbranch_execz .LBB152_61
.LBB152_93:                             ;   in Loop: Header=BB152_45 Depth=1
	v_mov_b32_e32 v4, s58
	ds_load_b32 v4, v4
	s_wait_dscnt 0x0
	v_add_nc_u32_e32 v10, v10, v4
	s_or_b32 exec_lo, exec_lo, s75
	s_and_saveexec_b32 s75, s16
	s_cbranch_execz .LBB152_62
.LBB152_94:                             ;   in Loop: Header=BB152_45 Depth=1
	v_mov_b32_e32 v4, s59
	ds_load_b32 v4, v4
	s_wait_dscnt 0x0
	v_add_nc_u32_e32 v10, v10, v4
	s_or_b32 exec_lo, exec_lo, s75
	s_and_saveexec_b32 s75, s17
	s_cbranch_execz .LBB152_63
.LBB152_95:                             ;   in Loop: Header=BB152_45 Depth=1
	v_mov_b32_e32 v4, s60
	ds_load_b32 v4, v4
	s_wait_dscnt 0x0
	v_add_nc_u32_e32 v10, v10, v4
	s_or_b32 exec_lo, exec_lo, s75
	s_and_saveexec_b32 s75, s18
	s_cbranch_execz .LBB152_64
.LBB152_96:                             ;   in Loop: Header=BB152_45 Depth=1
	v_mov_b32_e32 v4, s61
	ds_load_b32 v4, v4
	s_wait_dscnt 0x0
	v_add_nc_u32_e32 v10, v10, v4
	s_or_b32 exec_lo, exec_lo, s75
	s_and_saveexec_b32 s75, s19
	s_cbranch_execz .LBB152_65
.LBB152_97:                             ;   in Loop: Header=BB152_45 Depth=1
	v_mov_b32_e32 v4, s62
	ds_load_b32 v4, v4
	s_wait_dscnt 0x0
	v_add_nc_u32_e32 v10, v10, v4
	s_or_b32 exec_lo, exec_lo, s75
	s_and_saveexec_b32 s75, s20
	s_cbranch_execz .LBB152_66
.LBB152_98:                             ;   in Loop: Header=BB152_45 Depth=1
	v_mov_b32_e32 v4, s63
	ds_load_b32 v4, v4
	s_wait_dscnt 0x0
	v_add_nc_u32_e32 v10, v10, v4
	s_or_b32 exec_lo, exec_lo, s75
	s_and_saveexec_b32 s75, s21
	s_cbranch_execz .LBB152_67
.LBB152_99:                             ;   in Loop: Header=BB152_45 Depth=1
	v_mov_b32_e32 v4, s64
	ds_load_b32 v4, v4
	s_wait_dscnt 0x0
	v_add_nc_u32_e32 v10, v10, v4
	s_or_b32 exec_lo, exec_lo, s75
	s_and_saveexec_b32 s75, s22
	s_cbranch_execz .LBB152_68
.LBB152_100:                            ;   in Loop: Header=BB152_45 Depth=1
	v_mov_b32_e32 v4, s65
	ds_load_b32 v4, v4
	s_wait_dscnt 0x0
	v_add_nc_u32_e32 v10, v10, v4
	s_or_b32 exec_lo, exec_lo, s75
	s_and_saveexec_b32 s75, s23
	s_cbranch_execz .LBB152_69
.LBB152_101:                            ;   in Loop: Header=BB152_45 Depth=1
	v_mov_b32_e32 v4, s66
	ds_load_b32 v4, v4
	s_wait_dscnt 0x0
	v_add_nc_u32_e32 v10, v10, v4
	s_or_b32 exec_lo, exec_lo, s75
	s_and_saveexec_b32 s75, s24
	s_cbranch_execz .LBB152_70
.LBB152_102:                            ;   in Loop: Header=BB152_45 Depth=1
	v_mov_b32_e32 v4, s67
	ds_load_b32 v4, v4
	s_wait_dscnt 0x0
	v_add_nc_u32_e32 v10, v10, v4
	s_or_b32 exec_lo, exec_lo, s75
	s_and_saveexec_b32 s75, s25
	s_cbranch_execz .LBB152_71
.LBB152_103:                            ;   in Loop: Header=BB152_45 Depth=1
	v_mov_b32_e32 v4, s68
	ds_load_b32 v4, v4
	s_wait_dscnt 0x0
	v_add_nc_u32_e32 v10, v10, v4
	s_or_b32 exec_lo, exec_lo, s75
	s_and_saveexec_b32 s75, s26
	s_cbranch_execz .LBB152_72
.LBB152_104:                            ;   in Loop: Header=BB152_45 Depth=1
	v_mov_b32_e32 v4, s69
	ds_load_b32 v4, v4
	s_wait_dscnt 0x0
	v_add_nc_u32_e32 v10, v10, v4
	s_or_b32 exec_lo, exec_lo, s75
	s_and_saveexec_b32 s75, s27
	s_cbranch_execz .LBB152_73
.LBB152_105:                            ;   in Loop: Header=BB152_45 Depth=1
	v_mov_b32_e32 v4, s70
	ds_load_b32 v4, v4
	s_wait_dscnt 0x0
	v_add_nc_u32_e32 v10, v10, v4
	s_or_b32 exec_lo, exec_lo, s75
	s_and_saveexec_b32 s75, s28
	s_cbranch_execz .LBB152_74
.LBB152_106:                            ;   in Loop: Header=BB152_45 Depth=1
	v_mov_b32_e32 v4, s71
	ds_load_b32 v4, v4
	s_wait_dscnt 0x0
	v_add_nc_u32_e32 v10, v10, v4
	s_or_b32 exec_lo, exec_lo, s75
	s_and_saveexec_b32 s75, s29
	s_cbranch_execz .LBB152_75
.LBB152_107:                            ;   in Loop: Header=BB152_45 Depth=1
	v_mov_b32_e32 v4, s72
	ds_load_b32 v4, v4
	s_wait_dscnt 0x0
	v_add_nc_u32_e32 v10, v10, v4
	s_or_b32 exec_lo, exec_lo, s75
	s_and_saveexec_b32 s75, s30
	s_cbranch_execz .LBB152_76
.LBB152_108:                            ;   in Loop: Header=BB152_45 Depth=1
	v_mov_b32_e32 v4, s73
	ds_load_b32 v4, v4
	s_wait_dscnt 0x0
	v_add_nc_u32_e32 v10, v10, v4
	s_or_b32 exec_lo, exec_lo, s75
	s_delay_alu instid0(VALU_DEP_1)
	v_ashrrev_i32_e32 v11, 31, v10
	s_and_saveexec_b32 s75, s31
	s_cbranch_execz .LBB152_77
.LBB152_109:                            ;   in Loop: Header=BB152_45 Depth=1
	scratch_load_b128 v[14:17], off, off
	v_add3_u32 v4, v6, -1, v10
	v_add_lshl_u32 v13, v6, v10, 4
	s_delay_alu instid0(VALU_DEP_2) | instskip(NEXT) | instid1(VALU_DEP_2)
	v_lshl_add_u32 v4, v4, 3, 0
	v_add3_u32 v13, 0, v13, 0xfff0
	ds_store_b64 v4, v[8:9]
	s_wait_loadcnt 0x0
	ds_store_2addr_b64 v13, v[14:15], v[16:17] offset1:1
	s_or_b32 exec_lo, exec_lo, s75
	s_and_saveexec_b32 s31, vcc_lo
	s_cbranch_execz .LBB152_44
.LBB152_110:                            ;   in Loop: Header=BB152_45 Depth=1
	v_mov_b32_e32 v4, s74
	ds_store_b64 v4, v[10:11]
	s_branch .LBB152_44
.LBB152_111:
	s_or_b32 exec_lo, exec_lo, s33
	s_wait_kmcnt 0x0
	s_lshl_b64 s[0:1], s[40:41], 3
	v_mov_b32_e32 v1, 0
	s_add_nc_u64 s[4:5], s[42:43], s[0:1]
	s_mov_b32 s6, exec_lo
	s_load_b128 s[0:3], s[4:5], 0x0
	s_wait_kmcnt 0x0
	s_sub_nc_u64 s[4:5], s[2:3], s[0:1]
	s_delay_alu instid0(SALU_CYCLE_1)
	v_cmpx_gt_i64_e64 s[4:5], v[0:1]
	s_cbranch_execz .LBB152_121
; %bb.112:
	s_sub_nc_u64 s[8:9], s[0:1], s[2:3]
	s_and_b64 s[6:7], s[4:5], 7
	v_cmp_lt_u64_e64 s10, s[8:9], -7
	s_and_b64 s[2:3], s[4:5], -8
	s_mov_b32 s39, 0
	s_cmp_lg_u64 s[6:7], 0
	s_sub_nc_u64 s[0:1], s[0:1], s[38:39]
	s_cselect_b32 s11, -1, 0
	s_mov_b32 s12, 0
	s_branch .LBB152_114
.LBB152_113:                            ;   in Loop: Header=BB152_114 Depth=1
	s_wait_dscnt 0x0
	v_lshlrev_b32_e32 v2, 4, v0
	v_add_nc_u64_e32 v[0:1], 0x400, v[0:1]
	s_delay_alu instid0(VALU_DEP_2) | instskip(NEXT) | instid1(VALU_DEP_2)
	v_add3_u32 v2, 0, v2, 0x10000
	v_cmp_le_i64_e32 vcc_lo, s[4:5], v[0:1]
	ds_load_2addr_b64 v[6:9], v2 offset1:1
	v_lshl_add_u64 v[2:3], v[4:5], 4, s[36:37]
	s_or_b32 s12, vcc_lo, s12
	s_wait_dscnt 0x0
	global_store_b128 v[2:3], v[6:9], off
	s_wait_xcnt 0x0
	s_and_not1_b32 exec_lo, exec_lo, s12
	s_cbranch_execz .LBB152_121
.LBB152_114:                            ; =>This Loop Header: Depth=1
                                        ;     Child Loop BB152_116 Depth 2
                                        ;     Child Loop BB152_120 Depth 2
	v_lshl_add_u32 v2, v0, 3, 0
	v_mov_b64_e32 v[4:5], s[0:1]
	s_and_not1_b32 vcc_lo, exec_lo, s10
	s_mov_b64 s[8:9], 0
	ds_load_b64 v[2:3], v2
	s_cbranch_vccnz .LBB152_118
; %bb.115:                              ;   in Loop: Header=BB152_114 Depth=1
	v_mov_b64_e32 v[4:5], s[0:1]
	s_mov_b32 s13, 0
.LBB152_116:                            ;   Parent Loop BB152_114 Depth=1
                                        ; =>  This Inner Loop Header: Depth=2
	s_delay_alu instid0(SALU_CYCLE_1)
	v_dual_mov_b32 v18, s13 :: v_dual_mov_b32 v15, s39
	v_mov_b32_e32 v17, s39
	s_add_nc_u64 s[8:9], s[8:9], 8
	s_add_co_i32 s13, s13, 64
	ds_load_2addr_b64 v[6:9], v18 offset1:1
	ds_load_2addr_b64 v[10:13], v18 offset0:2 offset1:3
	s_cmp_eq_u64 s[2:3], s[8:9]
	s_wait_dscnt 0x1
	v_cmp_gt_i64_e32 vcc_lo, v[2:3], v[6:7]
	v_cndmask_b32_e64 v14, 0, 1, vcc_lo
	v_cmp_gt_i64_e32 vcc_lo, v[2:3], v[8:9]
	s_delay_alu instid0(VALU_DEP_2) | instskip(SKIP_4) | instid1(VALU_DEP_2)
	v_add_nc_u64_e32 v[8:9], v[4:5], v[14:15]
	ds_load_2addr_b64 v[4:7], v18 offset0:4 offset1:5
	v_cndmask_b32_e64 v16, 0, 1, vcc_lo
	s_wait_dscnt 0x1
	v_cmp_gt_i64_e32 vcc_lo, v[2:3], v[10:11]
	v_add_nc_u64_e32 v[8:9], v[8:9], v[16:17]
	v_cndmask_b32_e64 v14, 0, 1, vcc_lo
	v_cmp_gt_i64_e32 vcc_lo, v[2:3], v[12:13]
	s_delay_alu instid0(VALU_DEP_2)
	v_add_nc_u64_e32 v[12:13], v[8:9], v[14:15]
	ds_load_2addr_b64 v[8:11], v18 offset0:6 offset1:7
	v_cndmask_b32_e64 v16, 0, 1, vcc_lo
	s_wait_dscnt 0x1
	v_cmp_gt_i64_e32 vcc_lo, v[2:3], v[4:5]
	v_mov_b32_e32 v5, s39
	s_delay_alu instid0(VALU_DEP_3) | instskip(SKIP_3) | instid1(VALU_DEP_3)
	v_add_nc_u64_e32 v[12:13], v[12:13], v[16:17]
	v_cndmask_b32_e64 v14, 0, 1, vcc_lo
	v_cmp_gt_i64_e32 vcc_lo, v[2:3], v[6:7]
	v_mov_b32_e32 v7, s39
	v_add_nc_u64_e32 v[12:13], v[12:13], v[14:15]
	v_cndmask_b32_e64 v4, 0, 1, vcc_lo
	s_wait_dscnt 0x0
	v_cmp_gt_i64_e32 vcc_lo, v[2:3], v[8:9]
	v_mov_b32_e32 v9, s39
	s_delay_alu instid0(VALU_DEP_3) | instskip(SKIP_2) | instid1(VALU_DEP_2)
	v_add_nc_u64_e32 v[4:5], v[12:13], v[4:5]
	v_cndmask_b32_e64 v6, 0, 1, vcc_lo
	v_cmp_gt_i64_e32 vcc_lo, v[2:3], v[10:11]
	v_add_nc_u64_e32 v[4:5], v[4:5], v[6:7]
	v_cndmask_b32_e64 v8, 0, 1, vcc_lo
	s_delay_alu instid0(VALU_DEP_1)
	v_add_nc_u64_e32 v[4:5], v[4:5], v[8:9]
	s_cbranch_scc0 .LBB152_116
; %bb.117:                              ;   in Loop: Header=BB152_114 Depth=1
	s_mov_b64 s[8:9], s[2:3]
.LBB152_118:                            ;   in Loop: Header=BB152_114 Depth=1
	s_and_not1_b32 vcc_lo, exec_lo, s11
	s_cbranch_vccnz .LBB152_113
; %bb.119:                              ;   in Loop: Header=BB152_114 Depth=1
	s_lshl_b32 s8, s8, 3
	s_delay_alu instid0(SALU_CYCLE_1)
	s_add_co_i32 s13, s8, 0
	s_mov_b64 s[8:9], s[6:7]
.LBB152_120:                            ;   Parent Loop BB152_114 Depth=1
                                        ; =>  This Inner Loop Header: Depth=2
	v_dual_mov_b32 v6, s13 :: v_dual_mov_b32 v9, s39
	s_add_nc_u64 s[8:9], s[8:9], -1
	s_add_co_i32 s13, s13, 8
	s_cmp_lg_u64 s[8:9], 0
	ds_load_b64 v[6:7], v6
	s_wait_dscnt 0x0
	v_cmp_gt_i64_e32 vcc_lo, v[2:3], v[6:7]
	v_cndmask_b32_e64 v8, 0, 1, vcc_lo
	s_delay_alu instid0(VALU_DEP_1)
	v_add_nc_u64_e32 v[4:5], v[4:5], v[8:9]
	s_cbranch_scc1 .LBB152_120
	s_branch .LBB152_113
.LBB152_121:
	s_endpgm
	.section	.rodata,"a",@progbits
	.p2align	6, 0x0
	.amdhsa_kernel _ZN9rocsparseL41csrgemm_numeric_fill_block_per_row_kernelILj1024ELj64ELj8192ELj137ELj32Ell21rocsparse_complex_numIdEEEvT5_PKS3_S5_NS_24const_host_device_scalarIT6_EEPKT4_S5_PKS7_SB_S5_SD_S8_SB_S5_SD_SB_S5_PS7_21rocsparse_index_base_SF_SF_SF_bbb
		.amdhsa_group_segment_fixed_size 0
		.amdhsa_private_segment_fixed_size 40
		.amdhsa_kernarg_size 172
		.amdhsa_user_sgpr_count 2
		.amdhsa_user_sgpr_dispatch_ptr 0
		.amdhsa_user_sgpr_queue_ptr 0
		.amdhsa_user_sgpr_kernarg_segment_ptr 1
		.amdhsa_user_sgpr_dispatch_id 0
		.amdhsa_user_sgpr_kernarg_preload_length 0
		.amdhsa_user_sgpr_kernarg_preload_offset 0
		.amdhsa_user_sgpr_private_segment_size 0
		.amdhsa_wavefront_size32 1
		.amdhsa_uses_dynamic_stack 0
		.amdhsa_enable_private_segment 1
		.amdhsa_system_sgpr_workgroup_id_x 1
		.amdhsa_system_sgpr_workgroup_id_y 0
		.amdhsa_system_sgpr_workgroup_id_z 0
		.amdhsa_system_sgpr_workgroup_info 0
		.amdhsa_system_vgpr_workitem_id 0
		.amdhsa_next_free_vgpr 36
		.amdhsa_next_free_sgpr 76
		.amdhsa_named_barrier_count 0
		.amdhsa_reserve_vcc 1
		.amdhsa_float_round_mode_32 0
		.amdhsa_float_round_mode_16_64 0
		.amdhsa_float_denorm_mode_32 3
		.amdhsa_float_denorm_mode_16_64 3
		.amdhsa_fp16_overflow 0
		.amdhsa_memory_ordered 1
		.amdhsa_forward_progress 1
		.amdhsa_inst_pref_size 40
		.amdhsa_round_robin_scheduling 0
		.amdhsa_exception_fp_ieee_invalid_op 0
		.amdhsa_exception_fp_denorm_src 0
		.amdhsa_exception_fp_ieee_div_zero 0
		.amdhsa_exception_fp_ieee_overflow 0
		.amdhsa_exception_fp_ieee_underflow 0
		.amdhsa_exception_fp_ieee_inexact 0
		.amdhsa_exception_int_div_zero 0
	.end_amdhsa_kernel
	.section	.text._ZN9rocsparseL41csrgemm_numeric_fill_block_per_row_kernelILj1024ELj64ELj8192ELj137ELj32Ell21rocsparse_complex_numIdEEEvT5_PKS3_S5_NS_24const_host_device_scalarIT6_EEPKT4_S5_PKS7_SB_S5_SD_S8_SB_S5_SD_SB_S5_PS7_21rocsparse_index_base_SF_SF_SF_bbb,"axG",@progbits,_ZN9rocsparseL41csrgemm_numeric_fill_block_per_row_kernelILj1024ELj64ELj8192ELj137ELj32Ell21rocsparse_complex_numIdEEEvT5_PKS3_S5_NS_24const_host_device_scalarIT6_EEPKT4_S5_PKS7_SB_S5_SD_S8_SB_S5_SD_SB_S5_PS7_21rocsparse_index_base_SF_SF_SF_bbb,comdat
.Lfunc_end152:
	.size	_ZN9rocsparseL41csrgemm_numeric_fill_block_per_row_kernelILj1024ELj64ELj8192ELj137ELj32Ell21rocsparse_complex_numIdEEEvT5_PKS3_S5_NS_24const_host_device_scalarIT6_EEPKT4_S5_PKS7_SB_S5_SD_S8_SB_S5_SD_SB_S5_PS7_21rocsparse_index_base_SF_SF_SF_bbb, .Lfunc_end152-_ZN9rocsparseL41csrgemm_numeric_fill_block_per_row_kernelILj1024ELj64ELj8192ELj137ELj32Ell21rocsparse_complex_numIdEEEvT5_PKS3_S5_NS_24const_host_device_scalarIT6_EEPKT4_S5_PKS7_SB_S5_SD_S8_SB_S5_SD_SB_S5_PS7_21rocsparse_index_base_SF_SF_SF_bbb
                                        ; -- End function
	.set _ZN9rocsparseL41csrgemm_numeric_fill_block_per_row_kernelILj1024ELj64ELj8192ELj137ELj32Ell21rocsparse_complex_numIdEEEvT5_PKS3_S5_NS_24const_host_device_scalarIT6_EEPKT4_S5_PKS7_SB_S5_SD_S8_SB_S5_SD_SB_S5_PS7_21rocsparse_index_base_SF_SF_SF_bbb.num_vgpr, 36
	.set _ZN9rocsparseL41csrgemm_numeric_fill_block_per_row_kernelILj1024ELj64ELj8192ELj137ELj32Ell21rocsparse_complex_numIdEEEvT5_PKS3_S5_NS_24const_host_device_scalarIT6_EEPKT4_S5_PKS7_SB_S5_SD_S8_SB_S5_SD_SB_S5_PS7_21rocsparse_index_base_SF_SF_SF_bbb.num_agpr, 0
	.set _ZN9rocsparseL41csrgemm_numeric_fill_block_per_row_kernelILj1024ELj64ELj8192ELj137ELj32Ell21rocsparse_complex_numIdEEEvT5_PKS3_S5_NS_24const_host_device_scalarIT6_EEPKT4_S5_PKS7_SB_S5_SD_S8_SB_S5_SD_SB_S5_PS7_21rocsparse_index_base_SF_SF_SF_bbb.numbered_sgpr, 76
	.set _ZN9rocsparseL41csrgemm_numeric_fill_block_per_row_kernelILj1024ELj64ELj8192ELj137ELj32Ell21rocsparse_complex_numIdEEEvT5_PKS3_S5_NS_24const_host_device_scalarIT6_EEPKT4_S5_PKS7_SB_S5_SD_S8_SB_S5_SD_SB_S5_PS7_21rocsparse_index_base_SF_SF_SF_bbb.num_named_barrier, 0
	.set _ZN9rocsparseL41csrgemm_numeric_fill_block_per_row_kernelILj1024ELj64ELj8192ELj137ELj32Ell21rocsparse_complex_numIdEEEvT5_PKS3_S5_NS_24const_host_device_scalarIT6_EEPKT4_S5_PKS7_SB_S5_SD_S8_SB_S5_SD_SB_S5_PS7_21rocsparse_index_base_SF_SF_SF_bbb.private_seg_size, 40
	.set _ZN9rocsparseL41csrgemm_numeric_fill_block_per_row_kernelILj1024ELj64ELj8192ELj137ELj32Ell21rocsparse_complex_numIdEEEvT5_PKS3_S5_NS_24const_host_device_scalarIT6_EEPKT4_S5_PKS7_SB_S5_SD_S8_SB_S5_SD_SB_S5_PS7_21rocsparse_index_base_SF_SF_SF_bbb.uses_vcc, 1
	.set _ZN9rocsparseL41csrgemm_numeric_fill_block_per_row_kernelILj1024ELj64ELj8192ELj137ELj32Ell21rocsparse_complex_numIdEEEvT5_PKS3_S5_NS_24const_host_device_scalarIT6_EEPKT4_S5_PKS7_SB_S5_SD_S8_SB_S5_SD_SB_S5_PS7_21rocsparse_index_base_SF_SF_SF_bbb.uses_flat_scratch, 1
	.set _ZN9rocsparseL41csrgemm_numeric_fill_block_per_row_kernelILj1024ELj64ELj8192ELj137ELj32Ell21rocsparse_complex_numIdEEEvT5_PKS3_S5_NS_24const_host_device_scalarIT6_EEPKT4_S5_PKS7_SB_S5_SD_S8_SB_S5_SD_SB_S5_PS7_21rocsparse_index_base_SF_SF_SF_bbb.has_dyn_sized_stack, 0
	.set _ZN9rocsparseL41csrgemm_numeric_fill_block_per_row_kernelILj1024ELj64ELj8192ELj137ELj32Ell21rocsparse_complex_numIdEEEvT5_PKS3_S5_NS_24const_host_device_scalarIT6_EEPKT4_S5_PKS7_SB_S5_SD_S8_SB_S5_SD_SB_S5_PS7_21rocsparse_index_base_SF_SF_SF_bbb.has_recursion, 0
	.set _ZN9rocsparseL41csrgemm_numeric_fill_block_per_row_kernelILj1024ELj64ELj8192ELj137ELj32Ell21rocsparse_complex_numIdEEEvT5_PKS3_S5_NS_24const_host_device_scalarIT6_EEPKT4_S5_PKS7_SB_S5_SD_S8_SB_S5_SD_SB_S5_PS7_21rocsparse_index_base_SF_SF_SF_bbb.has_indirect_call, 0
	.section	.AMDGPU.csdata,"",@progbits
; Kernel info:
; codeLenInByte = 5016
; TotalNumSgprs: 78
; NumVgprs: 36
; ScratchSize: 40
; MemoryBound: 0
; FloatMode: 240
; IeeeMode: 1
; LDSByteSize: 0 bytes/workgroup (compile time only)
; SGPRBlocks: 0
; VGPRBlocks: 2
; NumSGPRsForWavesPerEU: 78
; NumVGPRsForWavesPerEU: 36
; NamedBarCnt: 0
; Occupancy: 16
; WaveLimiterHint : 1
; COMPUTE_PGM_RSRC2:SCRATCH_EN: 1
; COMPUTE_PGM_RSRC2:USER_SGPR: 2
; COMPUTE_PGM_RSRC2:TRAP_HANDLER: 0
; COMPUTE_PGM_RSRC2:TGID_X_EN: 1
; COMPUTE_PGM_RSRC2:TGID_Y_EN: 0
; COMPUTE_PGM_RSRC2:TGID_Z_EN: 0
; COMPUTE_PGM_RSRC2:TIDIG_COMP_CNT: 0
	.section	.text._ZN9rocsparseL41csrgemm_numeric_fill_block_per_row_kernelILj1024ELj64ELj8192ELj137ELj64Ell21rocsparse_complex_numIdEEEvT5_PKS3_S5_NS_24const_host_device_scalarIT6_EEPKT4_S5_PKS7_SB_S5_SD_S8_SB_S5_SD_SB_S5_PS7_21rocsparse_index_base_SF_SF_SF_bbb,"axG",@progbits,_ZN9rocsparseL41csrgemm_numeric_fill_block_per_row_kernelILj1024ELj64ELj8192ELj137ELj64Ell21rocsparse_complex_numIdEEEvT5_PKS3_S5_NS_24const_host_device_scalarIT6_EEPKT4_S5_PKS7_SB_S5_SD_S8_SB_S5_SD_SB_S5_PS7_21rocsparse_index_base_SF_SF_SF_bbb,comdat
	.globl	_ZN9rocsparseL41csrgemm_numeric_fill_block_per_row_kernelILj1024ELj64ELj8192ELj137ELj64Ell21rocsparse_complex_numIdEEEvT5_PKS3_S5_NS_24const_host_device_scalarIT6_EEPKT4_S5_PKS7_SB_S5_SD_S8_SB_S5_SD_SB_S5_PS7_21rocsparse_index_base_SF_SF_SF_bbb ; -- Begin function _ZN9rocsparseL41csrgemm_numeric_fill_block_per_row_kernelILj1024ELj64ELj8192ELj137ELj64Ell21rocsparse_complex_numIdEEEvT5_PKS3_S5_NS_24const_host_device_scalarIT6_EEPKT4_S5_PKS7_SB_S5_SD_S8_SB_S5_SD_SB_S5_PS7_21rocsparse_index_base_SF_SF_SF_bbb
	.p2align	8
	.type	_ZN9rocsparseL41csrgemm_numeric_fill_block_per_row_kernelILj1024ELj64ELj8192ELj137ELj64Ell21rocsparse_complex_numIdEEEvT5_PKS3_S5_NS_24const_host_device_scalarIT6_EEPKT4_S5_PKS7_SB_S5_SD_S8_SB_S5_SD_SB_S5_PS7_21rocsparse_index_base_SF_SF_SF_bbb,@function
_ZN9rocsparseL41csrgemm_numeric_fill_block_per_row_kernelILj1024ELj64ELj8192ELj137ELj64Ell21rocsparse_complex_numIdEEEvT5_PKS3_S5_NS_24const_host_device_scalarIT6_EEPKT4_S5_PKS7_SB_S5_SD_S8_SB_S5_SD_SB_S5_PS7_21rocsparse_index_base_SF_SF_SF_bbb: ; @_ZN9rocsparseL41csrgemm_numeric_fill_block_per_row_kernelILj1024ELj64ELj8192ELj137ELj64Ell21rocsparse_complex_numIdEEEvT5_PKS3_S5_NS_24const_host_device_scalarIT6_EEPKT4_S5_PKS7_SB_S5_SD_S8_SB_S5_SD_SB_S5_PS7_21rocsparse_index_base_SF_SF_SF_bbb
; %bb.0:
	s_clause 0x4
	s_load_b32 s3, s[0:1], 0xa8
	s_load_b128 s[8:11], s[0:1], 0x18
	s_load_b128 s[4:7], s[0:1], 0x58
	s_load_b64 s[12:13], s[0:1], 0x8
	s_load_b128 s[16:19], s[0:1], 0x98
	v_mov_b64_e32 v[6:7], 0
	v_mov_b64_e32 v[12:13], 0
	;; [unrolled: 1-line block ×3, first 2 shown]
	v_mbcnt_lo_u32_b32 v37, -1, 0
	s_wait_kmcnt 0x0
	s_bitcmp1_b32 s3, 0
	v_mov_b64_e32 v[2:3], s[8:9]
	s_cselect_b32 s14, -1, 0
	s_bitcmp1_b32 s3, 16
	v_mov_b64_e32 v[4:5], s[4:5]
	s_cselect_b32 s2, -1, 0
	s_clause 0x1
	scratch_store_b64 off, v[2:3], off offset:16
	scratch_store_b64 off, v[4:5], off offset:24
	s_xor_b32 s15, s2, -1
	s_bitcmp0_b32 s3, 0
	v_cndmask_b32_e64 v1, 0, 1, s15
	s_delay_alu instid0(VALU_DEP_1)
	v_cmp_ne_u32_e32 vcc_lo, 1, v1
	s_cbranch_scc1 .LBB153_3
; %bb.1:
	s_wait_xcnt 0x1
	v_dual_mov_b32 v2, 16 :: v_dual_lshlrev_b32 v3, 20, v37
	v_mov_b64_e32 v[14:15], s[10:11]
	s_and_b32 vcc_lo, exec_lo, vcc_lo
	s_delay_alu instid0(VALU_DEP_2) | instskip(NEXT) | instid1(VALU_DEP_1)
	v_add_nc_u64_e32 v[2:3], src_flat_scratch_base_lo, v[2:3]
	v_cndmask_b32_e64 v3, s9, v3, s2
	s_delay_alu instid0(VALU_DEP_2)
	v_cndmask_b32_e64 v2, s8, v2, s2
	flat_load_b64 v[12:13], v[2:3]
	s_cbranch_vccnz .LBB153_3
; %bb.2:
	v_mov_b32_e32 v1, 0
	flat_load_b64 v[14:15], v1, s[8:9] offset:8
.LBB153_3:
	s_wait_xcnt 0x0
	s_load_b64 s[8:9], s[0:1], 0x10
	v_mov_b64_e32 v[8:9], 0
	s_bitcmp1_b32 s3, 8
	s_cselect_b32 s26, -1, 0
	s_bfe_u32 s3, s3, 0x10008
	s_delay_alu instid0(SALU_CYCLE_1)
	s_cmp_eq_u32 s3, 0
	s_cbranch_scc1 .LBB153_6
; %bb.4:
	v_dual_mov_b32 v2, 24 :: v_dual_lshlrev_b32 v3, 20, v37
	v_mov_b64_e32 v[6:7], s[6:7]
	s_and_not1_b32 vcc_lo, exec_lo, s15
	s_delay_alu instid0(VALU_DEP_2) | instskip(NEXT) | instid1(VALU_DEP_1)
	v_add_nc_u64_e32 v[2:3], src_flat_scratch_base_lo, v[2:3]
	v_cndmask_b32_e64 v3, s5, v3, s2
	s_delay_alu instid0(VALU_DEP_2)
	v_cndmask_b32_e64 v2, s4, v2, s2
	flat_load_b64 v[8:9], v[2:3]
	s_cbranch_vccnz .LBB153_6
; %bb.5:
	v_mov_b32_e32 v1, 0
	flat_load_b64 v[6:7], v1, s[4:5] offset:8
.LBB153_6:
	s_load_b64 s[20:21], s[0:1], 0x0
	v_lshl_add_u32 v1, v0, 4, 0
	s_mov_b32 s3, 0
	v_lshl_add_u32 v36, v0, 3, 0
	s_mov_b32 s2, s3
	s_mov_b32 s4, s3
	v_add_nc_u32_e32 v10, 0x10000, v1
	s_mov_b32 s5, s3
	v_mov_b64_e32 v[2:3], s[2:3]
	v_mov_b64_e32 v[4:5], s[4:5]
	v_add_nc_u32_e32 v26, 0x20000, v1
	v_add_nc_u32_e32 v11, 0x4000, v10
	;; [unrolled: 1-line block ×4, first 2 shown]
	ds_store_2addr_b64 v10, v[2:3], v[4:5] offset1:1
	ds_store_2addr_b64 v11, v[2:3], v[4:5] offset1:1
	s_bfe_u32 s2, ttmp6, 0x4000c
	s_and_b32 s6, ttmp6, 15
	s_add_co_i32 s2, s2, 1
	s_wait_kmcnt 0x0
	v_mov_b64_e32 v[10:11], s[20:21]
	v_mov_b64_e32 v[16:17], s[20:21]
	;; [unrolled: 1-line block ×6, first 2 shown]
	ds_store_2addr_b64 v27, v[2:3], v[4:5] offset1:1
	ds_store_2addr_b64 v28, v[2:3], v[4:5] offset1:1
	ds_store_2addr_stride64_b64 v36, v[10:11], v[16:17] offset1:16
	ds_store_2addr_stride64_b64 v36, v[18:19], v[20:21] offset0:32 offset1:48
	ds_store_2addr_stride64_b64 v36, v[22:23], v[24:25] offset0:64 offset1:80
	v_add_nc_u32_e32 v18, 0x24000, v1
	v_add_nc_u32_e32 v19, 0x28000, v1
	v_add_nc_u32_e32 v1, 0x2c000, v1
	ds_store_2addr_b64 v26, v[2:3], v[4:5] offset1:1
	ds_store_2addr_b64 v18, v[2:3], v[4:5] offset1:1
	ds_store_2addr_stride64_b64 v36, v[10:11], v[16:17] offset0:96 offset1:112
	ds_store_2addr_b64 v19, v[2:3], v[4:5] offset1:1
	ds_store_2addr_b64 v1, v[2:3], v[4:5] offset1:1
	s_wait_storecnt 0x0
	s_wait_loadcnt_dscnt 0x0
	s_barrier_signal -1
	s_barrier_wait -1
	s_load_b64 s[4:5], s[12:13], 0x0
	s_mul_i32 s2, ttmp9, s2
	s_getreg_b32 s7, hwreg(HW_REG_IB_STS2, 6, 4)
	s_add_co_i32 s6, s6, s2
	v_lshrrev_b32_e32 v10, 6, v0
	s_wait_kmcnt 0x0
	s_lshl_b64 s[4:5], s[4:5], 3
	s_cmp_eq_u32 s7, 0
	s_add_nc_u64 s[4:5], s[8:9], s[4:5]
	s_cselect_b32 s2, ttmp9, s6
	s_and_not1_b32 vcc_lo, exec_lo, s14
	s_load_b64 s[22:23], s[4:5], s2 offset:0x0 scale_offset
	s_cbranch_vccnz .LBB153_26
; %bb.7:
	s_wait_xcnt 0x0
	s_load_b64 s[4:5], s[0:1], 0x28
	s_wait_kmcnt 0x0
	s_lshl_b64 s[6:7], s[22:23], 3
	v_mov_b32_e32 v11, 0
	s_mov_b32 s2, s16
	s_mov_b32 s16, exec_lo
	s_delay_alu instid0(VALU_DEP_1) | instskip(SKIP_3) | instid1(VALU_DEP_1)
	v_sub_nc_u64_e64 v[2:3], v[10:11], s[2:3]
	s_add_nc_u64 s[8:9], s[4:5], s[6:7]
	s_load_b128 s[4:7], s[8:9], 0x0
	s_wait_kmcnt 0x0
	v_add_nc_u64_e32 v[16:17], s[4:5], v[2:3]
	s_sub_nc_u64 s[12:13], s[6:7], s[2:3]
	s_delay_alu instid0(VALU_DEP_1) | instid1(SALU_CYCLE_1)
	v_cmpx_gt_i64_e64 s[12:13], v[16:17]
	s_cbranch_execz .LBB153_25
; %bb.8:
	s_clause 0x1
	s_load_b64 s[14:15], s[0:1], 0x50
	s_load_b256 s[4:11], s[0:1], 0x30
	v_dual_mov_b32 v3, v11 :: v_dual_bitop2_b32 v2, 63, v0 bitop3:0x40
	s_mov_b32 s25, 0
	s_mov_b32 s24, s17
	;; [unrolled: 1-line block ×3, first 2 shown]
	s_delay_alu instid0(VALU_DEP_1)
	v_sub_nc_u64_e64 v[18:19], v[2:3], s[24:25]
	s_branch .LBB153_10
.LBB153_9:                              ;   in Loop: Header=BB153_10 Depth=1
	s_or_b32 exec_lo, exec_lo, s27
	v_add_nc_u64_e32 v[16:17], 16, v[16:17]
	s_delay_alu instid0(VALU_DEP_1) | instskip(SKIP_1) | instid1(SALU_CYCLE_1)
	v_cmp_le_i64_e32 vcc_lo, s[12:13], v[16:17]
	s_or_b32 s17, vcc_lo, s17
	s_and_not1_b32 exec_lo, exec_lo, s17
	s_cbranch_execz .LBB153_25
.LBB153_10:                             ; =>This Loop Header: Depth=1
                                        ;     Child Loop BB153_14 Depth 2
                                        ;       Child Loop BB153_17 Depth 3
	s_wait_kmcnt 0x0
	v_lshl_add_u64 v[2:3], v[16:17], 3, s[4:5]
	s_mov_b32 s27, exec_lo
	global_load_b64 v[2:3], v[2:3], off
	s_wait_loadcnt 0x0
	s_wait_xcnt 0x0
	v_sub_nc_u64_e64 v[2:3], v[2:3], s[2:3]
	s_delay_alu instid0(VALU_DEP_1)
	v_lshl_add_u64 v[2:3], v[2:3], 3, s[8:9]
	global_load_b128 v[2:5], v[2:3], off
	s_wait_loadcnt 0x0
	v_sub_nc_u64_e64 v[20:21], v[4:5], s[24:25]
	v_add_nc_u64_e32 v[22:23], v[2:3], v[18:19]
	s_wait_xcnt 0x0
	s_delay_alu instid0(VALU_DEP_1)
	v_cmpx_lt_i64_e64 v[22:23], v[20:21]
	s_cbranch_execz .LBB153_9
; %bb.11:                               ;   in Loop: Header=BB153_10 Depth=1
	v_lshl_add_u64 v[2:3], v[16:17], 4, s[6:7]
	s_mov_b32 s28, 0
	global_load_b128 v[2:5], v[2:3], off
	s_wait_loadcnt 0x0
	v_mul_f64_e64 v[24:25], v[4:5], -v[14:15]
	v_mul_f64_e32 v[26:27], v[12:13], v[4:5]
	s_delay_alu instid0(VALU_DEP_2) | instskip(NEXT) | instid1(VALU_DEP_2)
	v_fmac_f64_e32 v[24:25], v[12:13], v[2:3]
	v_fmac_f64_e32 v[26:27], v[14:15], v[2:3]
	s_branch .LBB153_14
.LBB153_12:                             ;   in Loop: Header=BB153_14 Depth=2
	s_or_b32 exec_lo, exec_lo, s30
.LBB153_13:                             ;   in Loop: Header=BB153_14 Depth=2
	s_delay_alu instid0(SALU_CYCLE_1) | instskip(SKIP_4) | instid1(VALU_DEP_3)
	s_or_b32 exec_lo, exec_lo, s29
	s_wait_loadcnt 0x0
	v_dual_mul_f64 v[30:31], v[4:5], -v[26:27] :: v_dual_lshlrev_b32 v1, 4, v28
	v_mul_f64_e32 v[4:5], v[24:25], v[4:5]
	v_add_nc_u64_e32 v[22:23], 64, v[22:23]
	v_add3_u32 v1, 0, v1, 0x10000
	s_delay_alu instid0(VALU_DEP_2)
	v_cmp_ge_i64_e32 vcc_lo, v[22:23], v[20:21]
	s_or_b32 s28, vcc_lo, s28
	v_fmac_f64_e32 v[30:31], v[24:25], v[2:3]
	v_fmac_f64_e32 v[4:5], v[26:27], v[2:3]
	ds_add_f64 v1, v[30:31]
	ds_add_f64 v1, v[4:5] offset:8
	s_and_not1_b32 exec_lo, exec_lo, s28
	s_cbranch_execz .LBB153_9
.LBB153_14:                             ;   Parent Loop BB153_10 Depth=1
                                        ; =>  This Loop Header: Depth=2
                                        ;       Child Loop BB153_17 Depth 3
	s_wait_xcnt 0x0
	v_lshl_add_u64 v[2:3], v[22:23], 3, s[10:11]
	s_mov_b32 s29, exec_lo
	global_load_b64 v[28:29], v[2:3], off
	s_wait_xcnt 0x0
	v_lshl_add_u64 v[2:3], v[22:23], 4, s[14:15]
	global_load_b128 v[2:5], v[2:3], off
	s_wait_loadcnt 0x1
	v_sub_nc_u64_e64 v[30:31], v[28:29], s[24:25]
	s_delay_alu instid0(VALU_DEP_1) | instskip(NEXT) | instid1(VALU_DEP_1)
	v_mul_lo_u32 v1, 0x89, v30
	v_and_b32_e32 v28, 0x1fff, v1
	s_delay_alu instid0(VALU_DEP_1)
	v_lshl_add_u32 v1, v28, 3, 0
	ds_load_b64 v[34:35], v1
	s_wait_dscnt 0x0
	s_wait_xcnt 0x0
	v_cmpx_ne_u64_e64 v[34:35], v[30:31]
	s_cbranch_execz .LBB153_13
; %bb.15:                               ;   in Loop: Header=BB153_14 Depth=2
	s_mov_b32 s30, 0
                                        ; implicit-def: $sgpr31
                                        ; implicit-def: $sgpr33
	s_branch .LBB153_17
.LBB153_16:                             ;   in Loop: Header=BB153_17 Depth=3
	s_or_b32 exec_lo, exec_lo, s36
	s_delay_alu instid0(SALU_CYCLE_1) | instskip(NEXT) | instid1(SALU_CYCLE_1)
	s_and_b32 s34, exec_lo, s35
	s_or_b32 s30, s34, s30
	s_and_not1_b32 s31, s31, exec_lo
	s_and_b32 s34, s33, exec_lo
	s_delay_alu instid0(SALU_CYCLE_1)
	s_or_b32 s31, s31, s34
	s_and_not1_b32 exec_lo, exec_lo, s30
	s_cbranch_execz .LBB153_23
.LBB153_17:                             ;   Parent Loop BB153_10 Depth=1
                                        ;     Parent Loop BB153_14 Depth=2
                                        ; =>    This Inner Loop Header: Depth=3
	v_mov_b64_e32 v[32:33], v[28:29]
	s_mov_b32 s34, 0
	s_mov_b32 s35, exec_lo
                                        ; implicit-def: $vgpr28_vgpr29
	v_cmpx_ne_u64_e64 s[20:21], v[34:35]
	s_xor_b32 s35, exec_lo, s35
; %bb.18:                               ;   in Loop: Header=BB153_17 Depth=3
	s_delay_alu instid0(VALU_DEP_2) | instskip(SKIP_1) | instid1(VALU_DEP_1)
	v_add_nc_u32_e32 v1, 1, v32
	s_mov_b32 s34, exec_lo
	v_and_b32_e32 v28, 0x1fff, v1
                                        ; implicit-def: $vgpr1
; %bb.19:                               ;   in Loop: Header=BB153_17 Depth=3
	s_and_not1_saveexec_b32 s35, s35
	s_cbranch_execz .LBB153_21
; %bb.20:                               ;   in Loop: Header=BB153_17 Depth=3
	v_mov_b64_e32 v[28:29], s[20:21]
	s_and_not1_b32 s34, s34, exec_lo
	ds_cmpstore_rtn_b64 v[28:29], v1, v[30:31], v[28:29]
	s_wait_dscnt 0x0
	v_cmp_ne_u64_e32 vcc_lo, s[20:21], v[28:29]
	v_mov_b64_e32 v[28:29], v[32:33]
	s_and_b32 s36, vcc_lo, exec_lo
	s_delay_alu instid0(SALU_CYCLE_1)
	s_or_b32 s34, s34, s36
.LBB153_21:                             ;   in Loop: Header=BB153_17 Depth=3
	s_or_b32 exec_lo, exec_lo, s35
	s_mov_b32 s35, -1
	s_or_b32 s33, s33, exec_lo
                                        ; implicit-def: $vgpr1
                                        ; implicit-def: $vgpr34_vgpr35
	s_and_saveexec_b32 s36, s34
	s_cbranch_execz .LBB153_16
; %bb.22:                               ;   in Loop: Header=BB153_17 Depth=3
	v_lshl_add_u32 v1, v28, 3, 0
	s_and_not1_b32 s33, s33, exec_lo
	ds_load_b64 v[34:35], v1
	s_wait_dscnt 0x0
	v_cmp_eq_u64_e32 vcc_lo, v[34:35], v[30:31]
	s_or_not1_b32 s35, vcc_lo, exec_lo
	s_branch .LBB153_16
.LBB153_23:                             ;   in Loop: Header=BB153_14 Depth=2
	s_or_b32 exec_lo, exec_lo, s30
	s_and_saveexec_b32 s30, s31
	s_delay_alu instid0(SALU_CYCLE_1)
	s_xor_b32 s30, exec_lo, s30
	s_cbranch_execz .LBB153_12
; %bb.24:                               ;   in Loop: Header=BB153_14 Depth=2
	v_mov_b32_e32 v28, v32
	s_branch .LBB153_12
.LBB153_25:
	s_or_b32 exec_lo, exec_lo, s16
.LBB153_26:
	s_delay_alu instid0(SALU_CYCLE_1)
	s_and_not1_b32 vcc_lo, exec_lo, s26
	s_cbranch_vccnz .LBB153_43
; %bb.27:
	s_wait_xcnt 0x0
	s_load_b64 s[2:3], s[0:1], 0x68
	s_wait_kmcnt 0x0
	s_lshl_b64 s[4:5], s[22:23], 3
	v_mov_b32_e32 v1, 0
	s_mov_b32 s10, exec_lo
	s_add_nc_u64 s[2:3], s[2:3], s[4:5]
	s_load_b128 s[4:7], s[2:3], 0x0
	s_wait_xcnt 0x0
	s_mov_b32 s3, 0
	s_mov_b32 s2, s19
	s_delay_alu instid0(SALU_CYCLE_1) | instskip(SKIP_1) | instid1(VALU_DEP_1)
	v_sub_nc_u64_e64 v[2:3], v[0:1], s[2:3]
	s_wait_kmcnt 0x0
	v_add_nc_u64_e32 v[12:13], s[4:5], v[2:3]
	s_sub_nc_u64 s[8:9], s[6:7], s[2:3]
	s_delay_alu instid0(VALU_DEP_1) | instid1(SALU_CYCLE_1)
	v_cmpx_gt_i64_e64 s[8:9], v[12:13]
	s_cbranch_execz .LBB153_42
; %bb.28:
	s_load_b128 s[4:7], s[0:1], 0x70
	s_mov_b32 s11, s3
	s_branch .LBB153_31
.LBB153_29:                             ;   in Loop: Header=BB153_31 Depth=1
	s_or_b32 exec_lo, exec_lo, s13
.LBB153_30:                             ;   in Loop: Header=BB153_31 Depth=1
	s_delay_alu instid0(SALU_CYCLE_1) | instskip(SKIP_4) | instid1(VALU_DEP_2)
	s_or_b32 exec_lo, exec_lo, s12
	s_wait_loadcnt 0x0
	v_mul_f64_e64 v[16:17], v[4:5], -v[6:7]
	v_dual_mul_f64 v[4:5], v[8:9], v[4:5] :: v_dual_lshlrev_b32 v1, 4, v14
	v_add_nc_u64_e32 v[12:13], 0x400, v[12:13]
	v_add3_u32 v1, 0, v1, 0x10000
	s_delay_alu instid0(VALU_DEP_2)
	v_cmp_le_i64_e32 vcc_lo, s[8:9], v[12:13]
	s_or_b32 s11, vcc_lo, s11
	v_fmac_f64_e32 v[16:17], v[8:9], v[2:3]
	v_fmac_f64_e32 v[4:5], v[6:7], v[2:3]
	ds_add_f64 v1, v[16:17]
	ds_add_f64 v1, v[4:5] offset:8
	s_and_not1_b32 exec_lo, exec_lo, s11
	s_cbranch_execz .LBB153_42
.LBB153_31:                             ; =>This Loop Header: Depth=1
                                        ;     Child Loop BB153_34 Depth 2
	s_wait_kmcnt 0x0
	v_lshl_add_u64 v[2:3], v[12:13], 3, s[4:5]
	s_mov_b32 s12, exec_lo
	global_load_b64 v[14:15], v[2:3], off
	s_wait_xcnt 0x0
	v_lshl_add_u64 v[2:3], v[12:13], 4, s[6:7]
	global_load_b128 v[2:5], v[2:3], off
	s_wait_loadcnt 0x1
	v_sub_nc_u64_e64 v[16:17], v[14:15], s[2:3]
	s_delay_alu instid0(VALU_DEP_1) | instskip(NEXT) | instid1(VALU_DEP_1)
	v_mul_lo_u32 v1, 0x89, v16
	v_and_b32_e32 v14, 0x1fff, v1
	s_delay_alu instid0(VALU_DEP_1)
	v_lshl_add_u32 v1, v14, 3, 0
	ds_load_b64 v[20:21], v1
	s_wait_dscnt 0x0
	s_wait_xcnt 0x0
	v_cmpx_ne_u64_e64 v[20:21], v[16:17]
	s_cbranch_execz .LBB153_30
; %bb.32:                               ;   in Loop: Header=BB153_31 Depth=1
	s_mov_b32 s13, 0
                                        ; implicit-def: $sgpr14
                                        ; implicit-def: $sgpr15
	s_branch .LBB153_34
.LBB153_33:                             ;   in Loop: Header=BB153_34 Depth=2
	s_or_b32 exec_lo, exec_lo, s19
	s_delay_alu instid0(SALU_CYCLE_1) | instskip(NEXT) | instid1(SALU_CYCLE_1)
	s_and_b32 s16, exec_lo, s17
	s_or_b32 s13, s16, s13
	s_and_not1_b32 s14, s14, exec_lo
	s_and_b32 s16, s15, exec_lo
	s_delay_alu instid0(SALU_CYCLE_1)
	s_or_b32 s14, s14, s16
	s_and_not1_b32 exec_lo, exec_lo, s13
	s_cbranch_execz .LBB153_40
.LBB153_34:                             ;   Parent Loop BB153_31 Depth=1
                                        ; =>  This Inner Loop Header: Depth=2
	v_mov_b64_e32 v[18:19], v[14:15]
	s_mov_b32 s16, 0
	s_mov_b32 s17, exec_lo
                                        ; implicit-def: $vgpr14_vgpr15
	v_cmpx_ne_u64_e64 s[20:21], v[20:21]
	s_xor_b32 s17, exec_lo, s17
; %bb.35:                               ;   in Loop: Header=BB153_34 Depth=2
	s_delay_alu instid0(VALU_DEP_2) | instskip(SKIP_1) | instid1(VALU_DEP_1)
	v_add_nc_u32_e32 v1, 1, v18
	s_mov_b32 s16, exec_lo
	v_and_b32_e32 v14, 0x1fff, v1
                                        ; implicit-def: $vgpr1
; %bb.36:                               ;   in Loop: Header=BB153_34 Depth=2
	s_and_not1_saveexec_b32 s17, s17
	s_cbranch_execz .LBB153_38
; %bb.37:                               ;   in Loop: Header=BB153_34 Depth=2
	v_mov_b64_e32 v[14:15], s[20:21]
	s_and_not1_b32 s16, s16, exec_lo
	ds_cmpstore_rtn_b64 v[14:15], v1, v[16:17], v[14:15]
	s_wait_dscnt 0x0
	v_cmp_ne_u64_e32 vcc_lo, s[20:21], v[14:15]
	v_mov_b64_e32 v[14:15], v[18:19]
	s_and_b32 s19, vcc_lo, exec_lo
	s_delay_alu instid0(SALU_CYCLE_1)
	s_or_b32 s16, s16, s19
.LBB153_38:                             ;   in Loop: Header=BB153_34 Depth=2
	s_or_b32 exec_lo, exec_lo, s17
	s_mov_b32 s17, -1
	s_or_b32 s15, s15, exec_lo
                                        ; implicit-def: $vgpr1
                                        ; implicit-def: $vgpr20_vgpr21
	s_and_saveexec_b32 s19, s16
	s_cbranch_execz .LBB153_33
; %bb.39:                               ;   in Loop: Header=BB153_34 Depth=2
	v_lshl_add_u32 v1, v14, 3, 0
	s_and_not1_b32 s15, s15, exec_lo
	ds_load_b64 v[20:21], v1
	s_wait_dscnt 0x0
	v_cmp_eq_u64_e32 vcc_lo, v[20:21], v[16:17]
	s_or_not1_b32 s17, vcc_lo, exec_lo
	s_branch .LBB153_33
.LBB153_40:                             ;   in Loop: Header=BB153_31 Depth=1
	s_or_b32 exec_lo, exec_lo, s13
	s_and_saveexec_b32 s13, s14
	s_delay_alu instid0(SALU_CYCLE_1)
	s_xor_b32 s13, exec_lo, s13
	s_cbranch_execz .LBB153_29
; %bb.41:                               ;   in Loop: Header=BB153_31 Depth=1
	v_mov_b32_e32 v14, v18
	s_branch .LBB153_29
.LBB153_42:
	s_or_b32 exec_lo, exec_lo, s10
.LBB153_43:
	s_clause 0x1
	s_load_b64 s[16:17], s[0:1], 0x90
	s_load_b64 s[24:25], s[0:1], 0x80
	v_dual_lshlrev_b32 v3, 3, v10 :: v_dual_bitop2_b32 v1, 31, v37 bitop3:0x14
	v_dual_mov_b32 v5, 0 :: v_dual_lshlrev_b32 v4, 4, v0
	v_mov_b64_e32 v[6:7], 0
	s_add_co_i32 s38, 0, 0x30078
	s_delay_alu instid0(VALU_DEP_3)
	v_lshrrev_b32_e64 v2, v1, -1
	v_add3_u32 v1, 0x30000, 0, v3
	s_wait_xcnt 0x0
	v_cmp_lt_u32_e64 s0, 63, v0
	v_cmp_lt_u32_e64 s1, 0x7f, v0
	;; [unrolled: 1-line block ×15, first 2 shown]
	v_or_b32_e32 v3, 0xfffffc00, v0
	v_add3_u32 v12, v4, 0, 0x10000
	v_mov_b32_e32 v13, s38
	s_mov_b32 s19, 0
	s_add_co_i32 s26, 0, 0x30000
	s_add_co_i32 s27, 0, 0x30008
	s_add_co_i32 s28, 0, 0x30010
	s_add_co_i32 s29, 0, 0x30018
	s_add_co_i32 s30, 0, 0x30020
	s_add_co_i32 s31, 0, 0x30028
	s_add_co_i32 s33, 0, 0x30030
	s_add_co_i32 s34, 0, 0x30038
	s_add_co_i32 s35, 0, 0x30040
	s_add_co_i32 s36, 0, 0x30048
	s_add_co_i32 s37, 0, 0x30050
	s_add_co_i32 s39, 0, 0x30058
	s_add_co_i32 s40, 0, 0x30060
	s_add_co_i32 s41, 0, 0x30068
	s_add_co_i32 s42, 0, 0x30070
	s_wait_dscnt 0x0
	s_barrier_signal -1
	s_barrier_wait -1
	v_cmp_eq_u32_e32 vcc_lo, 0x3ff, v0
	s_branch .LBB153_45
.LBB153_44:                             ;   in Loop: Header=BB153_45 Depth=1
	s_or_b32 exec_lo, exec_lo, s15
	s_wait_dscnt 0x0
	s_barrier_signal -1
	s_barrier_wait -1
	ds_load_b64 v[8:9], v13
	v_add_nc_u32_e32 v3, 0x400, v3
	v_add_nc_u32_e32 v12, 0x4000, v12
	v_add_nc_u32_e32 v36, 0x2000, v36
	s_delay_alu instid0(VALU_DEP_3)
	v_cmp_lt_u32_e64 s15, 0x1bff, v3
	s_or_b32 s19, s15, s19
	s_wait_dscnt 0x0
	v_add_nc_u64_e32 v[6:7], v[8:9], v[6:7]
	s_and_not1_b32 exec_lo, exec_lo, s19
	s_cbranch_execz .LBB153_79
.LBB153_45:                             ; =>This Inner Loop Header: Depth=1
	ds_load_b64 v[8:9], v36
	ds_load_2addr_b64 v[14:17], v12 offset1:1
	s_wait_dscnt 0x1
	v_cmp_gt_i64_e64 s15, s[20:21], v[8:9]
	s_wait_dscnt 0x0
	scratch_store_b128 off, v[14:17], off
	s_wait_storecnt 0x0
	s_barrier_signal -1
	s_barrier_wait -1
	s_bcnt1_i32_b32 s43, s15
	s_delay_alu instid0(SALU_CYCLE_1) | instskip(NEXT) | instid1(VALU_DEP_1)
	v_dual_mov_b32 v4, s43 :: v_dual_bitop2_b32 v10, s15, v2 bitop3:0x40
	v_bcnt_u32_b32 v10, v10, 0
	ds_store_b64 v1, v[4:5]
	s_wait_dscnt 0x0
	s_barrier_signal -1
	s_barrier_wait -1
	s_wait_xcnt 0x0
	s_and_saveexec_b32 s43, s0
	s_cbranch_execnz .LBB153_62
; %bb.46:                               ;   in Loop: Header=BB153_45 Depth=1
	s_or_b32 exec_lo, exec_lo, s43
	s_and_saveexec_b32 s43, s1
	s_cbranch_execnz .LBB153_63
.LBB153_47:                             ;   in Loop: Header=BB153_45 Depth=1
	s_or_b32 exec_lo, exec_lo, s43
	s_and_saveexec_b32 s43, s2
	s_cbranch_execnz .LBB153_64
.LBB153_48:                             ;   in Loop: Header=BB153_45 Depth=1
	s_or_b32 exec_lo, exec_lo, s43
	s_and_saveexec_b32 s43, s3
	s_cbranch_execnz .LBB153_65
.LBB153_49:                             ;   in Loop: Header=BB153_45 Depth=1
	s_or_b32 exec_lo, exec_lo, s43
	s_and_saveexec_b32 s43, s4
	s_cbranch_execnz .LBB153_66
.LBB153_50:                             ;   in Loop: Header=BB153_45 Depth=1
	s_or_b32 exec_lo, exec_lo, s43
	s_and_saveexec_b32 s43, s5
	s_cbranch_execnz .LBB153_67
.LBB153_51:                             ;   in Loop: Header=BB153_45 Depth=1
	s_or_b32 exec_lo, exec_lo, s43
	s_and_saveexec_b32 s43, s6
	s_cbranch_execnz .LBB153_68
.LBB153_52:                             ;   in Loop: Header=BB153_45 Depth=1
	s_or_b32 exec_lo, exec_lo, s43
	s_and_saveexec_b32 s43, s7
	s_cbranch_execnz .LBB153_69
.LBB153_53:                             ;   in Loop: Header=BB153_45 Depth=1
	s_or_b32 exec_lo, exec_lo, s43
	s_and_saveexec_b32 s43, s8
	s_cbranch_execnz .LBB153_70
.LBB153_54:                             ;   in Loop: Header=BB153_45 Depth=1
	s_or_b32 exec_lo, exec_lo, s43
	s_and_saveexec_b32 s43, s9
	s_cbranch_execnz .LBB153_71
.LBB153_55:                             ;   in Loop: Header=BB153_45 Depth=1
	s_or_b32 exec_lo, exec_lo, s43
	s_and_saveexec_b32 s43, s10
	s_cbranch_execnz .LBB153_72
.LBB153_56:                             ;   in Loop: Header=BB153_45 Depth=1
	s_or_b32 exec_lo, exec_lo, s43
	s_and_saveexec_b32 s43, s11
	s_cbranch_execnz .LBB153_73
.LBB153_57:                             ;   in Loop: Header=BB153_45 Depth=1
	s_or_b32 exec_lo, exec_lo, s43
	s_and_saveexec_b32 s43, s12
	s_cbranch_execnz .LBB153_74
.LBB153_58:                             ;   in Loop: Header=BB153_45 Depth=1
	s_or_b32 exec_lo, exec_lo, s43
	s_and_saveexec_b32 s43, s13
	s_cbranch_execnz .LBB153_75
.LBB153_59:                             ;   in Loop: Header=BB153_45 Depth=1
	s_or_b32 exec_lo, exec_lo, s43
	s_and_saveexec_b32 s43, s14
	s_cbranch_execnz .LBB153_76
.LBB153_60:                             ;   in Loop: Header=BB153_45 Depth=1
	s_or_b32 exec_lo, exec_lo, s43
	v_ashrrev_i32_e32 v11, 31, v10
	s_and_saveexec_b32 s43, s15
	s_cbranch_execnz .LBB153_77
.LBB153_61:                             ;   in Loop: Header=BB153_45 Depth=1
	s_or_b32 exec_lo, exec_lo, s43
	s_and_saveexec_b32 s15, vcc_lo
	s_cbranch_execz .LBB153_44
	s_branch .LBB153_78
.LBB153_62:                             ;   in Loop: Header=BB153_45 Depth=1
	v_mov_b32_e32 v4, s26
	ds_load_b32 v4, v4
	s_wait_dscnt 0x0
	v_add_nc_u32_e32 v10, v4, v10
	s_or_b32 exec_lo, exec_lo, s43
	s_and_saveexec_b32 s43, s1
	s_cbranch_execz .LBB153_47
.LBB153_63:                             ;   in Loop: Header=BB153_45 Depth=1
	v_mov_b32_e32 v4, s27
	ds_load_b32 v4, v4
	s_wait_dscnt 0x0
	v_add_nc_u32_e32 v10, v10, v4
	s_or_b32 exec_lo, exec_lo, s43
	s_and_saveexec_b32 s43, s2
	s_cbranch_execz .LBB153_48
.LBB153_64:                             ;   in Loop: Header=BB153_45 Depth=1
	v_mov_b32_e32 v4, s28
	ds_load_b32 v4, v4
	s_wait_dscnt 0x0
	v_add_nc_u32_e32 v10, v10, v4
	s_or_b32 exec_lo, exec_lo, s43
	s_and_saveexec_b32 s43, s3
	s_cbranch_execz .LBB153_49
.LBB153_65:                             ;   in Loop: Header=BB153_45 Depth=1
	v_mov_b32_e32 v4, s29
	ds_load_b32 v4, v4
	s_wait_dscnt 0x0
	v_add_nc_u32_e32 v10, v10, v4
	s_or_b32 exec_lo, exec_lo, s43
	s_and_saveexec_b32 s43, s4
	s_cbranch_execz .LBB153_50
.LBB153_66:                             ;   in Loop: Header=BB153_45 Depth=1
	v_mov_b32_e32 v4, s30
	ds_load_b32 v4, v4
	s_wait_dscnt 0x0
	v_add_nc_u32_e32 v10, v10, v4
	s_or_b32 exec_lo, exec_lo, s43
	s_and_saveexec_b32 s43, s5
	s_cbranch_execz .LBB153_51
.LBB153_67:                             ;   in Loop: Header=BB153_45 Depth=1
	v_mov_b32_e32 v4, s31
	ds_load_b32 v4, v4
	s_wait_dscnt 0x0
	v_add_nc_u32_e32 v10, v10, v4
	s_or_b32 exec_lo, exec_lo, s43
	s_and_saveexec_b32 s43, s6
	s_cbranch_execz .LBB153_52
.LBB153_68:                             ;   in Loop: Header=BB153_45 Depth=1
	v_mov_b32_e32 v4, s33
	ds_load_b32 v4, v4
	s_wait_dscnt 0x0
	v_add_nc_u32_e32 v10, v10, v4
	s_or_b32 exec_lo, exec_lo, s43
	s_and_saveexec_b32 s43, s7
	s_cbranch_execz .LBB153_53
.LBB153_69:                             ;   in Loop: Header=BB153_45 Depth=1
	v_mov_b32_e32 v4, s34
	ds_load_b32 v4, v4
	s_wait_dscnt 0x0
	v_add_nc_u32_e32 v10, v10, v4
	s_or_b32 exec_lo, exec_lo, s43
	s_and_saveexec_b32 s43, s8
	s_cbranch_execz .LBB153_54
.LBB153_70:                             ;   in Loop: Header=BB153_45 Depth=1
	v_mov_b32_e32 v4, s35
	ds_load_b32 v4, v4
	s_wait_dscnt 0x0
	v_add_nc_u32_e32 v10, v10, v4
	s_or_b32 exec_lo, exec_lo, s43
	s_and_saveexec_b32 s43, s9
	s_cbranch_execz .LBB153_55
.LBB153_71:                             ;   in Loop: Header=BB153_45 Depth=1
	v_mov_b32_e32 v4, s36
	ds_load_b32 v4, v4
	s_wait_dscnt 0x0
	v_add_nc_u32_e32 v10, v10, v4
	s_or_b32 exec_lo, exec_lo, s43
	s_and_saveexec_b32 s43, s10
	s_cbranch_execz .LBB153_56
.LBB153_72:                             ;   in Loop: Header=BB153_45 Depth=1
	v_mov_b32_e32 v4, s37
	ds_load_b32 v4, v4
	s_wait_dscnt 0x0
	v_add_nc_u32_e32 v10, v10, v4
	s_or_b32 exec_lo, exec_lo, s43
	s_and_saveexec_b32 s43, s11
	s_cbranch_execz .LBB153_57
.LBB153_73:                             ;   in Loop: Header=BB153_45 Depth=1
	v_mov_b32_e32 v4, s39
	ds_load_b32 v4, v4
	s_wait_dscnt 0x0
	v_add_nc_u32_e32 v10, v10, v4
	s_or_b32 exec_lo, exec_lo, s43
	s_and_saveexec_b32 s43, s12
	s_cbranch_execz .LBB153_58
.LBB153_74:                             ;   in Loop: Header=BB153_45 Depth=1
	v_mov_b32_e32 v4, s40
	ds_load_b32 v4, v4
	s_wait_dscnt 0x0
	v_add_nc_u32_e32 v10, v10, v4
	s_or_b32 exec_lo, exec_lo, s43
	s_and_saveexec_b32 s43, s13
	s_cbranch_execz .LBB153_59
.LBB153_75:                             ;   in Loop: Header=BB153_45 Depth=1
	v_mov_b32_e32 v4, s41
	ds_load_b32 v4, v4
	s_wait_dscnt 0x0
	v_add_nc_u32_e32 v10, v10, v4
	s_or_b32 exec_lo, exec_lo, s43
	s_and_saveexec_b32 s43, s14
	s_cbranch_execz .LBB153_60
.LBB153_76:                             ;   in Loop: Header=BB153_45 Depth=1
	v_mov_b32_e32 v4, s42
	ds_load_b32 v4, v4
	s_wait_dscnt 0x0
	v_add_nc_u32_e32 v10, v10, v4
	s_or_b32 exec_lo, exec_lo, s43
	s_delay_alu instid0(VALU_DEP_1)
	v_ashrrev_i32_e32 v11, 31, v10
	s_and_saveexec_b32 s43, s15
	s_cbranch_execz .LBB153_61
.LBB153_77:                             ;   in Loop: Header=BB153_45 Depth=1
	scratch_load_b128 v[14:17], off, off
	v_add3_u32 v4, v6, -1, v10
	v_add_lshl_u32 v18, v6, v10, 4
	s_delay_alu instid0(VALU_DEP_2) | instskip(NEXT) | instid1(VALU_DEP_2)
	v_lshl_add_u32 v4, v4, 3, 0
	v_add3_u32 v18, 0, v18, 0xfff0
	ds_store_b64 v4, v[8:9]
	s_wait_loadcnt 0x0
	ds_store_2addr_b64 v18, v[14:15], v[16:17] offset1:1
	s_or_b32 exec_lo, exec_lo, s43
	s_and_saveexec_b32 s15, vcc_lo
	s_cbranch_execz .LBB153_44
.LBB153_78:                             ;   in Loop: Header=BB153_45 Depth=1
	v_mov_b32_e32 v4, s38
	ds_store_b64 v4, v[10:11]
	s_branch .LBB153_44
.LBB153_79:
	s_or_b32 exec_lo, exec_lo, s19
	s_wait_kmcnt 0x0
	s_lshl_b64 s[0:1], s[22:23], 3
	v_mov_b32_e32 v1, 0
	s_add_nc_u64 s[4:5], s[24:25], s[0:1]
	s_mov_b32 s6, exec_lo
	s_load_b128 s[0:3], s[4:5], 0x0
	s_wait_kmcnt 0x0
	s_sub_nc_u64 s[4:5], s[2:3], s[0:1]
	s_delay_alu instid0(SALU_CYCLE_1)
	v_cmpx_gt_i64_e64 s[4:5], v[0:1]
	s_cbranch_execz .LBB153_89
; %bb.80:
	s_sub_nc_u64 s[8:9], s[0:1], s[2:3]
	s_and_b64 s[6:7], s[4:5], 7
	v_cmp_lt_u64_e64 s10, s[8:9], -7
	s_and_b64 s[2:3], s[4:5], -8
	s_mov_b32 s19, 0
	s_cmp_lg_u64 s[6:7], 0
	s_sub_nc_u64 s[0:1], s[0:1], s[18:19]
	s_cselect_b32 s11, -1, 0
	s_mov_b32 s12, 0
	s_branch .LBB153_82
.LBB153_81:                             ;   in Loop: Header=BB153_82 Depth=1
	s_wait_dscnt 0x0
	v_lshlrev_b32_e32 v2, 4, v0
	v_add_nc_u64_e32 v[0:1], 0x400, v[0:1]
	s_delay_alu instid0(VALU_DEP_2) | instskip(NEXT) | instid1(VALU_DEP_2)
	v_add3_u32 v2, 0, v2, 0x10000
	v_cmp_le_i64_e32 vcc_lo, s[4:5], v[0:1]
	ds_load_2addr_b64 v[6:9], v2 offset1:1
	v_lshl_add_u64 v[2:3], v[4:5], 4, s[16:17]
	s_or_b32 s12, vcc_lo, s12
	s_wait_dscnt 0x0
	global_store_b128 v[2:3], v[6:9], off
	s_wait_xcnt 0x0
	s_and_not1_b32 exec_lo, exec_lo, s12
	s_cbranch_execz .LBB153_89
.LBB153_82:                             ; =>This Loop Header: Depth=1
                                        ;     Child Loop BB153_84 Depth 2
                                        ;     Child Loop BB153_88 Depth 2
	v_lshl_add_u32 v2, v0, 3, 0
	v_mov_b64_e32 v[4:5], s[0:1]
	s_and_not1_b32 vcc_lo, exec_lo, s10
	s_mov_b64 s[8:9], 0
	ds_load_b64 v[2:3], v2
	s_cbranch_vccnz .LBB153_86
; %bb.83:                               ;   in Loop: Header=BB153_82 Depth=1
	v_mov_b64_e32 v[4:5], s[0:1]
	s_mov_b32 s13, 0
.LBB153_84:                             ;   Parent Loop BB153_82 Depth=1
                                        ; =>  This Inner Loop Header: Depth=2
	s_delay_alu instid0(SALU_CYCLE_1)
	v_dual_mov_b32 v18, s13 :: v_dual_mov_b32 v15, s19
	v_mov_b32_e32 v17, s19
	s_add_nc_u64 s[8:9], s[8:9], 8
	s_add_co_i32 s13, s13, 64
	ds_load_2addr_b64 v[6:9], v18 offset1:1
	ds_load_2addr_b64 v[10:13], v18 offset0:2 offset1:3
	s_cmp_eq_u64 s[2:3], s[8:9]
	s_wait_dscnt 0x1
	v_cmp_gt_i64_e32 vcc_lo, v[2:3], v[6:7]
	v_cndmask_b32_e64 v14, 0, 1, vcc_lo
	v_cmp_gt_i64_e32 vcc_lo, v[2:3], v[8:9]
	s_delay_alu instid0(VALU_DEP_2) | instskip(SKIP_4) | instid1(VALU_DEP_2)
	v_add_nc_u64_e32 v[8:9], v[4:5], v[14:15]
	ds_load_2addr_b64 v[4:7], v18 offset0:4 offset1:5
	v_cndmask_b32_e64 v16, 0, 1, vcc_lo
	s_wait_dscnt 0x1
	v_cmp_gt_i64_e32 vcc_lo, v[2:3], v[10:11]
	v_add_nc_u64_e32 v[8:9], v[8:9], v[16:17]
	v_cndmask_b32_e64 v14, 0, 1, vcc_lo
	v_cmp_gt_i64_e32 vcc_lo, v[2:3], v[12:13]
	s_delay_alu instid0(VALU_DEP_2)
	v_add_nc_u64_e32 v[12:13], v[8:9], v[14:15]
	ds_load_2addr_b64 v[8:11], v18 offset0:6 offset1:7
	v_cndmask_b32_e64 v16, 0, 1, vcc_lo
	s_wait_dscnt 0x1
	v_cmp_gt_i64_e32 vcc_lo, v[2:3], v[4:5]
	v_mov_b32_e32 v5, s19
	s_delay_alu instid0(VALU_DEP_3) | instskip(SKIP_3) | instid1(VALU_DEP_3)
	v_add_nc_u64_e32 v[12:13], v[12:13], v[16:17]
	v_cndmask_b32_e64 v14, 0, 1, vcc_lo
	v_cmp_gt_i64_e32 vcc_lo, v[2:3], v[6:7]
	v_mov_b32_e32 v7, s19
	v_add_nc_u64_e32 v[12:13], v[12:13], v[14:15]
	v_cndmask_b32_e64 v4, 0, 1, vcc_lo
	s_wait_dscnt 0x0
	v_cmp_gt_i64_e32 vcc_lo, v[2:3], v[8:9]
	v_mov_b32_e32 v9, s19
	s_delay_alu instid0(VALU_DEP_3) | instskip(SKIP_2) | instid1(VALU_DEP_2)
	v_add_nc_u64_e32 v[4:5], v[12:13], v[4:5]
	v_cndmask_b32_e64 v6, 0, 1, vcc_lo
	v_cmp_gt_i64_e32 vcc_lo, v[2:3], v[10:11]
	v_add_nc_u64_e32 v[4:5], v[4:5], v[6:7]
	v_cndmask_b32_e64 v8, 0, 1, vcc_lo
	s_delay_alu instid0(VALU_DEP_1)
	v_add_nc_u64_e32 v[4:5], v[4:5], v[8:9]
	s_cbranch_scc0 .LBB153_84
; %bb.85:                               ;   in Loop: Header=BB153_82 Depth=1
	s_mov_b64 s[8:9], s[2:3]
.LBB153_86:                             ;   in Loop: Header=BB153_82 Depth=1
	s_and_not1_b32 vcc_lo, exec_lo, s11
	s_cbranch_vccnz .LBB153_81
; %bb.87:                               ;   in Loop: Header=BB153_82 Depth=1
	s_lshl_b32 s8, s8, 3
	s_delay_alu instid0(SALU_CYCLE_1)
	s_add_co_i32 s13, s8, 0
	s_mov_b64 s[8:9], s[6:7]
.LBB153_88:                             ;   Parent Loop BB153_82 Depth=1
                                        ; =>  This Inner Loop Header: Depth=2
	v_dual_mov_b32 v6, s13 :: v_dual_mov_b32 v9, s19
	s_add_nc_u64 s[8:9], s[8:9], -1
	s_add_co_i32 s13, s13, 8
	s_cmp_lg_u64 s[8:9], 0
	ds_load_b64 v[6:7], v6
	s_wait_dscnt 0x0
	v_cmp_gt_i64_e32 vcc_lo, v[2:3], v[6:7]
	v_cndmask_b32_e64 v8, 0, 1, vcc_lo
	s_delay_alu instid0(VALU_DEP_1)
	v_add_nc_u64_e32 v[4:5], v[4:5], v[8:9]
	s_cbranch_scc1 .LBB153_88
	s_branch .LBB153_81
.LBB153_89:
	s_endpgm
	.section	.rodata,"a",@progbits
	.p2align	6, 0x0
	.amdhsa_kernel _ZN9rocsparseL41csrgemm_numeric_fill_block_per_row_kernelILj1024ELj64ELj8192ELj137ELj64Ell21rocsparse_complex_numIdEEEvT5_PKS3_S5_NS_24const_host_device_scalarIT6_EEPKT4_S5_PKS7_SB_S5_SD_S8_SB_S5_SD_SB_S5_PS7_21rocsparse_index_base_SF_SF_SF_bbb
		.amdhsa_group_segment_fixed_size 0
		.amdhsa_private_segment_fixed_size 40
		.amdhsa_kernarg_size 172
		.amdhsa_user_sgpr_count 2
		.amdhsa_user_sgpr_dispatch_ptr 0
		.amdhsa_user_sgpr_queue_ptr 0
		.amdhsa_user_sgpr_kernarg_segment_ptr 1
		.amdhsa_user_sgpr_dispatch_id 0
		.amdhsa_user_sgpr_kernarg_preload_length 0
		.amdhsa_user_sgpr_kernarg_preload_offset 0
		.amdhsa_user_sgpr_private_segment_size 0
		.amdhsa_wavefront_size32 1
		.amdhsa_uses_dynamic_stack 0
		.amdhsa_enable_private_segment 1
		.amdhsa_system_sgpr_workgroup_id_x 1
		.amdhsa_system_sgpr_workgroup_id_y 0
		.amdhsa_system_sgpr_workgroup_id_z 0
		.amdhsa_system_sgpr_workgroup_info 0
		.amdhsa_system_vgpr_workitem_id 0
		.amdhsa_next_free_vgpr 38
		.amdhsa_next_free_sgpr 44
		.amdhsa_named_barrier_count 0
		.amdhsa_reserve_vcc 1
		.amdhsa_float_round_mode_32 0
		.amdhsa_float_round_mode_16_64 0
		.amdhsa_float_denorm_mode_32 3
		.amdhsa_float_denorm_mode_16_64 3
		.amdhsa_fp16_overflow 0
		.amdhsa_memory_ordered 1
		.amdhsa_forward_progress 1
		.amdhsa_inst_pref_size 32
		.amdhsa_round_robin_scheduling 0
		.amdhsa_exception_fp_ieee_invalid_op 0
		.amdhsa_exception_fp_denorm_src 0
		.amdhsa_exception_fp_ieee_div_zero 0
		.amdhsa_exception_fp_ieee_overflow 0
		.amdhsa_exception_fp_ieee_underflow 0
		.amdhsa_exception_fp_ieee_inexact 0
		.amdhsa_exception_int_div_zero 0
	.end_amdhsa_kernel
	.section	.text._ZN9rocsparseL41csrgemm_numeric_fill_block_per_row_kernelILj1024ELj64ELj8192ELj137ELj64Ell21rocsparse_complex_numIdEEEvT5_PKS3_S5_NS_24const_host_device_scalarIT6_EEPKT4_S5_PKS7_SB_S5_SD_S8_SB_S5_SD_SB_S5_PS7_21rocsparse_index_base_SF_SF_SF_bbb,"axG",@progbits,_ZN9rocsparseL41csrgemm_numeric_fill_block_per_row_kernelILj1024ELj64ELj8192ELj137ELj64Ell21rocsparse_complex_numIdEEEvT5_PKS3_S5_NS_24const_host_device_scalarIT6_EEPKT4_S5_PKS7_SB_S5_SD_S8_SB_S5_SD_SB_S5_PS7_21rocsparse_index_base_SF_SF_SF_bbb,comdat
.Lfunc_end153:
	.size	_ZN9rocsparseL41csrgemm_numeric_fill_block_per_row_kernelILj1024ELj64ELj8192ELj137ELj64Ell21rocsparse_complex_numIdEEEvT5_PKS3_S5_NS_24const_host_device_scalarIT6_EEPKT4_S5_PKS7_SB_S5_SD_S8_SB_S5_SD_SB_S5_PS7_21rocsparse_index_base_SF_SF_SF_bbb, .Lfunc_end153-_ZN9rocsparseL41csrgemm_numeric_fill_block_per_row_kernelILj1024ELj64ELj8192ELj137ELj64Ell21rocsparse_complex_numIdEEEvT5_PKS3_S5_NS_24const_host_device_scalarIT6_EEPKT4_S5_PKS7_SB_S5_SD_S8_SB_S5_SD_SB_S5_PS7_21rocsparse_index_base_SF_SF_SF_bbb
                                        ; -- End function
	.set _ZN9rocsparseL41csrgemm_numeric_fill_block_per_row_kernelILj1024ELj64ELj8192ELj137ELj64Ell21rocsparse_complex_numIdEEEvT5_PKS3_S5_NS_24const_host_device_scalarIT6_EEPKT4_S5_PKS7_SB_S5_SD_S8_SB_S5_SD_SB_S5_PS7_21rocsparse_index_base_SF_SF_SF_bbb.num_vgpr, 38
	.set _ZN9rocsparseL41csrgemm_numeric_fill_block_per_row_kernelILj1024ELj64ELj8192ELj137ELj64Ell21rocsparse_complex_numIdEEEvT5_PKS3_S5_NS_24const_host_device_scalarIT6_EEPKT4_S5_PKS7_SB_S5_SD_S8_SB_S5_SD_SB_S5_PS7_21rocsparse_index_base_SF_SF_SF_bbb.num_agpr, 0
	.set _ZN9rocsparseL41csrgemm_numeric_fill_block_per_row_kernelILj1024ELj64ELj8192ELj137ELj64Ell21rocsparse_complex_numIdEEEvT5_PKS3_S5_NS_24const_host_device_scalarIT6_EEPKT4_S5_PKS7_SB_S5_SD_S8_SB_S5_SD_SB_S5_PS7_21rocsparse_index_base_SF_SF_SF_bbb.numbered_sgpr, 44
	.set _ZN9rocsparseL41csrgemm_numeric_fill_block_per_row_kernelILj1024ELj64ELj8192ELj137ELj64Ell21rocsparse_complex_numIdEEEvT5_PKS3_S5_NS_24const_host_device_scalarIT6_EEPKT4_S5_PKS7_SB_S5_SD_S8_SB_S5_SD_SB_S5_PS7_21rocsparse_index_base_SF_SF_SF_bbb.num_named_barrier, 0
	.set _ZN9rocsparseL41csrgemm_numeric_fill_block_per_row_kernelILj1024ELj64ELj8192ELj137ELj64Ell21rocsparse_complex_numIdEEEvT5_PKS3_S5_NS_24const_host_device_scalarIT6_EEPKT4_S5_PKS7_SB_S5_SD_S8_SB_S5_SD_SB_S5_PS7_21rocsparse_index_base_SF_SF_SF_bbb.private_seg_size, 40
	.set _ZN9rocsparseL41csrgemm_numeric_fill_block_per_row_kernelILj1024ELj64ELj8192ELj137ELj64Ell21rocsparse_complex_numIdEEEvT5_PKS3_S5_NS_24const_host_device_scalarIT6_EEPKT4_S5_PKS7_SB_S5_SD_S8_SB_S5_SD_SB_S5_PS7_21rocsparse_index_base_SF_SF_SF_bbb.uses_vcc, 1
	.set _ZN9rocsparseL41csrgemm_numeric_fill_block_per_row_kernelILj1024ELj64ELj8192ELj137ELj64Ell21rocsparse_complex_numIdEEEvT5_PKS3_S5_NS_24const_host_device_scalarIT6_EEPKT4_S5_PKS7_SB_S5_SD_S8_SB_S5_SD_SB_S5_PS7_21rocsparse_index_base_SF_SF_SF_bbb.uses_flat_scratch, 1
	.set _ZN9rocsparseL41csrgemm_numeric_fill_block_per_row_kernelILj1024ELj64ELj8192ELj137ELj64Ell21rocsparse_complex_numIdEEEvT5_PKS3_S5_NS_24const_host_device_scalarIT6_EEPKT4_S5_PKS7_SB_S5_SD_S8_SB_S5_SD_SB_S5_PS7_21rocsparse_index_base_SF_SF_SF_bbb.has_dyn_sized_stack, 0
	.set _ZN9rocsparseL41csrgemm_numeric_fill_block_per_row_kernelILj1024ELj64ELj8192ELj137ELj64Ell21rocsparse_complex_numIdEEEvT5_PKS3_S5_NS_24const_host_device_scalarIT6_EEPKT4_S5_PKS7_SB_S5_SD_S8_SB_S5_SD_SB_S5_PS7_21rocsparse_index_base_SF_SF_SF_bbb.has_recursion, 0
	.set _ZN9rocsparseL41csrgemm_numeric_fill_block_per_row_kernelILj1024ELj64ELj8192ELj137ELj64Ell21rocsparse_complex_numIdEEEvT5_PKS3_S5_NS_24const_host_device_scalarIT6_EEPKT4_S5_PKS7_SB_S5_SD_S8_SB_S5_SD_SB_S5_PS7_21rocsparse_index_base_SF_SF_SF_bbb.has_indirect_call, 0
	.section	.AMDGPU.csdata,"",@progbits
; Kernel info:
; codeLenInByte = 4004
; TotalNumSgprs: 46
; NumVgprs: 38
; ScratchSize: 40
; MemoryBound: 0
; FloatMode: 240
; IeeeMode: 1
; LDSByteSize: 0 bytes/workgroup (compile time only)
; SGPRBlocks: 0
; VGPRBlocks: 2
; NumSGPRsForWavesPerEU: 46
; NumVGPRsForWavesPerEU: 38
; NamedBarCnt: 0
; Occupancy: 16
; WaveLimiterHint : 1
; COMPUTE_PGM_RSRC2:SCRATCH_EN: 1
; COMPUTE_PGM_RSRC2:USER_SGPR: 2
; COMPUTE_PGM_RSRC2:TRAP_HANDLER: 0
; COMPUTE_PGM_RSRC2:TGID_X_EN: 1
; COMPUTE_PGM_RSRC2:TGID_Y_EN: 0
; COMPUTE_PGM_RSRC2:TGID_Z_EN: 0
; COMPUTE_PGM_RSRC2:TIDIG_COMP_CNT: 0
	.section	.text._ZN9rocsparseL41csrgemm_numeric_fill_block_per_row_kernelILj1024ELj64ELj16384ELj137ELj32Ell21rocsparse_complex_numIdEEEvT5_PKS3_S5_NS_24const_host_device_scalarIT6_EEPKT4_S5_PKS7_SB_S5_SD_S8_SB_S5_SD_SB_S5_PS7_21rocsparse_index_base_SF_SF_SF_bbb,"axG",@progbits,_ZN9rocsparseL41csrgemm_numeric_fill_block_per_row_kernelILj1024ELj64ELj16384ELj137ELj32Ell21rocsparse_complex_numIdEEEvT5_PKS3_S5_NS_24const_host_device_scalarIT6_EEPKT4_S5_PKS7_SB_S5_SD_S8_SB_S5_SD_SB_S5_PS7_21rocsparse_index_base_SF_SF_SF_bbb,comdat
	.globl	_ZN9rocsparseL41csrgemm_numeric_fill_block_per_row_kernelILj1024ELj64ELj16384ELj137ELj32Ell21rocsparse_complex_numIdEEEvT5_PKS3_S5_NS_24const_host_device_scalarIT6_EEPKT4_S5_PKS7_SB_S5_SD_S8_SB_S5_SD_SB_S5_PS7_21rocsparse_index_base_SF_SF_SF_bbb ; -- Begin function _ZN9rocsparseL41csrgemm_numeric_fill_block_per_row_kernelILj1024ELj64ELj16384ELj137ELj32Ell21rocsparse_complex_numIdEEEvT5_PKS3_S5_NS_24const_host_device_scalarIT6_EEPKT4_S5_PKS7_SB_S5_SD_S8_SB_S5_SD_SB_S5_PS7_21rocsparse_index_base_SF_SF_SF_bbb
	.p2align	8
	.type	_ZN9rocsparseL41csrgemm_numeric_fill_block_per_row_kernelILj1024ELj64ELj16384ELj137ELj32Ell21rocsparse_complex_numIdEEEvT5_PKS3_S5_NS_24const_host_device_scalarIT6_EEPKT4_S5_PKS7_SB_S5_SD_S8_SB_S5_SD_SB_S5_PS7_21rocsparse_index_base_SF_SF_SF_bbb,@function
_ZN9rocsparseL41csrgemm_numeric_fill_block_per_row_kernelILj1024ELj64ELj16384ELj137ELj32Ell21rocsparse_complex_numIdEEEvT5_PKS3_S5_NS_24const_host_device_scalarIT6_EEPKT4_S5_PKS7_SB_S5_SD_S8_SB_S5_SD_SB_S5_PS7_21rocsparse_index_base_SF_SF_SF_bbb: ; @_ZN9rocsparseL41csrgemm_numeric_fill_block_per_row_kernelILj1024ELj64ELj16384ELj137ELj32Ell21rocsparse_complex_numIdEEEvT5_PKS3_S5_NS_24const_host_device_scalarIT6_EEPKT4_S5_PKS7_SB_S5_SD_S8_SB_S5_SD_SB_S5_PS7_21rocsparse_index_base_SF_SF_SF_bbb
; %bb.0:
	s_clause 0x3
	s_load_b32 s3, s[0:1], 0xa8
	s_load_b128 s[8:11], s[0:1], 0x18
	s_load_b128 s[4:7], s[0:1], 0x58
	;; [unrolled: 1-line block ×3, first 2 shown]
	v_mov_b64_e32 v[6:7], 0
	v_mov_b64_e32 v[10:11], 0
	;; [unrolled: 1-line block ×3, first 2 shown]
	v_mbcnt_lo_u32_b32 v36, -1, 0
	s_wait_kmcnt 0x0
	s_bitcmp1_b32 s3, 0
	v_mov_b64_e32 v[2:3], s[8:9]
	s_cselect_b32 s19, -1, 0
	s_bitcmp1_b32 s3, 16
	v_mov_b64_e32 v[4:5], s[4:5]
	s_cselect_b32 s2, -1, 0
	s_clause 0x1
	scratch_store_b64 off, v[2:3], off offset:16
	scratch_store_b64 off, v[4:5], off offset:24
	s_xor_b32 s12, s2, -1
	s_bitcmp0_b32 s3, 0
	v_cndmask_b32_e64 v1, 0, 1, s12
	s_delay_alu instid0(VALU_DEP_1)
	v_cmp_ne_u32_e32 vcc_lo, 1, v1
	s_cbranch_scc1 .LBB154_3
; %bb.1:
	s_wait_xcnt 0x1
	v_dual_mov_b32 v2, 16 :: v_dual_lshlrev_b32 v3, 20, v36
	v_mov_b64_e32 v[12:13], s[10:11]
	s_and_b32 vcc_lo, exec_lo, vcc_lo
	s_delay_alu instid0(VALU_DEP_2) | instskip(NEXT) | instid1(VALU_DEP_1)
	v_add_nc_u64_e32 v[2:3], src_flat_scratch_base_lo, v[2:3]
	v_cndmask_b32_e64 v3, s9, v3, s2
	s_delay_alu instid0(VALU_DEP_2)
	v_cndmask_b32_e64 v2, s8, v2, s2
	flat_load_b64 v[10:11], v[2:3]
	s_cbranch_vccnz .LBB154_3
; %bb.2:
	v_mov_b32_e32 v1, 0
	flat_load_b64 v[12:13], v1, s[8:9] offset:8
.LBB154_3:
	s_load_b64 s[16:17], s[0:1], 0x8
	v_mov_b64_e32 v[8:9], 0
	s_bitcmp1_b32 s3, 8
	s_cselect_b32 s18, -1, 0
	s_bfe_u32 s3, s3, 0x10008
	s_delay_alu instid0(SALU_CYCLE_1)
	s_cmp_eq_u32 s3, 0
	s_cbranch_scc1 .LBB154_6
; %bb.4:
	v_dual_mov_b32 v2, 24 :: v_dual_lshlrev_b32 v3, 20, v36
	v_mov_b64_e32 v[6:7], s[6:7]
	s_and_not1_b32 vcc_lo, exec_lo, s12
	s_delay_alu instid0(VALU_DEP_2) | instskip(NEXT) | instid1(VALU_DEP_1)
	v_add_nc_u64_e32 v[2:3], src_flat_scratch_base_lo, v[2:3]
	v_cndmask_b32_e64 v3, s5, v3, s2
	s_delay_alu instid0(VALU_DEP_2)
	v_cndmask_b32_e64 v2, s4, v2, s2
	flat_load_b64 v[8:9], v[2:3]
	s_cbranch_vccnz .LBB154_6
; %bb.5:
	v_mov_b32_e32 v1, 0
	flat_load_b64 v[6:7], v1, s[4:5] offset:8
.LBB154_6:
	s_clause 0x5
	s_load_b64 s[48:49], s[0:1], 0x0
	s_load_b64 s[2:3], s[0:1], 0x10
	;; [unrolled: 1-line block ×3, first 2 shown]
	s_load_b256 s[36:43], s[0:1], 0x68
	s_load_b128 s[12:15], s[0:1], 0x48
	s_load_b256 s[4:11], s[0:1], 0x28
	s_wait_xcnt 0x0
	s_mov_b32 s0, 0
	v_or_b32_e32 v34, 0xfffffc00, v0
	v_lshl_add_u32 v35, v0, 3, 0
	v_lshlrev_b32_e32 v37, 4, v0
	s_mov_b32 s1, s0
	s_mov_b32 s20, s0
	;; [unrolled: 1-line block ×3, first 2 shown]
	v_mov_b64_e32 v[2:3], s[0:1]
	v_mov_b64_e32 v[4:5], s[20:21]
	v_mov_b32_e32 v16, v35
	v_add3_u32 v1, v37, 0, 0x20008
	v_mov_b32_e32 v17, v34
	s_wait_kmcnt 0x0
	v_mov_b64_e32 v[14:15], s[48:49]
.LBB154_7:                              ; =>This Inner Loop Header: Depth=1
	s_delay_alu instid0(VALU_DEP_2)
	v_add_nc_u32_e32 v17, 0x400, v17
	ds_store_b64 v16, v[14:15]
	v_add_nc_u32_e32 v18, -8, v1
	v_add_nc_u32_e32 v1, 0x4000, v1
	v_add_nc_u32_e32 v16, 0x2000, v16
	v_cmp_lt_u32_e32 vcc_lo, 0x3bff, v17
	ds_store_2addr_b64 v18, v[2:3], v[4:5] offset1:1
	s_or_b32 s0, vcc_lo, s0
	s_delay_alu instid0(SALU_CYCLE_1)
	s_and_not1_b32 exec_lo, exec_lo, s0
	s_cbranch_execnz .LBB154_7
; %bb.8:
	s_or_b32 exec_lo, exec_lo, s0
	s_wait_storecnt 0x0
	s_wait_loadcnt_dscnt 0x0
	s_barrier_signal -1
	s_barrier_wait -1
	s_load_b64 s[0:1], s[16:17], 0x0
	s_wait_xcnt 0x0
	s_bfe_u32 s16, ttmp6, 0x4000c
	s_and_b32 s17, ttmp6, 15
	s_add_co_i32 s16, s16, 1
	s_getreg_b32 s20, hwreg(HW_REG_IB_STS2, 6, 4)
	s_mul_i32 s16, ttmp9, s16
	s_delay_alu instid0(SALU_CYCLE_1)
	s_add_co_i32 s17, s17, s16
	s_wait_kmcnt 0x0
	s_lshl_b64 s[0:1], s[0:1], 3
	s_cmp_eq_u32 s20, 0
	s_add_nc_u64 s[0:1], s[2:3], s[0:1]
	s_cselect_b32 s2, ttmp9, s17
	s_and_b32 vcc_lo, exec_lo, s19
	s_load_b64 s[50:51], s[0:1], s2 offset:0x0 scale_offset
	s_wait_xcnt 0x0
	s_mov_b32 s1, 0
	s_cbranch_vccz .LBB154_28
; %bb.9:
	s_wait_kmcnt 0x0
	s_lshl_b64 s[2:3], s[50:51], 3
	v_dual_mov_b32 v3, 0 :: v_dual_lshrrev_b32 v2, 6, v0
	s_add_nc_u64 s[2:3], s[4:5], s[2:3]
	s_mov_b32 s0, s44
	s_load_b128 s[20:23], s[2:3], 0x0
	s_mov_b32 s16, exec_lo
	v_sub_nc_u64_e64 v[4:5], v[2:3], s[0:1]
	s_wait_kmcnt 0x0
	s_delay_alu instid0(VALU_DEP_1)
	v_add_nc_u64_e32 v[14:15], s[20:21], v[4:5]
	s_sub_nc_u64 s[2:3], s[22:23], s[0:1]
	s_delay_alu instid0(VALU_DEP_1) | instid1(SALU_CYCLE_1)
	v_cmpx_gt_i64_e64 s[2:3], v[14:15]
	s_cbranch_execz .LBB154_27
; %bb.10:
	v_and_b32_e32 v2, 63, v0
	s_mov_b32 s5, 0
	s_mov_b32 s4, s45
	;; [unrolled: 1-line block ×3, first 2 shown]
	s_delay_alu instid0(VALU_DEP_1)
	v_sub_nc_u64_e64 v[16:17], v[2:3], s[4:5]
	s_branch .LBB154_12
.LBB154_11:                             ;   in Loop: Header=BB154_12 Depth=1
	s_or_b32 exec_lo, exec_lo, s19
	v_add_nc_u64_e32 v[14:15], 16, v[14:15]
	s_delay_alu instid0(VALU_DEP_1) | instskip(SKIP_1) | instid1(SALU_CYCLE_1)
	v_cmp_le_i64_e32 vcc_lo, s[2:3], v[14:15]
	s_or_b32 s17, vcc_lo, s17
	s_and_not1_b32 exec_lo, exec_lo, s17
	s_cbranch_execz .LBB154_27
.LBB154_12:                             ; =>This Loop Header: Depth=1
                                        ;     Child Loop BB154_16 Depth 2
                                        ;       Child Loop BB154_19 Depth 3
	v_lshl_add_u64 v[2:3], v[14:15], 3, s[6:7]
	s_mov_b32 s19, exec_lo
	global_load_b64 v[2:3], v[2:3], off
	s_wait_loadcnt 0x0
	s_wait_xcnt 0x0
	v_sub_nc_u64_e64 v[2:3], v[2:3], s[0:1]
	s_delay_alu instid0(VALU_DEP_1)
	v_lshl_add_u64 v[2:3], v[2:3], 3, s[10:11]
	global_load_b128 v[2:5], v[2:3], off
	s_wait_loadcnt 0x0
	v_sub_nc_u64_e64 v[18:19], v[4:5], s[4:5]
	v_add_nc_u64_e32 v[20:21], v[2:3], v[16:17]
	s_wait_xcnt 0x0
	s_delay_alu instid0(VALU_DEP_1)
	v_cmpx_lt_i64_e64 v[20:21], v[18:19]
	s_cbranch_execz .LBB154_11
; %bb.13:                               ;   in Loop: Header=BB154_12 Depth=1
	v_lshl_add_u64 v[2:3], v[14:15], 4, s[8:9]
	s_mov_b32 s20, 0
	global_load_b128 v[2:5], v[2:3], off
	s_wait_loadcnt 0x0
	v_mul_f64_e64 v[22:23], v[4:5], -v[12:13]
	v_mul_f64_e32 v[24:25], v[10:11], v[4:5]
	s_delay_alu instid0(VALU_DEP_2) | instskip(NEXT) | instid1(VALU_DEP_2)
	v_fmac_f64_e32 v[22:23], v[10:11], v[2:3]
	v_fmac_f64_e32 v[24:25], v[12:13], v[2:3]
	s_branch .LBB154_16
.LBB154_14:                             ;   in Loop: Header=BB154_16 Depth=2
	s_or_b32 exec_lo, exec_lo, s22
.LBB154_15:                             ;   in Loop: Header=BB154_16 Depth=2
	s_delay_alu instid0(SALU_CYCLE_1) | instskip(SKIP_4) | instid1(VALU_DEP_3)
	s_or_b32 exec_lo, exec_lo, s21
	s_wait_loadcnt 0x0
	v_dual_mul_f64 v[28:29], v[4:5], -v[24:25] :: v_dual_lshlrev_b32 v1, 4, v26
	v_mul_f64_e32 v[4:5], v[22:23], v[4:5]
	v_add_nc_u64_e32 v[20:21], 64, v[20:21]
	v_add3_u32 v1, 0, v1, 0x20000
	s_delay_alu instid0(VALU_DEP_2)
	v_cmp_ge_i64_e32 vcc_lo, v[20:21], v[18:19]
	s_or_b32 s20, vcc_lo, s20
	v_fmac_f64_e32 v[28:29], v[22:23], v[2:3]
	v_fmac_f64_e32 v[4:5], v[24:25], v[2:3]
	ds_add_f64 v1, v[28:29]
	ds_add_f64 v1, v[4:5] offset:8
	s_and_not1_b32 exec_lo, exec_lo, s20
	s_cbranch_execz .LBB154_11
.LBB154_16:                             ;   Parent Loop BB154_12 Depth=1
                                        ; =>  This Loop Header: Depth=2
                                        ;       Child Loop BB154_19 Depth 3
	s_wait_xcnt 0x0
	v_lshl_add_u64 v[2:3], v[20:21], 3, s[12:13]
	s_mov_b32 s21, exec_lo
	global_load_b64 v[26:27], v[2:3], off
	s_wait_xcnt 0x0
	v_lshl_add_u64 v[2:3], v[20:21], 4, s[14:15]
	global_load_b128 v[2:5], v[2:3], off
	s_wait_loadcnt 0x1
	v_sub_nc_u64_e64 v[28:29], v[26:27], s[4:5]
	s_delay_alu instid0(VALU_DEP_1) | instskip(NEXT) | instid1(VALU_DEP_1)
	v_mul_lo_u32 v1, 0x89, v28
	v_and_b32_e32 v26, 0x3fff, v1
	s_delay_alu instid0(VALU_DEP_1)
	v_lshl_add_u32 v1, v26, 3, 0
	ds_load_b64 v[32:33], v1
	s_wait_dscnt 0x0
	s_wait_xcnt 0x0
	v_cmpx_ne_u64_e64 v[32:33], v[28:29]
	s_cbranch_execz .LBB154_15
; %bb.17:                               ;   in Loop: Header=BB154_16 Depth=2
	s_mov_b32 s22, 0
                                        ; implicit-def: $sgpr23
                                        ; implicit-def: $sgpr24
	s_branch .LBB154_19
.LBB154_18:                             ;   in Loop: Header=BB154_19 Depth=3
	s_or_b32 exec_lo, exec_lo, s27
	s_delay_alu instid0(SALU_CYCLE_1) | instskip(NEXT) | instid1(SALU_CYCLE_1)
	s_and_b32 s25, exec_lo, s26
	s_or_b32 s22, s25, s22
	s_and_not1_b32 s23, s23, exec_lo
	s_and_b32 s25, s24, exec_lo
	s_delay_alu instid0(SALU_CYCLE_1)
	s_or_b32 s23, s23, s25
	s_and_not1_b32 exec_lo, exec_lo, s22
	s_cbranch_execz .LBB154_25
.LBB154_19:                             ;   Parent Loop BB154_12 Depth=1
                                        ;     Parent Loop BB154_16 Depth=2
                                        ; =>    This Inner Loop Header: Depth=3
	v_mov_b64_e32 v[30:31], v[26:27]
	s_mov_b32 s25, 0
	s_mov_b32 s26, exec_lo
                                        ; implicit-def: $vgpr26_vgpr27
	v_cmpx_ne_u64_e64 s[48:49], v[32:33]
	s_xor_b32 s26, exec_lo, s26
; %bb.20:                               ;   in Loop: Header=BB154_19 Depth=3
	s_delay_alu instid0(VALU_DEP_2) | instskip(SKIP_1) | instid1(VALU_DEP_1)
	v_add_nc_u32_e32 v1, 1, v30
	s_mov_b32 s25, exec_lo
	v_and_b32_e32 v26, 0x3fff, v1
                                        ; implicit-def: $vgpr1
; %bb.21:                               ;   in Loop: Header=BB154_19 Depth=3
	s_and_not1_saveexec_b32 s26, s26
	s_cbranch_execz .LBB154_23
; %bb.22:                               ;   in Loop: Header=BB154_19 Depth=3
	v_mov_b64_e32 v[26:27], s[48:49]
	s_and_not1_b32 s25, s25, exec_lo
	ds_cmpstore_rtn_b64 v[26:27], v1, v[28:29], v[26:27]
	s_wait_dscnt 0x0
	v_cmp_ne_u64_e32 vcc_lo, s[48:49], v[26:27]
	v_mov_b64_e32 v[26:27], v[30:31]
	s_and_b32 s27, vcc_lo, exec_lo
	s_delay_alu instid0(SALU_CYCLE_1)
	s_or_b32 s25, s25, s27
.LBB154_23:                             ;   in Loop: Header=BB154_19 Depth=3
	s_or_b32 exec_lo, exec_lo, s26
	s_mov_b32 s26, -1
	s_or_b32 s24, s24, exec_lo
                                        ; implicit-def: $vgpr1
                                        ; implicit-def: $vgpr32_vgpr33
	s_and_saveexec_b32 s27, s25
	s_cbranch_execz .LBB154_18
; %bb.24:                               ;   in Loop: Header=BB154_19 Depth=3
	v_lshl_add_u32 v1, v26, 3, 0
	s_and_not1_b32 s24, s24, exec_lo
	ds_load_b64 v[32:33], v1
	s_wait_dscnt 0x0
	v_cmp_eq_u64_e32 vcc_lo, v[32:33], v[28:29]
	s_or_not1_b32 s26, vcc_lo, exec_lo
	s_branch .LBB154_18
.LBB154_25:                             ;   in Loop: Header=BB154_16 Depth=2
	s_or_b32 exec_lo, exec_lo, s22
	s_and_saveexec_b32 s22, s23
	s_delay_alu instid0(SALU_CYCLE_1)
	s_xor_b32 s22, exec_lo, s22
	s_cbranch_execz .LBB154_14
; %bb.26:                               ;   in Loop: Header=BB154_16 Depth=2
	v_mov_b32_e32 v26, v30
	s_branch .LBB154_14
.LBB154_27:
	s_or_b32 exec_lo, exec_lo, s16
.LBB154_28:
	s_delay_alu instid0(SALU_CYCLE_1)
	s_and_not1_b32 vcc_lo, exec_lo, s18
	s_cbranch_vccnz .LBB154_45
; %bb.29:
	s_wait_kmcnt 0x0
	s_lshl_b64 s[0:1], s[50:51], 3
	v_mov_b32_e32 v1, 0
	s_add_nc_u64 s[0:1], s[36:37], s[0:1]
	s_load_b128 s[4:7], s[0:1], 0x0
	s_wait_xcnt 0x0
	s_mov_b32 s1, 0
	s_mov_b32 s0, s47
	s_delay_alu instid0(SALU_CYCLE_1) | instskip(SKIP_1) | instid1(VALU_DEP_1)
	v_sub_nc_u64_e64 v[2:3], v[0:1], s[0:1]
	s_wait_kmcnt 0x0
	v_add_nc_u64_e32 v[10:11], s[4:5], v[2:3]
	s_sub_nc_u64 s[2:3], s[6:7], s[0:1]
	s_mov_b32 s4, exec_lo
	s_delay_alu instid0(VALU_DEP_1)
	v_cmpx_gt_i64_e64 s[2:3], v[10:11]
	s_cbranch_execz .LBB154_44
; %bb.30:
	s_mov_b32 s5, s1
	s_branch .LBB154_33
.LBB154_31:                             ;   in Loop: Header=BB154_33 Depth=1
	s_or_b32 exec_lo, exec_lo, s7
.LBB154_32:                             ;   in Loop: Header=BB154_33 Depth=1
	s_delay_alu instid0(SALU_CYCLE_1) | instskip(SKIP_4) | instid1(VALU_DEP_3)
	s_or_b32 exec_lo, exec_lo, s6
	s_wait_loadcnt 0x0
	v_dual_mul_f64 v[14:15], v[4:5], -v[6:7] :: v_dual_lshlrev_b32 v1, 4, v12
	v_mul_f64_e32 v[4:5], v[8:9], v[4:5]
	v_add_nc_u64_e32 v[10:11], 0x400, v[10:11]
	v_add3_u32 v1, 0, v1, 0x20000
	s_delay_alu instid0(VALU_DEP_2)
	v_cmp_le_i64_e32 vcc_lo, s[2:3], v[10:11]
	s_or_b32 s5, vcc_lo, s5
	v_fmac_f64_e32 v[14:15], v[8:9], v[2:3]
	v_fmac_f64_e32 v[4:5], v[6:7], v[2:3]
	ds_add_f64 v1, v[14:15]
	ds_add_f64 v1, v[4:5] offset:8
	s_and_not1_b32 exec_lo, exec_lo, s5
	s_cbranch_execz .LBB154_44
.LBB154_33:                             ; =>This Loop Header: Depth=1
                                        ;     Child Loop BB154_36 Depth 2
	v_lshl_add_u64 v[2:3], v[10:11], 3, s[38:39]
	s_mov_b32 s6, exec_lo
	global_load_b64 v[12:13], v[2:3], off
	s_wait_xcnt 0x0
	v_lshl_add_u64 v[2:3], v[10:11], 4, s[40:41]
	global_load_b128 v[2:5], v[2:3], off
	s_wait_loadcnt 0x1
	v_sub_nc_u64_e64 v[14:15], v[12:13], s[0:1]
	s_delay_alu instid0(VALU_DEP_1) | instskip(NEXT) | instid1(VALU_DEP_1)
	v_mul_lo_u32 v1, 0x89, v14
	v_and_b32_e32 v12, 0x3fff, v1
	s_delay_alu instid0(VALU_DEP_1)
	v_lshl_add_u32 v1, v12, 3, 0
	ds_load_b64 v[18:19], v1
	s_wait_dscnt 0x0
	s_wait_xcnt 0x0
	v_cmpx_ne_u64_e64 v[18:19], v[14:15]
	s_cbranch_execz .LBB154_32
; %bb.34:                               ;   in Loop: Header=BB154_33 Depth=1
	s_mov_b32 s7, 0
                                        ; implicit-def: $sgpr8
                                        ; implicit-def: $sgpr9
	s_branch .LBB154_36
.LBB154_35:                             ;   in Loop: Header=BB154_36 Depth=2
	s_or_b32 exec_lo, exec_lo, s12
	s_delay_alu instid0(SALU_CYCLE_1) | instskip(NEXT) | instid1(SALU_CYCLE_1)
	s_and_b32 s10, exec_lo, s11
	s_or_b32 s7, s10, s7
	s_and_not1_b32 s8, s8, exec_lo
	s_and_b32 s10, s9, exec_lo
	s_delay_alu instid0(SALU_CYCLE_1)
	s_or_b32 s8, s8, s10
	s_and_not1_b32 exec_lo, exec_lo, s7
	s_cbranch_execz .LBB154_42
.LBB154_36:                             ;   Parent Loop BB154_33 Depth=1
                                        ; =>  This Inner Loop Header: Depth=2
	v_mov_b64_e32 v[16:17], v[12:13]
	s_mov_b32 s10, 0
	s_mov_b32 s11, exec_lo
                                        ; implicit-def: $vgpr12_vgpr13
	v_cmpx_ne_u64_e64 s[48:49], v[18:19]
	s_xor_b32 s11, exec_lo, s11
; %bb.37:                               ;   in Loop: Header=BB154_36 Depth=2
	s_delay_alu instid0(VALU_DEP_2) | instskip(SKIP_1) | instid1(VALU_DEP_1)
	v_add_nc_u32_e32 v1, 1, v16
	s_mov_b32 s10, exec_lo
	v_and_b32_e32 v12, 0x3fff, v1
                                        ; implicit-def: $vgpr1
; %bb.38:                               ;   in Loop: Header=BB154_36 Depth=2
	s_and_not1_saveexec_b32 s11, s11
	s_cbranch_execz .LBB154_40
; %bb.39:                               ;   in Loop: Header=BB154_36 Depth=2
	v_mov_b64_e32 v[12:13], s[48:49]
	s_and_not1_b32 s10, s10, exec_lo
	ds_cmpstore_rtn_b64 v[12:13], v1, v[14:15], v[12:13]
	s_wait_dscnt 0x0
	v_cmp_ne_u64_e32 vcc_lo, s[48:49], v[12:13]
	v_mov_b64_e32 v[12:13], v[16:17]
	s_and_b32 s12, vcc_lo, exec_lo
	s_delay_alu instid0(SALU_CYCLE_1)
	s_or_b32 s10, s10, s12
.LBB154_40:                             ;   in Loop: Header=BB154_36 Depth=2
	s_or_b32 exec_lo, exec_lo, s11
	s_mov_b32 s11, -1
	s_or_b32 s9, s9, exec_lo
                                        ; implicit-def: $vgpr1
                                        ; implicit-def: $vgpr18_vgpr19
	s_and_saveexec_b32 s12, s10
	s_cbranch_execz .LBB154_35
; %bb.41:                               ;   in Loop: Header=BB154_36 Depth=2
	v_lshl_add_u32 v1, v12, 3, 0
	s_and_not1_b32 s9, s9, exec_lo
	ds_load_b64 v[18:19], v1
	s_wait_dscnt 0x0
	v_cmp_eq_u64_e32 vcc_lo, v[18:19], v[14:15]
	s_or_not1_b32 s11, vcc_lo, exec_lo
	s_branch .LBB154_35
.LBB154_42:                             ;   in Loop: Header=BB154_33 Depth=1
	s_or_b32 exec_lo, exec_lo, s7
	s_and_saveexec_b32 s7, s8
	s_delay_alu instid0(SALU_CYCLE_1)
	s_xor_b32 s7, exec_lo, s7
	s_cbranch_execz .LBB154_31
; %bb.43:                               ;   in Loop: Header=BB154_33 Depth=1
	v_mov_b32_e32 v12, v16
	s_branch .LBB154_31
.LBB154_44:
	s_or_b32 exec_lo, exec_lo, s4
.LBB154_45:
	v_dual_lshrrev_b32 v1, 2, v0 :: v_dual_mov_b32 v3, 0
	v_xor_b32_e32 v2, 31, v36
	v_mov_b64_e32 v[6:7], 0
	v_cmp_lt_u32_e64 s0, 31, v0
	s_delay_alu instid0(VALU_DEP_4)
	v_and_b32_e32 v1, 0xf8, v1
	v_cmp_lt_u32_e64 s1, 63, v0
	v_lshrrev_b32_e64 v4, v2, -1
	v_cmp_lt_u32_e64 s2, 0x5f, v0
	v_cmp_lt_u32_e64 s3, 0x7f, v0
	v_add3_u32 v1, 0x60000, 0, v1
	v_cmp_lt_u32_e64 s4, 0x9f, v0
	v_cmp_lt_u32_e64 s5, 0xbf, v0
	;; [unrolled: 1-line block ×27, first 2 shown]
	v_add3_u32 v5, v37, 0, 0x20000
	s_mov_b32 s33, 0
	s_add_co_i32 s36, 0, 0x60000
	s_add_co_i32 s37, 0, 0x60008
	;; [unrolled: 1-line block ×32, first 2 shown]
	s_wait_dscnt 0x0
	s_barrier_signal -1
	s_barrier_wait -1
	v_cmp_eq_u32_e32 vcc_lo, 0x3ff, v0
	s_branch .LBB154_47
.LBB154_46:                             ;   in Loop: Header=BB154_47 Depth=1
	s_or_b32 exec_lo, exec_lo, s31
	v_dual_mov_b32 v2, s74 :: v_dual_add_nc_u32 v5, 0x4000, v5
	s_wait_dscnt 0x0
	s_barrier_signal -1
	s_barrier_wait -1
	ds_load_b64 v[8:9], v2
	v_add_nc_u32_e32 v34, 0x400, v34
	v_add_nc_u32_e32 v35, 0x2000, v35
	s_delay_alu instid0(VALU_DEP_2)
	v_cmp_lt_u32_e64 s31, 0x3bff, v34
	s_or_b32 s33, s31, s33
	s_wait_dscnt 0x0
	v_add_nc_u64_e32 v[6:7], v[8:9], v[6:7]
	s_and_not1_b32 exec_lo, exec_lo, s33
	s_cbranch_execz .LBB154_113
.LBB154_47:                             ; =>This Inner Loop Header: Depth=1
	ds_load_b64 v[8:9], v35
	ds_load_2addr_b64 v[10:13], v5 offset1:1
	s_wait_dscnt 0x1
	v_cmp_gt_i64_e64 s31, s[48:49], v[8:9]
	s_wait_dscnt 0x0
	scratch_store_b128 off, v[10:13], off
	s_wait_storecnt 0x0
	s_barrier_signal -1
	s_barrier_wait -1
	s_bcnt1_i32_b32 s75, s31
	s_wait_xcnt 0x0
	v_dual_mov_b32 v2, s75 :: v_dual_bitop2_b32 v10, s31, v4 bitop3:0x40
	s_delay_alu instid0(VALU_DEP_1)
	v_bcnt_u32_b32 v10, v10, 0
	ds_store_b64 v1, v[2:3]
	s_wait_dscnt 0x0
	s_barrier_signal -1
	s_barrier_wait -1
	s_and_saveexec_b32 s75, s0
	s_cbranch_execnz .LBB154_80
; %bb.48:                               ;   in Loop: Header=BB154_47 Depth=1
	s_or_b32 exec_lo, exec_lo, s75
	s_and_saveexec_b32 s75, s1
	s_cbranch_execnz .LBB154_81
.LBB154_49:                             ;   in Loop: Header=BB154_47 Depth=1
	s_or_b32 exec_lo, exec_lo, s75
	s_and_saveexec_b32 s75, s2
	s_cbranch_execnz .LBB154_82
.LBB154_50:                             ;   in Loop: Header=BB154_47 Depth=1
	s_or_b32 exec_lo, exec_lo, s75
	s_and_saveexec_b32 s75, s3
	s_cbranch_execnz .LBB154_83
.LBB154_51:                             ;   in Loop: Header=BB154_47 Depth=1
	s_or_b32 exec_lo, exec_lo, s75
	s_and_saveexec_b32 s75, s4
	s_cbranch_execnz .LBB154_84
.LBB154_52:                             ;   in Loop: Header=BB154_47 Depth=1
	s_or_b32 exec_lo, exec_lo, s75
	s_and_saveexec_b32 s75, s5
	s_cbranch_execnz .LBB154_85
.LBB154_53:                             ;   in Loop: Header=BB154_47 Depth=1
	s_or_b32 exec_lo, exec_lo, s75
	s_and_saveexec_b32 s75, s6
	s_cbranch_execnz .LBB154_86
.LBB154_54:                             ;   in Loop: Header=BB154_47 Depth=1
	s_or_b32 exec_lo, exec_lo, s75
	s_and_saveexec_b32 s75, s7
	s_cbranch_execnz .LBB154_87
.LBB154_55:                             ;   in Loop: Header=BB154_47 Depth=1
	s_or_b32 exec_lo, exec_lo, s75
	s_and_saveexec_b32 s75, s8
	s_cbranch_execnz .LBB154_88
.LBB154_56:                             ;   in Loop: Header=BB154_47 Depth=1
	s_or_b32 exec_lo, exec_lo, s75
	s_and_saveexec_b32 s75, s9
	s_cbranch_execnz .LBB154_89
.LBB154_57:                             ;   in Loop: Header=BB154_47 Depth=1
	s_or_b32 exec_lo, exec_lo, s75
	s_and_saveexec_b32 s75, s10
	s_cbranch_execnz .LBB154_90
.LBB154_58:                             ;   in Loop: Header=BB154_47 Depth=1
	s_or_b32 exec_lo, exec_lo, s75
	s_and_saveexec_b32 s75, s11
	s_cbranch_execnz .LBB154_91
.LBB154_59:                             ;   in Loop: Header=BB154_47 Depth=1
	s_or_b32 exec_lo, exec_lo, s75
	s_and_saveexec_b32 s75, s12
	s_cbranch_execnz .LBB154_92
.LBB154_60:                             ;   in Loop: Header=BB154_47 Depth=1
	s_or_b32 exec_lo, exec_lo, s75
	s_and_saveexec_b32 s75, s13
	s_cbranch_execnz .LBB154_93
.LBB154_61:                             ;   in Loop: Header=BB154_47 Depth=1
	s_or_b32 exec_lo, exec_lo, s75
	s_and_saveexec_b32 s75, s14
	s_cbranch_execnz .LBB154_94
.LBB154_62:                             ;   in Loop: Header=BB154_47 Depth=1
	s_or_b32 exec_lo, exec_lo, s75
	s_and_saveexec_b32 s75, s15
	s_cbranch_execnz .LBB154_95
.LBB154_63:                             ;   in Loop: Header=BB154_47 Depth=1
	s_or_b32 exec_lo, exec_lo, s75
	s_and_saveexec_b32 s75, s16
	s_cbranch_execnz .LBB154_96
.LBB154_64:                             ;   in Loop: Header=BB154_47 Depth=1
	s_or_b32 exec_lo, exec_lo, s75
	s_and_saveexec_b32 s75, s17
	s_cbranch_execnz .LBB154_97
.LBB154_65:                             ;   in Loop: Header=BB154_47 Depth=1
	s_or_b32 exec_lo, exec_lo, s75
	s_and_saveexec_b32 s75, s18
	s_cbranch_execnz .LBB154_98
.LBB154_66:                             ;   in Loop: Header=BB154_47 Depth=1
	s_or_b32 exec_lo, exec_lo, s75
	s_and_saveexec_b32 s75, s19
	s_cbranch_execnz .LBB154_99
.LBB154_67:                             ;   in Loop: Header=BB154_47 Depth=1
	s_or_b32 exec_lo, exec_lo, s75
	s_and_saveexec_b32 s75, s20
	s_cbranch_execnz .LBB154_100
.LBB154_68:                             ;   in Loop: Header=BB154_47 Depth=1
	s_or_b32 exec_lo, exec_lo, s75
	s_and_saveexec_b32 s75, s21
	s_cbranch_execnz .LBB154_101
.LBB154_69:                             ;   in Loop: Header=BB154_47 Depth=1
	s_or_b32 exec_lo, exec_lo, s75
	s_and_saveexec_b32 s75, s22
	s_cbranch_execnz .LBB154_102
.LBB154_70:                             ;   in Loop: Header=BB154_47 Depth=1
	s_or_b32 exec_lo, exec_lo, s75
	s_and_saveexec_b32 s75, s23
	s_cbranch_execnz .LBB154_103
.LBB154_71:                             ;   in Loop: Header=BB154_47 Depth=1
	s_or_b32 exec_lo, exec_lo, s75
	s_and_saveexec_b32 s75, s24
	s_cbranch_execnz .LBB154_104
.LBB154_72:                             ;   in Loop: Header=BB154_47 Depth=1
	s_or_b32 exec_lo, exec_lo, s75
	s_and_saveexec_b32 s75, s25
	s_cbranch_execnz .LBB154_105
.LBB154_73:                             ;   in Loop: Header=BB154_47 Depth=1
	s_or_b32 exec_lo, exec_lo, s75
	s_and_saveexec_b32 s75, s26
	s_cbranch_execnz .LBB154_106
.LBB154_74:                             ;   in Loop: Header=BB154_47 Depth=1
	s_or_b32 exec_lo, exec_lo, s75
	s_and_saveexec_b32 s75, s27
	s_cbranch_execnz .LBB154_107
.LBB154_75:                             ;   in Loop: Header=BB154_47 Depth=1
	s_or_b32 exec_lo, exec_lo, s75
	s_and_saveexec_b32 s75, s28
	s_cbranch_execnz .LBB154_108
.LBB154_76:                             ;   in Loop: Header=BB154_47 Depth=1
	s_or_b32 exec_lo, exec_lo, s75
	s_and_saveexec_b32 s75, s29
	s_cbranch_execnz .LBB154_109
.LBB154_77:                             ;   in Loop: Header=BB154_47 Depth=1
	s_or_b32 exec_lo, exec_lo, s75
	s_and_saveexec_b32 s75, s30
	s_cbranch_execnz .LBB154_110
.LBB154_78:                             ;   in Loop: Header=BB154_47 Depth=1
	s_or_b32 exec_lo, exec_lo, s75
	v_ashrrev_i32_e32 v11, 31, v10
	s_and_saveexec_b32 s75, s31
	s_cbranch_execnz .LBB154_111
.LBB154_79:                             ;   in Loop: Header=BB154_47 Depth=1
	s_or_b32 exec_lo, exec_lo, s75
	s_and_saveexec_b32 s31, vcc_lo
	s_cbranch_execz .LBB154_46
	s_branch .LBB154_112
.LBB154_80:                             ;   in Loop: Header=BB154_47 Depth=1
	v_mov_b32_e32 v2, s36
	ds_load_b32 v2, v2
	s_wait_dscnt 0x0
	v_add_nc_u32_e32 v10, v2, v10
	s_or_b32 exec_lo, exec_lo, s75
	s_and_saveexec_b32 s75, s1
	s_cbranch_execz .LBB154_49
.LBB154_81:                             ;   in Loop: Header=BB154_47 Depth=1
	v_mov_b32_e32 v2, s37
	ds_load_b32 v2, v2
	s_wait_dscnt 0x0
	v_add_nc_u32_e32 v10, v10, v2
	s_or_b32 exec_lo, exec_lo, s75
	s_and_saveexec_b32 s75, s2
	s_cbranch_execz .LBB154_50
.LBB154_82:                             ;   in Loop: Header=BB154_47 Depth=1
	v_mov_b32_e32 v2, s38
	ds_load_b32 v2, v2
	s_wait_dscnt 0x0
	v_add_nc_u32_e32 v10, v10, v2
	s_or_b32 exec_lo, exec_lo, s75
	s_and_saveexec_b32 s75, s3
	s_cbranch_execz .LBB154_51
.LBB154_83:                             ;   in Loop: Header=BB154_47 Depth=1
	v_mov_b32_e32 v2, s39
	ds_load_b32 v2, v2
	s_wait_dscnt 0x0
	v_add_nc_u32_e32 v10, v10, v2
	s_or_b32 exec_lo, exec_lo, s75
	s_and_saveexec_b32 s75, s4
	s_cbranch_execz .LBB154_52
.LBB154_84:                             ;   in Loop: Header=BB154_47 Depth=1
	v_mov_b32_e32 v2, s40
	ds_load_b32 v2, v2
	s_wait_dscnt 0x0
	v_add_nc_u32_e32 v10, v10, v2
	s_or_b32 exec_lo, exec_lo, s75
	s_and_saveexec_b32 s75, s5
	s_cbranch_execz .LBB154_53
.LBB154_85:                             ;   in Loop: Header=BB154_47 Depth=1
	v_mov_b32_e32 v2, s41
	ds_load_b32 v2, v2
	s_wait_dscnt 0x0
	v_add_nc_u32_e32 v10, v10, v2
	s_or_b32 exec_lo, exec_lo, s75
	s_and_saveexec_b32 s75, s6
	s_cbranch_execz .LBB154_54
.LBB154_86:                             ;   in Loop: Header=BB154_47 Depth=1
	v_mov_b32_e32 v2, s44
	ds_load_b32 v2, v2
	s_wait_dscnt 0x0
	v_add_nc_u32_e32 v10, v10, v2
	s_or_b32 exec_lo, exec_lo, s75
	s_and_saveexec_b32 s75, s7
	s_cbranch_execz .LBB154_55
.LBB154_87:                             ;   in Loop: Header=BB154_47 Depth=1
	v_mov_b32_e32 v2, s45
	ds_load_b32 v2, v2
	s_wait_dscnt 0x0
	v_add_nc_u32_e32 v10, v10, v2
	s_or_b32 exec_lo, exec_lo, s75
	s_and_saveexec_b32 s75, s8
	s_cbranch_execz .LBB154_56
.LBB154_88:                             ;   in Loop: Header=BB154_47 Depth=1
	v_mov_b32_e32 v2, s47
	ds_load_b32 v2, v2
	s_wait_dscnt 0x0
	v_add_nc_u32_e32 v10, v10, v2
	s_or_b32 exec_lo, exec_lo, s75
	s_and_saveexec_b32 s75, s9
	s_cbranch_execz .LBB154_57
.LBB154_89:                             ;   in Loop: Header=BB154_47 Depth=1
	v_mov_b32_e32 v2, s52
	ds_load_b32 v2, v2
	s_wait_dscnt 0x0
	v_add_nc_u32_e32 v10, v10, v2
	s_or_b32 exec_lo, exec_lo, s75
	s_and_saveexec_b32 s75, s10
	s_cbranch_execz .LBB154_58
.LBB154_90:                             ;   in Loop: Header=BB154_47 Depth=1
	v_mov_b32_e32 v2, s53
	ds_load_b32 v2, v2
	s_wait_dscnt 0x0
	v_add_nc_u32_e32 v10, v10, v2
	s_or_b32 exec_lo, exec_lo, s75
	s_and_saveexec_b32 s75, s11
	s_cbranch_execz .LBB154_59
.LBB154_91:                             ;   in Loop: Header=BB154_47 Depth=1
	v_mov_b32_e32 v2, s54
	ds_load_b32 v2, v2
	s_wait_dscnt 0x0
	v_add_nc_u32_e32 v10, v10, v2
	s_or_b32 exec_lo, exec_lo, s75
	s_and_saveexec_b32 s75, s12
	s_cbranch_execz .LBB154_60
.LBB154_92:                             ;   in Loop: Header=BB154_47 Depth=1
	v_mov_b32_e32 v2, s55
	ds_load_b32 v2, v2
	s_wait_dscnt 0x0
	v_add_nc_u32_e32 v10, v10, v2
	s_or_b32 exec_lo, exec_lo, s75
	s_and_saveexec_b32 s75, s13
	s_cbranch_execz .LBB154_61
.LBB154_93:                             ;   in Loop: Header=BB154_47 Depth=1
	v_mov_b32_e32 v2, s56
	ds_load_b32 v2, v2
	s_wait_dscnt 0x0
	v_add_nc_u32_e32 v10, v10, v2
	s_or_b32 exec_lo, exec_lo, s75
	s_and_saveexec_b32 s75, s14
	s_cbranch_execz .LBB154_62
.LBB154_94:                             ;   in Loop: Header=BB154_47 Depth=1
	v_mov_b32_e32 v2, s57
	ds_load_b32 v2, v2
	s_wait_dscnt 0x0
	v_add_nc_u32_e32 v10, v10, v2
	s_or_b32 exec_lo, exec_lo, s75
	s_and_saveexec_b32 s75, s15
	s_cbranch_execz .LBB154_63
.LBB154_95:                             ;   in Loop: Header=BB154_47 Depth=1
	v_mov_b32_e32 v2, s58
	ds_load_b32 v2, v2
	s_wait_dscnt 0x0
	v_add_nc_u32_e32 v10, v10, v2
	s_or_b32 exec_lo, exec_lo, s75
	s_and_saveexec_b32 s75, s16
	s_cbranch_execz .LBB154_64
.LBB154_96:                             ;   in Loop: Header=BB154_47 Depth=1
	v_mov_b32_e32 v2, s59
	ds_load_b32 v2, v2
	s_wait_dscnt 0x0
	v_add_nc_u32_e32 v10, v10, v2
	s_or_b32 exec_lo, exec_lo, s75
	s_and_saveexec_b32 s75, s17
	s_cbranch_execz .LBB154_65
.LBB154_97:                             ;   in Loop: Header=BB154_47 Depth=1
	v_mov_b32_e32 v2, s60
	ds_load_b32 v2, v2
	s_wait_dscnt 0x0
	v_add_nc_u32_e32 v10, v10, v2
	s_or_b32 exec_lo, exec_lo, s75
	s_and_saveexec_b32 s75, s18
	s_cbranch_execz .LBB154_66
.LBB154_98:                             ;   in Loop: Header=BB154_47 Depth=1
	v_mov_b32_e32 v2, s61
	ds_load_b32 v2, v2
	s_wait_dscnt 0x0
	v_add_nc_u32_e32 v10, v10, v2
	s_or_b32 exec_lo, exec_lo, s75
	s_and_saveexec_b32 s75, s19
	s_cbranch_execz .LBB154_67
.LBB154_99:                             ;   in Loop: Header=BB154_47 Depth=1
	v_mov_b32_e32 v2, s62
	ds_load_b32 v2, v2
	s_wait_dscnt 0x0
	v_add_nc_u32_e32 v10, v10, v2
	s_or_b32 exec_lo, exec_lo, s75
	s_and_saveexec_b32 s75, s20
	s_cbranch_execz .LBB154_68
.LBB154_100:                            ;   in Loop: Header=BB154_47 Depth=1
	v_mov_b32_e32 v2, s63
	ds_load_b32 v2, v2
	s_wait_dscnt 0x0
	v_add_nc_u32_e32 v10, v10, v2
	s_or_b32 exec_lo, exec_lo, s75
	s_and_saveexec_b32 s75, s21
	s_cbranch_execz .LBB154_69
.LBB154_101:                            ;   in Loop: Header=BB154_47 Depth=1
	v_mov_b32_e32 v2, s64
	ds_load_b32 v2, v2
	s_wait_dscnt 0x0
	v_add_nc_u32_e32 v10, v10, v2
	s_or_b32 exec_lo, exec_lo, s75
	s_and_saveexec_b32 s75, s22
	s_cbranch_execz .LBB154_70
.LBB154_102:                            ;   in Loop: Header=BB154_47 Depth=1
	v_mov_b32_e32 v2, s65
	ds_load_b32 v2, v2
	s_wait_dscnt 0x0
	v_add_nc_u32_e32 v10, v10, v2
	s_or_b32 exec_lo, exec_lo, s75
	s_and_saveexec_b32 s75, s23
	s_cbranch_execz .LBB154_71
.LBB154_103:                            ;   in Loop: Header=BB154_47 Depth=1
	v_mov_b32_e32 v2, s66
	ds_load_b32 v2, v2
	s_wait_dscnt 0x0
	v_add_nc_u32_e32 v10, v10, v2
	s_or_b32 exec_lo, exec_lo, s75
	s_and_saveexec_b32 s75, s24
	s_cbranch_execz .LBB154_72
.LBB154_104:                            ;   in Loop: Header=BB154_47 Depth=1
	v_mov_b32_e32 v2, s67
	ds_load_b32 v2, v2
	s_wait_dscnt 0x0
	v_add_nc_u32_e32 v10, v10, v2
	s_or_b32 exec_lo, exec_lo, s75
	s_and_saveexec_b32 s75, s25
	s_cbranch_execz .LBB154_73
.LBB154_105:                            ;   in Loop: Header=BB154_47 Depth=1
	v_mov_b32_e32 v2, s68
	ds_load_b32 v2, v2
	s_wait_dscnt 0x0
	v_add_nc_u32_e32 v10, v10, v2
	s_or_b32 exec_lo, exec_lo, s75
	s_and_saveexec_b32 s75, s26
	s_cbranch_execz .LBB154_74
.LBB154_106:                            ;   in Loop: Header=BB154_47 Depth=1
	v_mov_b32_e32 v2, s69
	ds_load_b32 v2, v2
	s_wait_dscnt 0x0
	v_add_nc_u32_e32 v10, v10, v2
	s_or_b32 exec_lo, exec_lo, s75
	s_and_saveexec_b32 s75, s27
	s_cbranch_execz .LBB154_75
.LBB154_107:                            ;   in Loop: Header=BB154_47 Depth=1
	v_mov_b32_e32 v2, s70
	ds_load_b32 v2, v2
	s_wait_dscnt 0x0
	v_add_nc_u32_e32 v10, v10, v2
	s_or_b32 exec_lo, exec_lo, s75
	s_and_saveexec_b32 s75, s28
	s_cbranch_execz .LBB154_76
.LBB154_108:                            ;   in Loop: Header=BB154_47 Depth=1
	v_mov_b32_e32 v2, s71
	ds_load_b32 v2, v2
	s_wait_dscnt 0x0
	v_add_nc_u32_e32 v10, v10, v2
	s_or_b32 exec_lo, exec_lo, s75
	s_and_saveexec_b32 s75, s29
	s_cbranch_execz .LBB154_77
.LBB154_109:                            ;   in Loop: Header=BB154_47 Depth=1
	v_mov_b32_e32 v2, s72
	ds_load_b32 v2, v2
	s_wait_dscnt 0x0
	v_add_nc_u32_e32 v10, v10, v2
	s_or_b32 exec_lo, exec_lo, s75
	s_and_saveexec_b32 s75, s30
	s_cbranch_execz .LBB154_78
.LBB154_110:                            ;   in Loop: Header=BB154_47 Depth=1
	v_mov_b32_e32 v2, s73
	ds_load_b32 v2, v2
	s_wait_dscnt 0x0
	v_add_nc_u32_e32 v10, v10, v2
	s_or_b32 exec_lo, exec_lo, s75
	s_delay_alu instid0(VALU_DEP_1)
	v_ashrrev_i32_e32 v11, 31, v10
	s_and_saveexec_b32 s75, s31
	s_cbranch_execz .LBB154_79
.LBB154_111:                            ;   in Loop: Header=BB154_47 Depth=1
	scratch_load_b128 v[12:15], off, off
	v_add3_u32 v2, v6, -1, v10
	s_delay_alu instid0(VALU_DEP_1) | instskip(SKIP_1) | instid1(VALU_DEP_2)
	v_lshlrev_b32_e32 v16, 4, v2
	v_lshl_add_u32 v2, v2, 3, 0
	v_add3_u32 v16, 0, v16, 0x20000
	ds_store_b64 v2, v[8:9]
	s_wait_loadcnt 0x0
	ds_store_2addr_b64 v16, v[12:13], v[14:15] offset1:1
	s_or_b32 exec_lo, exec_lo, s75
	s_and_saveexec_b32 s31, vcc_lo
	s_cbranch_execz .LBB154_46
.LBB154_112:                            ;   in Loop: Header=BB154_47 Depth=1
	v_mov_b32_e32 v2, s74
	ds_store_b64 v2, v[10:11]
	s_branch .LBB154_46
.LBB154_113:
	s_or_b32 exec_lo, exec_lo, s33
	s_wait_kmcnt 0x0
	s_lshl_b64 s[0:1], s[50:51], 3
	v_mov_b32_e32 v1, 0
	s_add_nc_u64 s[4:5], s[42:43], s[0:1]
	s_mov_b32 s6, exec_lo
	s_load_b128 s[0:3], s[4:5], 0x0
	s_wait_kmcnt 0x0
	s_sub_nc_u64 s[4:5], s[2:3], s[0:1]
	s_delay_alu instid0(SALU_CYCLE_1)
	v_cmpx_gt_i64_e64 s[4:5], v[0:1]
	s_cbranch_execz .LBB154_123
; %bb.114:
	s_sub_nc_u64 s[8:9], s[0:1], s[2:3]
	s_and_b64 s[6:7], s[4:5], 7
	v_cmp_lt_u64_e64 s10, s[8:9], -7
	s_and_b64 s[2:3], s[4:5], -8
	s_mov_b32 s47, 0
	s_cmp_lg_u64 s[6:7], 0
	s_sub_nc_u64 s[0:1], s[0:1], s[46:47]
	s_cselect_b32 s11, -1, 0
	s_mov_b32 s12, 0
	s_branch .LBB154_116
.LBB154_115:                            ;   in Loop: Header=BB154_116 Depth=1
	s_wait_dscnt 0x0
	v_lshlrev_b32_e32 v2, 4, v0
	v_add_nc_u64_e32 v[0:1], 0x400, v[0:1]
	s_delay_alu instid0(VALU_DEP_2) | instskip(NEXT) | instid1(VALU_DEP_2)
	v_add3_u32 v2, 0, v2, 0x20000
	v_cmp_le_i64_e32 vcc_lo, s[4:5], v[0:1]
	ds_load_2addr_b64 v[6:9], v2 offset1:1
	v_lshl_add_u64 v[2:3], v[4:5], 4, s[34:35]
	s_or_b32 s12, vcc_lo, s12
	s_wait_dscnt 0x0
	global_store_b128 v[2:3], v[6:9], off
	s_wait_xcnt 0x0
	s_and_not1_b32 exec_lo, exec_lo, s12
	s_cbranch_execz .LBB154_123
.LBB154_116:                            ; =>This Loop Header: Depth=1
                                        ;     Child Loop BB154_118 Depth 2
                                        ;     Child Loop BB154_122 Depth 2
	v_lshl_add_u32 v2, v0, 3, 0
	v_mov_b64_e32 v[4:5], s[0:1]
	s_and_not1_b32 vcc_lo, exec_lo, s10
	s_mov_b64 s[8:9], 0
	ds_load_b64 v[2:3], v2
	s_cbranch_vccnz .LBB154_120
; %bb.117:                              ;   in Loop: Header=BB154_116 Depth=1
	v_mov_b64_e32 v[4:5], s[0:1]
	s_mov_b32 s13, 0
.LBB154_118:                            ;   Parent Loop BB154_116 Depth=1
                                        ; =>  This Inner Loop Header: Depth=2
	s_delay_alu instid0(SALU_CYCLE_1)
	v_dual_mov_b32 v18, s13 :: v_dual_mov_b32 v15, s47
	v_mov_b32_e32 v17, s47
	s_add_nc_u64 s[8:9], s[8:9], 8
	s_add_co_i32 s13, s13, 64
	ds_load_2addr_b64 v[6:9], v18 offset1:1
	ds_load_2addr_b64 v[10:13], v18 offset0:2 offset1:3
	s_cmp_eq_u64 s[2:3], s[8:9]
	s_wait_dscnt 0x1
	v_cmp_gt_i64_e32 vcc_lo, v[2:3], v[6:7]
	v_cndmask_b32_e64 v14, 0, 1, vcc_lo
	v_cmp_gt_i64_e32 vcc_lo, v[2:3], v[8:9]
	s_delay_alu instid0(VALU_DEP_2) | instskip(SKIP_4) | instid1(VALU_DEP_2)
	v_add_nc_u64_e32 v[8:9], v[4:5], v[14:15]
	ds_load_2addr_b64 v[4:7], v18 offset0:4 offset1:5
	v_cndmask_b32_e64 v16, 0, 1, vcc_lo
	s_wait_dscnt 0x1
	v_cmp_gt_i64_e32 vcc_lo, v[2:3], v[10:11]
	v_add_nc_u64_e32 v[8:9], v[8:9], v[16:17]
	v_cndmask_b32_e64 v14, 0, 1, vcc_lo
	v_cmp_gt_i64_e32 vcc_lo, v[2:3], v[12:13]
	s_delay_alu instid0(VALU_DEP_2)
	v_add_nc_u64_e32 v[12:13], v[8:9], v[14:15]
	ds_load_2addr_b64 v[8:11], v18 offset0:6 offset1:7
	v_cndmask_b32_e64 v16, 0, 1, vcc_lo
	s_wait_dscnt 0x1
	v_cmp_gt_i64_e32 vcc_lo, v[2:3], v[4:5]
	v_mov_b32_e32 v5, s47
	s_delay_alu instid0(VALU_DEP_3) | instskip(SKIP_3) | instid1(VALU_DEP_3)
	v_add_nc_u64_e32 v[12:13], v[12:13], v[16:17]
	v_cndmask_b32_e64 v14, 0, 1, vcc_lo
	v_cmp_gt_i64_e32 vcc_lo, v[2:3], v[6:7]
	v_mov_b32_e32 v7, s47
	v_add_nc_u64_e32 v[12:13], v[12:13], v[14:15]
	v_cndmask_b32_e64 v4, 0, 1, vcc_lo
	s_wait_dscnt 0x0
	v_cmp_gt_i64_e32 vcc_lo, v[2:3], v[8:9]
	v_mov_b32_e32 v9, s47
	s_delay_alu instid0(VALU_DEP_3) | instskip(SKIP_2) | instid1(VALU_DEP_2)
	v_add_nc_u64_e32 v[4:5], v[12:13], v[4:5]
	v_cndmask_b32_e64 v6, 0, 1, vcc_lo
	v_cmp_gt_i64_e32 vcc_lo, v[2:3], v[10:11]
	v_add_nc_u64_e32 v[4:5], v[4:5], v[6:7]
	v_cndmask_b32_e64 v8, 0, 1, vcc_lo
	s_delay_alu instid0(VALU_DEP_1)
	v_add_nc_u64_e32 v[4:5], v[4:5], v[8:9]
	s_cbranch_scc0 .LBB154_118
; %bb.119:                              ;   in Loop: Header=BB154_116 Depth=1
	s_mov_b64 s[8:9], s[2:3]
.LBB154_120:                            ;   in Loop: Header=BB154_116 Depth=1
	s_and_not1_b32 vcc_lo, exec_lo, s11
	s_cbranch_vccnz .LBB154_115
; %bb.121:                              ;   in Loop: Header=BB154_116 Depth=1
	s_lshl_b32 s8, s8, 3
	s_delay_alu instid0(SALU_CYCLE_1)
	s_add_co_i32 s13, s8, 0
	s_mov_b64 s[8:9], s[6:7]
.LBB154_122:                            ;   Parent Loop BB154_116 Depth=1
                                        ; =>  This Inner Loop Header: Depth=2
	v_dual_mov_b32 v6, s13 :: v_dual_mov_b32 v9, s47
	s_add_nc_u64 s[8:9], s[8:9], -1
	s_add_co_i32 s13, s13, 8
	s_cmp_lg_u64 s[8:9], 0
	ds_load_b64 v[6:7], v6
	s_wait_dscnt 0x0
	v_cmp_gt_i64_e32 vcc_lo, v[2:3], v[6:7]
	v_cndmask_b32_e64 v8, 0, 1, vcc_lo
	s_delay_alu instid0(VALU_DEP_1)
	v_add_nc_u64_e32 v[4:5], v[4:5], v[8:9]
	s_cbranch_scc1 .LBB154_122
	s_branch .LBB154_115
.LBB154_123:
	s_endpgm
	.section	.rodata,"a",@progbits
	.p2align	6, 0x0
	.amdhsa_kernel _ZN9rocsparseL41csrgemm_numeric_fill_block_per_row_kernelILj1024ELj64ELj16384ELj137ELj32Ell21rocsparse_complex_numIdEEEvT5_PKS3_S5_NS_24const_host_device_scalarIT6_EEPKT4_S5_PKS7_SB_S5_SD_S8_SB_S5_SD_SB_S5_PS7_21rocsparse_index_base_SF_SF_SF_bbb
		.amdhsa_group_segment_fixed_size 0
		.amdhsa_private_segment_fixed_size 40
		.amdhsa_kernarg_size 172
		.amdhsa_user_sgpr_count 2
		.amdhsa_user_sgpr_dispatch_ptr 0
		.amdhsa_user_sgpr_queue_ptr 0
		.amdhsa_user_sgpr_kernarg_segment_ptr 1
		.amdhsa_user_sgpr_dispatch_id 0
		.amdhsa_user_sgpr_kernarg_preload_length 0
		.amdhsa_user_sgpr_kernarg_preload_offset 0
		.amdhsa_user_sgpr_private_segment_size 0
		.amdhsa_wavefront_size32 1
		.amdhsa_uses_dynamic_stack 0
		.amdhsa_enable_private_segment 1
		.amdhsa_system_sgpr_workgroup_id_x 1
		.amdhsa_system_sgpr_workgroup_id_y 0
		.amdhsa_system_sgpr_workgroup_id_z 0
		.amdhsa_system_sgpr_workgroup_info 0
		.amdhsa_system_vgpr_workitem_id 0
		.amdhsa_next_free_vgpr 38
		.amdhsa_next_free_sgpr 76
		.amdhsa_named_barrier_count 0
		.amdhsa_reserve_vcc 1
		.amdhsa_float_round_mode_32 0
		.amdhsa_float_round_mode_16_64 0
		.amdhsa_float_denorm_mode_32 3
		.amdhsa_float_denorm_mode_16_64 3
		.amdhsa_fp16_overflow 0
		.amdhsa_memory_ordered 1
		.amdhsa_forward_progress 1
		.amdhsa_inst_pref_size 39
		.amdhsa_round_robin_scheduling 0
		.amdhsa_exception_fp_ieee_invalid_op 0
		.amdhsa_exception_fp_denorm_src 0
		.amdhsa_exception_fp_ieee_div_zero 0
		.amdhsa_exception_fp_ieee_overflow 0
		.amdhsa_exception_fp_ieee_underflow 0
		.amdhsa_exception_fp_ieee_inexact 0
		.amdhsa_exception_int_div_zero 0
	.end_amdhsa_kernel
	.section	.text._ZN9rocsparseL41csrgemm_numeric_fill_block_per_row_kernelILj1024ELj64ELj16384ELj137ELj32Ell21rocsparse_complex_numIdEEEvT5_PKS3_S5_NS_24const_host_device_scalarIT6_EEPKT4_S5_PKS7_SB_S5_SD_S8_SB_S5_SD_SB_S5_PS7_21rocsparse_index_base_SF_SF_SF_bbb,"axG",@progbits,_ZN9rocsparseL41csrgemm_numeric_fill_block_per_row_kernelILj1024ELj64ELj16384ELj137ELj32Ell21rocsparse_complex_numIdEEEvT5_PKS3_S5_NS_24const_host_device_scalarIT6_EEPKT4_S5_PKS7_SB_S5_SD_S8_SB_S5_SD_SB_S5_PS7_21rocsparse_index_base_SF_SF_SF_bbb,comdat
.Lfunc_end154:
	.size	_ZN9rocsparseL41csrgemm_numeric_fill_block_per_row_kernelILj1024ELj64ELj16384ELj137ELj32Ell21rocsparse_complex_numIdEEEvT5_PKS3_S5_NS_24const_host_device_scalarIT6_EEPKT4_S5_PKS7_SB_S5_SD_S8_SB_S5_SD_SB_S5_PS7_21rocsparse_index_base_SF_SF_SF_bbb, .Lfunc_end154-_ZN9rocsparseL41csrgemm_numeric_fill_block_per_row_kernelILj1024ELj64ELj16384ELj137ELj32Ell21rocsparse_complex_numIdEEEvT5_PKS3_S5_NS_24const_host_device_scalarIT6_EEPKT4_S5_PKS7_SB_S5_SD_S8_SB_S5_SD_SB_S5_PS7_21rocsparse_index_base_SF_SF_SF_bbb
                                        ; -- End function
	.set _ZN9rocsparseL41csrgemm_numeric_fill_block_per_row_kernelILj1024ELj64ELj16384ELj137ELj32Ell21rocsparse_complex_numIdEEEvT5_PKS3_S5_NS_24const_host_device_scalarIT6_EEPKT4_S5_PKS7_SB_S5_SD_S8_SB_S5_SD_SB_S5_PS7_21rocsparse_index_base_SF_SF_SF_bbb.num_vgpr, 38
	.set _ZN9rocsparseL41csrgemm_numeric_fill_block_per_row_kernelILj1024ELj64ELj16384ELj137ELj32Ell21rocsparse_complex_numIdEEEvT5_PKS3_S5_NS_24const_host_device_scalarIT6_EEPKT4_S5_PKS7_SB_S5_SD_S8_SB_S5_SD_SB_S5_PS7_21rocsparse_index_base_SF_SF_SF_bbb.num_agpr, 0
	.set _ZN9rocsparseL41csrgemm_numeric_fill_block_per_row_kernelILj1024ELj64ELj16384ELj137ELj32Ell21rocsparse_complex_numIdEEEvT5_PKS3_S5_NS_24const_host_device_scalarIT6_EEPKT4_S5_PKS7_SB_S5_SD_S8_SB_S5_SD_SB_S5_PS7_21rocsparse_index_base_SF_SF_SF_bbb.numbered_sgpr, 76
	.set _ZN9rocsparseL41csrgemm_numeric_fill_block_per_row_kernelILj1024ELj64ELj16384ELj137ELj32Ell21rocsparse_complex_numIdEEEvT5_PKS3_S5_NS_24const_host_device_scalarIT6_EEPKT4_S5_PKS7_SB_S5_SD_S8_SB_S5_SD_SB_S5_PS7_21rocsparse_index_base_SF_SF_SF_bbb.num_named_barrier, 0
	.set _ZN9rocsparseL41csrgemm_numeric_fill_block_per_row_kernelILj1024ELj64ELj16384ELj137ELj32Ell21rocsparse_complex_numIdEEEvT5_PKS3_S5_NS_24const_host_device_scalarIT6_EEPKT4_S5_PKS7_SB_S5_SD_S8_SB_S5_SD_SB_S5_PS7_21rocsparse_index_base_SF_SF_SF_bbb.private_seg_size, 40
	.set _ZN9rocsparseL41csrgemm_numeric_fill_block_per_row_kernelILj1024ELj64ELj16384ELj137ELj32Ell21rocsparse_complex_numIdEEEvT5_PKS3_S5_NS_24const_host_device_scalarIT6_EEPKT4_S5_PKS7_SB_S5_SD_S8_SB_S5_SD_SB_S5_PS7_21rocsparse_index_base_SF_SF_SF_bbb.uses_vcc, 1
	.set _ZN9rocsparseL41csrgemm_numeric_fill_block_per_row_kernelILj1024ELj64ELj16384ELj137ELj32Ell21rocsparse_complex_numIdEEEvT5_PKS3_S5_NS_24const_host_device_scalarIT6_EEPKT4_S5_PKS7_SB_S5_SD_S8_SB_S5_SD_SB_S5_PS7_21rocsparse_index_base_SF_SF_SF_bbb.uses_flat_scratch, 1
	.set _ZN9rocsparseL41csrgemm_numeric_fill_block_per_row_kernelILj1024ELj64ELj16384ELj137ELj32Ell21rocsparse_complex_numIdEEEvT5_PKS3_S5_NS_24const_host_device_scalarIT6_EEPKT4_S5_PKS7_SB_S5_SD_S8_SB_S5_SD_SB_S5_PS7_21rocsparse_index_base_SF_SF_SF_bbb.has_dyn_sized_stack, 0
	.set _ZN9rocsparseL41csrgemm_numeric_fill_block_per_row_kernelILj1024ELj64ELj16384ELj137ELj32Ell21rocsparse_complex_numIdEEEvT5_PKS3_S5_NS_24const_host_device_scalarIT6_EEPKT4_S5_PKS7_SB_S5_SD_S8_SB_S5_SD_SB_S5_PS7_21rocsparse_index_base_SF_SF_SF_bbb.has_recursion, 0
	.set _ZN9rocsparseL41csrgemm_numeric_fill_block_per_row_kernelILj1024ELj64ELj16384ELj137ELj32Ell21rocsparse_complex_numIdEEEvT5_PKS3_S5_NS_24const_host_device_scalarIT6_EEPKT4_S5_PKS7_SB_S5_SD_S8_SB_S5_SD_SB_S5_PS7_21rocsparse_index_base_SF_SF_SF_bbb.has_indirect_call, 0
	.section	.AMDGPU.csdata,"",@progbits
; Kernel info:
; codeLenInByte = 4892
; TotalNumSgprs: 78
; NumVgprs: 38
; ScratchSize: 40
; MemoryBound: 0
; FloatMode: 240
; IeeeMode: 1
; LDSByteSize: 0 bytes/workgroup (compile time only)
; SGPRBlocks: 0
; VGPRBlocks: 2
; NumSGPRsForWavesPerEU: 78
; NumVGPRsForWavesPerEU: 38
; NamedBarCnt: 0
; Occupancy: 16
; WaveLimiterHint : 1
; COMPUTE_PGM_RSRC2:SCRATCH_EN: 1
; COMPUTE_PGM_RSRC2:USER_SGPR: 2
; COMPUTE_PGM_RSRC2:TRAP_HANDLER: 0
; COMPUTE_PGM_RSRC2:TGID_X_EN: 1
; COMPUTE_PGM_RSRC2:TGID_Y_EN: 0
; COMPUTE_PGM_RSRC2:TGID_Z_EN: 0
; COMPUTE_PGM_RSRC2:TIDIG_COMP_CNT: 0
	.section	.text._ZN9rocsparseL41csrgemm_numeric_fill_block_per_row_kernelILj1024ELj64ELj16384ELj137ELj64Ell21rocsparse_complex_numIdEEEvT5_PKS3_S5_NS_24const_host_device_scalarIT6_EEPKT4_S5_PKS7_SB_S5_SD_S8_SB_S5_SD_SB_S5_PS7_21rocsparse_index_base_SF_SF_SF_bbb,"axG",@progbits,_ZN9rocsparseL41csrgemm_numeric_fill_block_per_row_kernelILj1024ELj64ELj16384ELj137ELj64Ell21rocsparse_complex_numIdEEEvT5_PKS3_S5_NS_24const_host_device_scalarIT6_EEPKT4_S5_PKS7_SB_S5_SD_S8_SB_S5_SD_SB_S5_PS7_21rocsparse_index_base_SF_SF_SF_bbb,comdat
	.globl	_ZN9rocsparseL41csrgemm_numeric_fill_block_per_row_kernelILj1024ELj64ELj16384ELj137ELj64Ell21rocsparse_complex_numIdEEEvT5_PKS3_S5_NS_24const_host_device_scalarIT6_EEPKT4_S5_PKS7_SB_S5_SD_S8_SB_S5_SD_SB_S5_PS7_21rocsparse_index_base_SF_SF_SF_bbb ; -- Begin function _ZN9rocsparseL41csrgemm_numeric_fill_block_per_row_kernelILj1024ELj64ELj16384ELj137ELj64Ell21rocsparse_complex_numIdEEEvT5_PKS3_S5_NS_24const_host_device_scalarIT6_EEPKT4_S5_PKS7_SB_S5_SD_S8_SB_S5_SD_SB_S5_PS7_21rocsparse_index_base_SF_SF_SF_bbb
	.p2align	8
	.type	_ZN9rocsparseL41csrgemm_numeric_fill_block_per_row_kernelILj1024ELj64ELj16384ELj137ELj64Ell21rocsparse_complex_numIdEEEvT5_PKS3_S5_NS_24const_host_device_scalarIT6_EEPKT4_S5_PKS7_SB_S5_SD_S8_SB_S5_SD_SB_S5_PS7_21rocsparse_index_base_SF_SF_SF_bbb,@function
_ZN9rocsparseL41csrgemm_numeric_fill_block_per_row_kernelILj1024ELj64ELj16384ELj137ELj64Ell21rocsparse_complex_numIdEEEvT5_PKS3_S5_NS_24const_host_device_scalarIT6_EEPKT4_S5_PKS7_SB_S5_SD_S8_SB_S5_SD_SB_S5_PS7_21rocsparse_index_base_SF_SF_SF_bbb: ; @_ZN9rocsparseL41csrgemm_numeric_fill_block_per_row_kernelILj1024ELj64ELj16384ELj137ELj64Ell21rocsparse_complex_numIdEEEvT5_PKS3_S5_NS_24const_host_device_scalarIT6_EEPKT4_S5_PKS7_SB_S5_SD_S8_SB_S5_SD_SB_S5_PS7_21rocsparse_index_base_SF_SF_SF_bbb
; %bb.0:
	s_clause 0x3
	s_load_b32 s3, s[0:1], 0xa8
	s_load_b128 s[8:11], s[0:1], 0x18
	s_load_b128 s[4:7], s[0:1], 0x58
	;; [unrolled: 1-line block ×3, first 2 shown]
	v_mov_b64_e32 v[6:7], 0
	v_mov_b64_e32 v[12:13], 0
	v_mov_b64_e32 v[14:15], 0
	v_mbcnt_lo_u32_b32 v38, -1, 0
	s_wait_kmcnt 0x0
	s_bitcmp1_b32 s3, 0
	v_mov_b64_e32 v[2:3], s[8:9]
	s_cselect_b32 s36, -1, 0
	s_bitcmp1_b32 s3, 16
	v_mov_b64_e32 v[4:5], s[4:5]
	s_cselect_b32 s2, -1, 0
	s_clause 0x1
	scratch_store_b64 off, v[2:3], off offset:16
	scratch_store_b64 off, v[4:5], off offset:24
	s_xor_b32 s12, s2, -1
	s_bitcmp0_b32 s3, 0
	v_cndmask_b32_e64 v1, 0, 1, s12
	s_delay_alu instid0(VALU_DEP_1)
	v_cmp_ne_u32_e32 vcc_lo, 1, v1
	s_cbranch_scc1 .LBB155_3
; %bb.1:
	s_wait_xcnt 0x1
	v_dual_mov_b32 v2, 16 :: v_dual_lshlrev_b32 v3, 20, v38
	v_mov_b64_e32 v[14:15], s[10:11]
	s_and_b32 vcc_lo, exec_lo, vcc_lo
	s_delay_alu instid0(VALU_DEP_2) | instskip(NEXT) | instid1(VALU_DEP_1)
	v_add_nc_u64_e32 v[2:3], src_flat_scratch_base_lo, v[2:3]
	v_cndmask_b32_e64 v3, s9, v3, s2
	s_delay_alu instid0(VALU_DEP_2)
	v_cndmask_b32_e64 v2, s8, v2, s2
	flat_load_b64 v[12:13], v[2:3]
	s_cbranch_vccnz .LBB155_3
; %bb.2:
	v_mov_b32_e32 v1, 0
	flat_load_b64 v[14:15], v1, s[8:9] offset:8
.LBB155_3:
	s_load_b64 s[34:35], s[0:1], 0x8
	v_mov_b64_e32 v[8:9], 0
	s_bitcmp1_b32 s3, 8
	s_cselect_b32 s33, -1, 0
	s_bfe_u32 s3, s3, 0x10008
	s_delay_alu instid0(SALU_CYCLE_1)
	s_cmp_eq_u32 s3, 0
	s_cbranch_scc1 .LBB155_6
; %bb.4:
	v_dual_mov_b32 v2, 24 :: v_dual_lshlrev_b32 v3, 20, v38
	v_mov_b64_e32 v[6:7], s[6:7]
	s_and_not1_b32 vcc_lo, exec_lo, s12
	s_delay_alu instid0(VALU_DEP_2) | instskip(NEXT) | instid1(VALU_DEP_1)
	v_add_nc_u64_e32 v[2:3], src_flat_scratch_base_lo, v[2:3]
	v_cndmask_b32_e64 v3, s5, v3, s2
	s_delay_alu instid0(VALU_DEP_2)
	v_cndmask_b32_e64 v2, s4, v2, s2
	flat_load_b64 v[8:9], v[2:3]
	s_cbranch_vccnz .LBB155_6
; %bb.5:
	v_mov_b32_e32 v1, 0
	flat_load_b64 v[6:7], v1, s[4:5] offset:8
.LBB155_6:
	s_clause 0x5
	s_load_b64 s[30:31], s[0:1], 0x0
	s_load_b64 s[2:3], s[0:1], 0x10
	;; [unrolled: 1-line block ×3, first 2 shown]
	s_load_b256 s[12:19], s[0:1], 0x68
	s_load_b128 s[24:27], s[0:1], 0x48
	s_load_b256 s[4:11], s[0:1], 0x28
	s_wait_xcnt 0x0
	s_mov_b32 s0, 0
	v_or_b32_e32 v36, 0xfffffc00, v0
	v_lshl_add_u32 v37, v0, 3, 0
	v_lshlrev_b32_e32 v39, 4, v0
	s_mov_b32 s1, s0
	s_mov_b32 s38, s0
	;; [unrolled: 1-line block ×3, first 2 shown]
	v_mov_b64_e32 v[2:3], s[0:1]
	v_mov_b64_e32 v[4:5], s[38:39]
	v_mov_b32_e32 v16, v37
	v_add3_u32 v1, v39, 0, 0x20008
	v_mov_b32_e32 v17, v36
	s_wait_kmcnt 0x0
	v_mov_b64_e32 v[10:11], s[30:31]
.LBB155_7:                              ; =>This Inner Loop Header: Depth=1
	s_delay_alu instid0(VALU_DEP_2)
	v_add_nc_u32_e32 v17, 0x400, v17
	ds_store_b64 v16, v[10:11]
	v_add_nc_u32_e32 v18, -8, v1
	v_add_nc_u32_e32 v1, 0x4000, v1
	v_add_nc_u32_e32 v16, 0x2000, v16
	v_cmp_lt_u32_e32 vcc_lo, 0x3bff, v17
	ds_store_2addr_b64 v18, v[2:3], v[4:5] offset1:1
	s_or_b32 s0, vcc_lo, s0
	s_delay_alu instid0(SALU_CYCLE_1)
	s_and_not1_b32 exec_lo, exec_lo, s0
	s_cbranch_execnz .LBB155_7
; %bb.8:
	s_or_b32 exec_lo, exec_lo, s0
	s_wait_storecnt 0x0
	s_wait_loadcnt_dscnt 0x0
	s_barrier_signal -1
	s_barrier_wait -1
	s_load_b64 s[0:1], s[34:35], 0x0
	s_wait_xcnt 0x0
	s_bfe_u32 s34, ttmp6, 0x4000c
	s_and_b32 s35, ttmp6, 15
	s_add_co_i32 s34, s34, 1
	s_getreg_b32 s37, hwreg(HW_REG_IB_STS2, 6, 4)
	s_mul_i32 s34, ttmp9, s34
	v_lshrrev_b32_e32 v10, 6, v0
	s_add_co_i32 s35, s35, s34
	s_wait_kmcnt 0x0
	s_lshl_b64 s[0:1], s[0:1], 3
	s_cmp_eq_u32 s37, 0
	s_add_nc_u64 s[0:1], s[2:3], s[0:1]
	s_cselect_b32 s2, ttmp9, s35
	s_and_b32 vcc_lo, exec_lo, s36
	s_load_b64 s[34:35], s[0:1], s2 offset:0x0 scale_offset
	s_wait_xcnt 0x0
	s_mov_b32 s1, 0
	s_cbranch_vccz .LBB155_28
; %bb.9:
	s_wait_kmcnt 0x0
	s_lshl_b64 s[2:3], s[34:35], 3
	v_mov_b32_e32 v11, 0
	s_add_nc_u64 s[2:3], s[4:5], s[2:3]
	s_mov_b32 s0, s20
	s_load_b128 s[36:39], s[2:3], 0x0
	s_mov_b32 s20, exec_lo
	v_sub_nc_u64_e64 v[2:3], v[10:11], s[0:1]
	s_wait_kmcnt 0x0
	s_delay_alu instid0(VALU_DEP_1)
	v_add_nc_u64_e32 v[16:17], s[36:37], v[2:3]
	s_sub_nc_u64 s[2:3], s[38:39], s[0:1]
	s_delay_alu instid0(VALU_DEP_1) | instid1(SALU_CYCLE_1)
	v_cmpx_gt_i64_e64 s[2:3], v[16:17]
	s_cbranch_execz .LBB155_27
; %bb.10:
	v_dual_mov_b32 v3, v11 :: v_dual_bitop2_b32 v2, 63, v0 bitop3:0x40
	s_mov_b32 s5, 0
	s_mov_b32 s4, s21
	;; [unrolled: 1-line block ×3, first 2 shown]
	s_delay_alu instid0(VALU_DEP_1)
	v_sub_nc_u64_e64 v[18:19], v[2:3], s[4:5]
	s_branch .LBB155_12
.LBB155_11:                             ;   in Loop: Header=BB155_12 Depth=1
	s_or_b32 exec_lo, exec_lo, s36
	v_add_nc_u64_e32 v[16:17], 16, v[16:17]
	s_delay_alu instid0(VALU_DEP_1) | instskip(SKIP_1) | instid1(SALU_CYCLE_1)
	v_cmp_le_i64_e32 vcc_lo, s[2:3], v[16:17]
	s_or_b32 s21, vcc_lo, s21
	s_and_not1_b32 exec_lo, exec_lo, s21
	s_cbranch_execz .LBB155_27
.LBB155_12:                             ; =>This Loop Header: Depth=1
                                        ;     Child Loop BB155_16 Depth 2
                                        ;       Child Loop BB155_19 Depth 3
	v_lshl_add_u64 v[2:3], v[16:17], 3, s[6:7]
	s_mov_b32 s36, exec_lo
	global_load_b64 v[2:3], v[2:3], off
	s_wait_loadcnt 0x0
	s_wait_xcnt 0x0
	v_sub_nc_u64_e64 v[2:3], v[2:3], s[0:1]
	s_delay_alu instid0(VALU_DEP_1)
	v_lshl_add_u64 v[2:3], v[2:3], 3, s[10:11]
	global_load_b128 v[2:5], v[2:3], off
	s_wait_loadcnt 0x0
	v_sub_nc_u64_e64 v[20:21], v[4:5], s[4:5]
	v_add_nc_u64_e32 v[22:23], v[2:3], v[18:19]
	s_wait_xcnt 0x0
	s_delay_alu instid0(VALU_DEP_1)
	v_cmpx_lt_i64_e64 v[22:23], v[20:21]
	s_cbranch_execz .LBB155_11
; %bb.13:                               ;   in Loop: Header=BB155_12 Depth=1
	v_lshl_add_u64 v[2:3], v[16:17], 4, s[8:9]
	s_mov_b32 s37, 0
	global_load_b128 v[2:5], v[2:3], off
	s_wait_loadcnt 0x0
	v_mul_f64_e64 v[24:25], v[4:5], -v[14:15]
	v_mul_f64_e32 v[26:27], v[12:13], v[4:5]
	s_delay_alu instid0(VALU_DEP_2) | instskip(NEXT) | instid1(VALU_DEP_2)
	v_fmac_f64_e32 v[24:25], v[12:13], v[2:3]
	v_fmac_f64_e32 v[26:27], v[14:15], v[2:3]
	s_branch .LBB155_16
.LBB155_14:                             ;   in Loop: Header=BB155_16 Depth=2
	s_or_b32 exec_lo, exec_lo, s39
.LBB155_15:                             ;   in Loop: Header=BB155_16 Depth=2
	s_delay_alu instid0(SALU_CYCLE_1) | instskip(SKIP_4) | instid1(VALU_DEP_3)
	s_or_b32 exec_lo, exec_lo, s38
	s_wait_loadcnt 0x0
	v_dual_mul_f64 v[30:31], v[4:5], -v[26:27] :: v_dual_lshlrev_b32 v1, 4, v28
	v_mul_f64_e32 v[4:5], v[24:25], v[4:5]
	v_add_nc_u64_e32 v[22:23], 64, v[22:23]
	v_add3_u32 v1, 0, v1, 0x20000
	s_delay_alu instid0(VALU_DEP_2)
	v_cmp_ge_i64_e32 vcc_lo, v[22:23], v[20:21]
	s_or_b32 s37, vcc_lo, s37
	v_fmac_f64_e32 v[30:31], v[24:25], v[2:3]
	v_fmac_f64_e32 v[4:5], v[26:27], v[2:3]
	ds_add_f64 v1, v[30:31]
	ds_add_f64 v1, v[4:5] offset:8
	s_and_not1_b32 exec_lo, exec_lo, s37
	s_cbranch_execz .LBB155_11
.LBB155_16:                             ;   Parent Loop BB155_12 Depth=1
                                        ; =>  This Loop Header: Depth=2
                                        ;       Child Loop BB155_19 Depth 3
	s_wait_xcnt 0x0
	v_lshl_add_u64 v[2:3], v[22:23], 3, s[24:25]
	s_mov_b32 s38, exec_lo
	global_load_b64 v[28:29], v[2:3], off
	s_wait_xcnt 0x0
	v_lshl_add_u64 v[2:3], v[22:23], 4, s[26:27]
	global_load_b128 v[2:5], v[2:3], off
	s_wait_loadcnt 0x1
	v_sub_nc_u64_e64 v[30:31], v[28:29], s[4:5]
	s_delay_alu instid0(VALU_DEP_1) | instskip(NEXT) | instid1(VALU_DEP_1)
	v_mul_lo_u32 v1, 0x89, v30
	v_and_b32_e32 v28, 0x3fff, v1
	s_delay_alu instid0(VALU_DEP_1)
	v_lshl_add_u32 v1, v28, 3, 0
	ds_load_b64 v[34:35], v1
	s_wait_dscnt 0x0
	s_wait_xcnt 0x0
	v_cmpx_ne_u64_e64 v[34:35], v[30:31]
	s_cbranch_execz .LBB155_15
; %bb.17:                               ;   in Loop: Header=BB155_16 Depth=2
	s_mov_b32 s39, 0
                                        ; implicit-def: $sgpr40
                                        ; implicit-def: $sgpr41
	s_branch .LBB155_19
.LBB155_18:                             ;   in Loop: Header=BB155_19 Depth=3
	s_or_b32 exec_lo, exec_lo, s44
	s_delay_alu instid0(SALU_CYCLE_1) | instskip(NEXT) | instid1(SALU_CYCLE_1)
	s_and_b32 s42, exec_lo, s43
	s_or_b32 s39, s42, s39
	s_and_not1_b32 s40, s40, exec_lo
	s_and_b32 s42, s41, exec_lo
	s_delay_alu instid0(SALU_CYCLE_1)
	s_or_b32 s40, s40, s42
	s_and_not1_b32 exec_lo, exec_lo, s39
	s_cbranch_execz .LBB155_25
.LBB155_19:                             ;   Parent Loop BB155_12 Depth=1
                                        ;     Parent Loop BB155_16 Depth=2
                                        ; =>    This Inner Loop Header: Depth=3
	v_mov_b64_e32 v[32:33], v[28:29]
	s_mov_b32 s42, 0
	s_mov_b32 s43, exec_lo
                                        ; implicit-def: $vgpr28_vgpr29
	v_cmpx_ne_u64_e64 s[30:31], v[34:35]
	s_xor_b32 s43, exec_lo, s43
; %bb.20:                               ;   in Loop: Header=BB155_19 Depth=3
	s_delay_alu instid0(VALU_DEP_2) | instskip(SKIP_1) | instid1(VALU_DEP_1)
	v_add_nc_u32_e32 v1, 1, v32
	s_mov_b32 s42, exec_lo
	v_and_b32_e32 v28, 0x3fff, v1
                                        ; implicit-def: $vgpr1
; %bb.21:                               ;   in Loop: Header=BB155_19 Depth=3
	s_and_not1_saveexec_b32 s43, s43
	s_cbranch_execz .LBB155_23
; %bb.22:                               ;   in Loop: Header=BB155_19 Depth=3
	v_mov_b64_e32 v[28:29], s[30:31]
	s_and_not1_b32 s42, s42, exec_lo
	ds_cmpstore_rtn_b64 v[28:29], v1, v[30:31], v[28:29]
	s_wait_dscnt 0x0
	v_cmp_ne_u64_e32 vcc_lo, s[30:31], v[28:29]
	v_mov_b64_e32 v[28:29], v[32:33]
	s_and_b32 s44, vcc_lo, exec_lo
	s_delay_alu instid0(SALU_CYCLE_1)
	s_or_b32 s42, s42, s44
.LBB155_23:                             ;   in Loop: Header=BB155_19 Depth=3
	s_or_b32 exec_lo, exec_lo, s43
	s_mov_b32 s43, -1
	s_or_b32 s41, s41, exec_lo
                                        ; implicit-def: $vgpr1
                                        ; implicit-def: $vgpr34_vgpr35
	s_and_saveexec_b32 s44, s42
	s_cbranch_execz .LBB155_18
; %bb.24:                               ;   in Loop: Header=BB155_19 Depth=3
	v_lshl_add_u32 v1, v28, 3, 0
	s_and_not1_b32 s41, s41, exec_lo
	ds_load_b64 v[34:35], v1
	s_wait_dscnt 0x0
	v_cmp_eq_u64_e32 vcc_lo, v[34:35], v[30:31]
	s_or_not1_b32 s43, vcc_lo, exec_lo
	s_branch .LBB155_18
.LBB155_25:                             ;   in Loop: Header=BB155_16 Depth=2
	s_or_b32 exec_lo, exec_lo, s39
	s_and_saveexec_b32 s39, s40
	s_delay_alu instid0(SALU_CYCLE_1)
	s_xor_b32 s39, exec_lo, s39
	s_cbranch_execz .LBB155_14
; %bb.26:                               ;   in Loop: Header=BB155_16 Depth=2
	v_mov_b32_e32 v28, v32
	s_branch .LBB155_14
.LBB155_27:
	s_or_b32 exec_lo, exec_lo, s20
.LBB155_28:
	s_delay_alu instid0(SALU_CYCLE_1)
	s_and_not1_b32 vcc_lo, exec_lo, s33
	s_cbranch_vccnz .LBB155_45
; %bb.29:
	s_wait_kmcnt 0x0
	s_lshl_b64 s[0:1], s[34:35], 3
	v_mov_b32_e32 v1, 0
	s_add_nc_u64 s[0:1], s[12:13], s[0:1]
	s_load_b128 s[4:7], s[0:1], 0x0
	s_wait_xcnt 0x0
	s_mov_b32 s1, 0
	s_mov_b32 s0, s23
	s_delay_alu instid0(SALU_CYCLE_1) | instskip(SKIP_1) | instid1(VALU_DEP_1)
	v_sub_nc_u64_e64 v[2:3], v[0:1], s[0:1]
	s_wait_kmcnt 0x0
	v_add_nc_u64_e32 v[12:13], s[4:5], v[2:3]
	s_sub_nc_u64 s[2:3], s[6:7], s[0:1]
	s_mov_b32 s4, exec_lo
	s_delay_alu instid0(VALU_DEP_1)
	v_cmpx_gt_i64_e64 s[2:3], v[12:13]
	s_cbranch_execz .LBB155_44
; %bb.30:
	s_mov_b32 s5, s1
	s_branch .LBB155_33
.LBB155_31:                             ;   in Loop: Header=BB155_33 Depth=1
	s_or_b32 exec_lo, exec_lo, s7
.LBB155_32:                             ;   in Loop: Header=BB155_33 Depth=1
	s_delay_alu instid0(SALU_CYCLE_1) | instskip(SKIP_4) | instid1(VALU_DEP_2)
	s_or_b32 exec_lo, exec_lo, s6
	s_wait_loadcnt 0x0
	v_mul_f64_e64 v[16:17], v[4:5], -v[6:7]
	v_dual_mul_f64 v[4:5], v[8:9], v[4:5] :: v_dual_lshlrev_b32 v1, 4, v14
	v_add_nc_u64_e32 v[12:13], 0x400, v[12:13]
	v_add3_u32 v1, 0, v1, 0x20000
	s_delay_alu instid0(VALU_DEP_2)
	v_cmp_le_i64_e32 vcc_lo, s[2:3], v[12:13]
	s_or_b32 s5, vcc_lo, s5
	v_fmac_f64_e32 v[16:17], v[8:9], v[2:3]
	v_fmac_f64_e32 v[4:5], v[6:7], v[2:3]
	ds_add_f64 v1, v[16:17]
	ds_add_f64 v1, v[4:5] offset:8
	s_and_not1_b32 exec_lo, exec_lo, s5
	s_cbranch_execz .LBB155_44
.LBB155_33:                             ; =>This Loop Header: Depth=1
                                        ;     Child Loop BB155_36 Depth 2
	v_lshl_add_u64 v[2:3], v[12:13], 3, s[14:15]
	s_mov_b32 s6, exec_lo
	global_load_b64 v[14:15], v[2:3], off
	s_wait_xcnt 0x0
	v_lshl_add_u64 v[2:3], v[12:13], 4, s[16:17]
	global_load_b128 v[2:5], v[2:3], off
	s_wait_loadcnt 0x1
	v_sub_nc_u64_e64 v[16:17], v[14:15], s[0:1]
	s_delay_alu instid0(VALU_DEP_1) | instskip(NEXT) | instid1(VALU_DEP_1)
	v_mul_lo_u32 v1, 0x89, v16
	v_and_b32_e32 v14, 0x3fff, v1
	s_delay_alu instid0(VALU_DEP_1)
	v_lshl_add_u32 v1, v14, 3, 0
	ds_load_b64 v[20:21], v1
	s_wait_dscnt 0x0
	s_wait_xcnt 0x0
	v_cmpx_ne_u64_e64 v[20:21], v[16:17]
	s_cbranch_execz .LBB155_32
; %bb.34:                               ;   in Loop: Header=BB155_33 Depth=1
	s_mov_b32 s7, 0
                                        ; implicit-def: $sgpr8
                                        ; implicit-def: $sgpr9
	s_branch .LBB155_36
.LBB155_35:                             ;   in Loop: Header=BB155_36 Depth=2
	s_or_b32 exec_lo, exec_lo, s12
	s_delay_alu instid0(SALU_CYCLE_1) | instskip(NEXT) | instid1(SALU_CYCLE_1)
	s_and_b32 s10, exec_lo, s11
	s_or_b32 s7, s10, s7
	s_and_not1_b32 s8, s8, exec_lo
	s_and_b32 s10, s9, exec_lo
	s_delay_alu instid0(SALU_CYCLE_1)
	s_or_b32 s8, s8, s10
	s_and_not1_b32 exec_lo, exec_lo, s7
	s_cbranch_execz .LBB155_42
.LBB155_36:                             ;   Parent Loop BB155_33 Depth=1
                                        ; =>  This Inner Loop Header: Depth=2
	v_mov_b64_e32 v[18:19], v[14:15]
	s_mov_b32 s10, 0
	s_mov_b32 s11, exec_lo
                                        ; implicit-def: $vgpr14_vgpr15
	v_cmpx_ne_u64_e64 s[30:31], v[20:21]
	s_xor_b32 s11, exec_lo, s11
; %bb.37:                               ;   in Loop: Header=BB155_36 Depth=2
	s_delay_alu instid0(VALU_DEP_2) | instskip(SKIP_1) | instid1(VALU_DEP_1)
	v_add_nc_u32_e32 v1, 1, v18
	s_mov_b32 s10, exec_lo
	v_and_b32_e32 v14, 0x3fff, v1
                                        ; implicit-def: $vgpr1
; %bb.38:                               ;   in Loop: Header=BB155_36 Depth=2
	s_and_not1_saveexec_b32 s11, s11
	s_cbranch_execz .LBB155_40
; %bb.39:                               ;   in Loop: Header=BB155_36 Depth=2
	v_mov_b64_e32 v[14:15], s[30:31]
	s_and_not1_b32 s10, s10, exec_lo
	ds_cmpstore_rtn_b64 v[14:15], v1, v[16:17], v[14:15]
	s_wait_dscnt 0x0
	v_cmp_ne_u64_e32 vcc_lo, s[30:31], v[14:15]
	v_mov_b64_e32 v[14:15], v[18:19]
	s_and_b32 s12, vcc_lo, exec_lo
	s_delay_alu instid0(SALU_CYCLE_1)
	s_or_b32 s10, s10, s12
.LBB155_40:                             ;   in Loop: Header=BB155_36 Depth=2
	s_or_b32 exec_lo, exec_lo, s11
	s_mov_b32 s11, -1
	s_or_b32 s9, s9, exec_lo
                                        ; implicit-def: $vgpr1
                                        ; implicit-def: $vgpr20_vgpr21
	s_and_saveexec_b32 s12, s10
	s_cbranch_execz .LBB155_35
; %bb.41:                               ;   in Loop: Header=BB155_36 Depth=2
	v_lshl_add_u32 v1, v14, 3, 0
	s_and_not1_b32 s9, s9, exec_lo
	ds_load_b64 v[20:21], v1
	s_wait_dscnt 0x0
	v_cmp_eq_u64_e32 vcc_lo, v[20:21], v[16:17]
	s_or_not1_b32 s11, vcc_lo, exec_lo
	s_branch .LBB155_35
.LBB155_42:                             ;   in Loop: Header=BB155_33 Depth=1
	s_or_b32 exec_lo, exec_lo, s7
	s_and_saveexec_b32 s7, s8
	s_delay_alu instid0(SALU_CYCLE_1)
	s_xor_b32 s7, exec_lo, s7
	s_cbranch_execz .LBB155_31
; %bb.43:                               ;   in Loop: Header=BB155_33 Depth=1
	v_mov_b32_e32 v14, v18
	s_branch .LBB155_31
.LBB155_44:
	s_or_b32 exec_lo, exec_lo, s4
.LBB155_45:
	v_dual_mov_b32 v5, 0 :: v_dual_bitop2_b32 v1, 31, v38 bitop3:0x14
	s_add_co_i32 s38, 0, 0x60078
	s_delay_alu instid0(SALU_CYCLE_1) | instskip(SKIP_1) | instid1(VALU_DEP_3)
	v_dual_mov_b32 v12, s38 :: v_dual_lshlrev_b32 v3, 3, v10
	v_mov_b64_e32 v[6:7], 0
	v_lshrrev_b32_e64 v2, v1, -1
	v_cmp_lt_u32_e64 s0, 63, v0
	s_delay_alu instid0(VALU_DEP_4)
	v_add3_u32 v1, 0x60000, 0, v3
	v_cmp_lt_u32_e64 s1, 0x7f, v0
	v_cmp_lt_u32_e64 s2, 0xbf, v0
	;; [unrolled: 1-line block ×14, first 2 shown]
	v_add3_u32 v3, v39, 0, 0x20000
	s_mov_b32 s16, 0
	s_add_co_i32 s17, 0, 0x60000
	s_add_co_i32 s20, 0, 0x60008
	;; [unrolled: 1-line block ×15, first 2 shown]
	s_wait_dscnt 0x0
	s_barrier_signal -1
	s_barrier_wait -1
	v_cmp_eq_u32_e32 vcc_lo, 0x3ff, v0
	s_branch .LBB155_47
.LBB155_46:                             ;   in Loop: Header=BB155_47 Depth=1
	s_or_b32 exec_lo, exec_lo, s15
	s_wait_dscnt 0x0
	s_barrier_signal -1
	s_barrier_wait -1
	ds_load_b64 v[8:9], v12
	v_add_nc_u32_e32 v36, 0x400, v36
	v_add_nc_u32_e32 v3, 0x4000, v3
	;; [unrolled: 1-line block ×3, first 2 shown]
	s_delay_alu instid0(VALU_DEP_3)
	v_cmp_lt_u32_e64 s15, 0x3bff, v36
	s_or_b32 s16, s15, s16
	s_wait_dscnt 0x0
	v_add_nc_u64_e32 v[6:7], v[8:9], v[6:7]
	s_and_not1_b32 exec_lo, exec_lo, s16
	s_cbranch_execz .LBB155_81
.LBB155_47:                             ; =>This Inner Loop Header: Depth=1
	ds_load_b64 v[8:9], v37
	ds_load_2addr_b64 v[14:17], v3 offset1:1
	s_wait_dscnt 0x1
	v_cmp_gt_i64_e64 s15, s[30:31], v[8:9]
	s_wait_dscnt 0x0
	scratch_store_b128 off, v[14:17], off
	s_wait_storecnt 0x0
	s_barrier_signal -1
	s_barrier_wait -1
	s_bcnt1_i32_b32 s43, s15
	s_delay_alu instid0(SALU_CYCLE_1) | instskip(NEXT) | instid1(VALU_DEP_1)
	v_dual_mov_b32 v4, s43 :: v_dual_bitop2_b32 v10, s15, v2 bitop3:0x40
	v_bcnt_u32_b32 v10, v10, 0
	ds_store_b64 v1, v[4:5]
	s_wait_dscnt 0x0
	s_barrier_signal -1
	s_barrier_wait -1
	s_wait_xcnt 0x0
	s_and_saveexec_b32 s43, s0
	s_cbranch_execnz .LBB155_64
; %bb.48:                               ;   in Loop: Header=BB155_47 Depth=1
	s_or_b32 exec_lo, exec_lo, s43
	s_and_saveexec_b32 s43, s1
	s_cbranch_execnz .LBB155_65
.LBB155_49:                             ;   in Loop: Header=BB155_47 Depth=1
	s_or_b32 exec_lo, exec_lo, s43
	s_and_saveexec_b32 s43, s2
	s_cbranch_execnz .LBB155_66
.LBB155_50:                             ;   in Loop: Header=BB155_47 Depth=1
	s_or_b32 exec_lo, exec_lo, s43
	s_and_saveexec_b32 s43, s3
	s_cbranch_execnz .LBB155_67
.LBB155_51:                             ;   in Loop: Header=BB155_47 Depth=1
	s_or_b32 exec_lo, exec_lo, s43
	s_and_saveexec_b32 s43, s4
	s_cbranch_execnz .LBB155_68
.LBB155_52:                             ;   in Loop: Header=BB155_47 Depth=1
	s_or_b32 exec_lo, exec_lo, s43
	s_and_saveexec_b32 s43, s5
	s_cbranch_execnz .LBB155_69
.LBB155_53:                             ;   in Loop: Header=BB155_47 Depth=1
	s_or_b32 exec_lo, exec_lo, s43
	s_and_saveexec_b32 s43, s6
	s_cbranch_execnz .LBB155_70
.LBB155_54:                             ;   in Loop: Header=BB155_47 Depth=1
	s_or_b32 exec_lo, exec_lo, s43
	s_and_saveexec_b32 s43, s7
	s_cbranch_execnz .LBB155_71
.LBB155_55:                             ;   in Loop: Header=BB155_47 Depth=1
	s_or_b32 exec_lo, exec_lo, s43
	s_and_saveexec_b32 s43, s8
	s_cbranch_execnz .LBB155_72
.LBB155_56:                             ;   in Loop: Header=BB155_47 Depth=1
	s_or_b32 exec_lo, exec_lo, s43
	s_and_saveexec_b32 s43, s9
	s_cbranch_execnz .LBB155_73
.LBB155_57:                             ;   in Loop: Header=BB155_47 Depth=1
	s_or_b32 exec_lo, exec_lo, s43
	s_and_saveexec_b32 s43, s10
	s_cbranch_execnz .LBB155_74
.LBB155_58:                             ;   in Loop: Header=BB155_47 Depth=1
	s_or_b32 exec_lo, exec_lo, s43
	s_and_saveexec_b32 s43, s11
	s_cbranch_execnz .LBB155_75
.LBB155_59:                             ;   in Loop: Header=BB155_47 Depth=1
	s_or_b32 exec_lo, exec_lo, s43
	s_and_saveexec_b32 s43, s12
	s_cbranch_execnz .LBB155_76
.LBB155_60:                             ;   in Loop: Header=BB155_47 Depth=1
	s_or_b32 exec_lo, exec_lo, s43
	s_and_saveexec_b32 s43, s13
	s_cbranch_execnz .LBB155_77
.LBB155_61:                             ;   in Loop: Header=BB155_47 Depth=1
	s_or_b32 exec_lo, exec_lo, s43
	s_and_saveexec_b32 s43, s14
	s_cbranch_execnz .LBB155_78
.LBB155_62:                             ;   in Loop: Header=BB155_47 Depth=1
	s_or_b32 exec_lo, exec_lo, s43
	v_ashrrev_i32_e32 v11, 31, v10
	s_and_saveexec_b32 s43, s15
	s_cbranch_execnz .LBB155_79
.LBB155_63:                             ;   in Loop: Header=BB155_47 Depth=1
	s_or_b32 exec_lo, exec_lo, s43
	s_and_saveexec_b32 s15, vcc_lo
	s_cbranch_execz .LBB155_46
	s_branch .LBB155_80
.LBB155_64:                             ;   in Loop: Header=BB155_47 Depth=1
	v_mov_b32_e32 v4, s17
	ds_load_b32 v4, v4
	s_wait_dscnt 0x0
	v_add_nc_u32_e32 v10, v4, v10
	s_or_b32 exec_lo, exec_lo, s43
	s_and_saveexec_b32 s43, s1
	s_cbranch_execz .LBB155_49
.LBB155_65:                             ;   in Loop: Header=BB155_47 Depth=1
	v_mov_b32_e32 v4, s20
	ds_load_b32 v4, v4
	s_wait_dscnt 0x0
	v_add_nc_u32_e32 v10, v10, v4
	s_or_b32 exec_lo, exec_lo, s43
	s_and_saveexec_b32 s43, s2
	s_cbranch_execz .LBB155_50
.LBB155_66:                             ;   in Loop: Header=BB155_47 Depth=1
	v_mov_b32_e32 v4, s21
	ds_load_b32 v4, v4
	s_wait_dscnt 0x0
	v_add_nc_u32_e32 v10, v10, v4
	s_or_b32 exec_lo, exec_lo, s43
	s_and_saveexec_b32 s43, s3
	s_cbranch_execz .LBB155_51
.LBB155_67:                             ;   in Loop: Header=BB155_47 Depth=1
	v_mov_b32_e32 v4, s23
	ds_load_b32 v4, v4
	s_wait_dscnt 0x0
	v_add_nc_u32_e32 v10, v10, v4
	s_or_b32 exec_lo, exec_lo, s43
	s_and_saveexec_b32 s43, s4
	s_cbranch_execz .LBB155_52
.LBB155_68:                             ;   in Loop: Header=BB155_47 Depth=1
	v_mov_b32_e32 v4, s24
	ds_load_b32 v4, v4
	s_wait_dscnt 0x0
	v_add_nc_u32_e32 v10, v10, v4
	s_or_b32 exec_lo, exec_lo, s43
	s_and_saveexec_b32 s43, s5
	s_cbranch_execz .LBB155_53
.LBB155_69:                             ;   in Loop: Header=BB155_47 Depth=1
	v_mov_b32_e32 v4, s25
	ds_load_b32 v4, v4
	s_wait_dscnt 0x0
	v_add_nc_u32_e32 v10, v10, v4
	s_or_b32 exec_lo, exec_lo, s43
	s_and_saveexec_b32 s43, s6
	s_cbranch_execz .LBB155_54
.LBB155_70:                             ;   in Loop: Header=BB155_47 Depth=1
	v_mov_b32_e32 v4, s26
	ds_load_b32 v4, v4
	s_wait_dscnt 0x0
	v_add_nc_u32_e32 v10, v10, v4
	s_or_b32 exec_lo, exec_lo, s43
	s_and_saveexec_b32 s43, s7
	s_cbranch_execz .LBB155_55
.LBB155_71:                             ;   in Loop: Header=BB155_47 Depth=1
	v_mov_b32_e32 v4, s27
	ds_load_b32 v4, v4
	s_wait_dscnt 0x0
	v_add_nc_u32_e32 v10, v10, v4
	s_or_b32 exec_lo, exec_lo, s43
	s_and_saveexec_b32 s43, s8
	s_cbranch_execz .LBB155_56
.LBB155_72:                             ;   in Loop: Header=BB155_47 Depth=1
	v_mov_b32_e32 v4, s33
	ds_load_b32 v4, v4
	s_wait_dscnt 0x0
	v_add_nc_u32_e32 v10, v10, v4
	s_or_b32 exec_lo, exec_lo, s43
	s_and_saveexec_b32 s43, s9
	s_cbranch_execz .LBB155_57
.LBB155_73:                             ;   in Loop: Header=BB155_47 Depth=1
	v_mov_b32_e32 v4, s36
	ds_load_b32 v4, v4
	s_wait_dscnt 0x0
	v_add_nc_u32_e32 v10, v10, v4
	s_or_b32 exec_lo, exec_lo, s43
	s_and_saveexec_b32 s43, s10
	s_cbranch_execz .LBB155_58
.LBB155_74:                             ;   in Loop: Header=BB155_47 Depth=1
	v_mov_b32_e32 v4, s37
	ds_load_b32 v4, v4
	s_wait_dscnt 0x0
	v_add_nc_u32_e32 v10, v10, v4
	s_or_b32 exec_lo, exec_lo, s43
	s_and_saveexec_b32 s43, s11
	s_cbranch_execz .LBB155_59
.LBB155_75:                             ;   in Loop: Header=BB155_47 Depth=1
	v_mov_b32_e32 v4, s39
	ds_load_b32 v4, v4
	s_wait_dscnt 0x0
	v_add_nc_u32_e32 v10, v10, v4
	s_or_b32 exec_lo, exec_lo, s43
	s_and_saveexec_b32 s43, s12
	s_cbranch_execz .LBB155_60
.LBB155_76:                             ;   in Loop: Header=BB155_47 Depth=1
	v_mov_b32_e32 v4, s40
	ds_load_b32 v4, v4
	s_wait_dscnt 0x0
	v_add_nc_u32_e32 v10, v10, v4
	s_or_b32 exec_lo, exec_lo, s43
	s_and_saveexec_b32 s43, s13
	s_cbranch_execz .LBB155_61
.LBB155_77:                             ;   in Loop: Header=BB155_47 Depth=1
	v_mov_b32_e32 v4, s41
	ds_load_b32 v4, v4
	s_wait_dscnt 0x0
	v_add_nc_u32_e32 v10, v10, v4
	s_or_b32 exec_lo, exec_lo, s43
	s_and_saveexec_b32 s43, s14
	s_cbranch_execz .LBB155_62
.LBB155_78:                             ;   in Loop: Header=BB155_47 Depth=1
	v_mov_b32_e32 v4, s42
	ds_load_b32 v4, v4
	s_wait_dscnt 0x0
	v_add_nc_u32_e32 v10, v10, v4
	s_or_b32 exec_lo, exec_lo, s43
	s_delay_alu instid0(VALU_DEP_1)
	v_ashrrev_i32_e32 v11, 31, v10
	s_and_saveexec_b32 s43, s15
	s_cbranch_execz .LBB155_63
.LBB155_79:                             ;   in Loop: Header=BB155_47 Depth=1
	scratch_load_b128 v[14:17], off, off
	v_add3_u32 v4, v6, -1, v10
	s_delay_alu instid0(VALU_DEP_1) | instskip(SKIP_1) | instid1(VALU_DEP_2)
	v_lshlrev_b32_e32 v13, 4, v4
	v_lshl_add_u32 v4, v4, 3, 0
	v_add3_u32 v13, 0, v13, 0x20000
	ds_store_b64 v4, v[8:9]
	s_wait_loadcnt 0x0
	ds_store_2addr_b64 v13, v[14:15], v[16:17] offset1:1
	s_or_b32 exec_lo, exec_lo, s43
	s_and_saveexec_b32 s15, vcc_lo
	s_cbranch_execz .LBB155_46
.LBB155_80:                             ;   in Loop: Header=BB155_47 Depth=1
	v_mov_b32_e32 v4, s38
	ds_store_b64 v4, v[10:11]
	s_branch .LBB155_46
.LBB155_81:
	s_or_b32 exec_lo, exec_lo, s16
	s_wait_kmcnt 0x0
	s_lshl_b64 s[0:1], s[34:35], 3
	v_mov_b32_e32 v1, 0
	s_add_nc_u64 s[4:5], s[18:19], s[0:1]
	s_mov_b32 s6, exec_lo
	s_load_b128 s[0:3], s[4:5], 0x0
	s_wait_kmcnt 0x0
	s_sub_nc_u64 s[4:5], s[2:3], s[0:1]
	s_delay_alu instid0(SALU_CYCLE_1)
	v_cmpx_gt_i64_e64 s[4:5], v[0:1]
	s_cbranch_execz .LBB155_91
; %bb.82:
	s_sub_nc_u64 s[8:9], s[0:1], s[2:3]
	s_and_b64 s[6:7], s[4:5], 7
	v_cmp_lt_u64_e64 s10, s[8:9], -7
	s_and_b64 s[2:3], s[4:5], -8
	s_mov_b32 s23, 0
	s_cmp_lg_u64 s[6:7], 0
	s_sub_nc_u64 s[0:1], s[0:1], s[22:23]
	s_cselect_b32 s11, -1, 0
	s_mov_b32 s12, 0
	s_branch .LBB155_84
.LBB155_83:                             ;   in Loop: Header=BB155_84 Depth=1
	s_wait_dscnt 0x0
	v_lshlrev_b32_e32 v2, 4, v0
	v_add_nc_u64_e32 v[0:1], 0x400, v[0:1]
	s_delay_alu instid0(VALU_DEP_2) | instskip(NEXT) | instid1(VALU_DEP_2)
	v_add3_u32 v2, 0, v2, 0x20000
	v_cmp_le_i64_e32 vcc_lo, s[4:5], v[0:1]
	ds_load_2addr_b64 v[6:9], v2 offset1:1
	v_lshl_add_u64 v[2:3], v[4:5], 4, s[28:29]
	s_or_b32 s12, vcc_lo, s12
	s_wait_dscnt 0x0
	global_store_b128 v[2:3], v[6:9], off
	s_wait_xcnt 0x0
	s_and_not1_b32 exec_lo, exec_lo, s12
	s_cbranch_execz .LBB155_91
.LBB155_84:                             ; =>This Loop Header: Depth=1
                                        ;     Child Loop BB155_86 Depth 2
                                        ;     Child Loop BB155_90 Depth 2
	v_lshl_add_u32 v2, v0, 3, 0
	v_mov_b64_e32 v[4:5], s[0:1]
	s_and_not1_b32 vcc_lo, exec_lo, s10
	s_mov_b64 s[8:9], 0
	ds_load_b64 v[2:3], v2
	s_cbranch_vccnz .LBB155_88
; %bb.85:                               ;   in Loop: Header=BB155_84 Depth=1
	v_mov_b64_e32 v[4:5], s[0:1]
	s_mov_b32 s13, 0
.LBB155_86:                             ;   Parent Loop BB155_84 Depth=1
                                        ; =>  This Inner Loop Header: Depth=2
	s_delay_alu instid0(SALU_CYCLE_1)
	v_dual_mov_b32 v18, s13 :: v_dual_mov_b32 v15, s23
	v_mov_b32_e32 v17, s23
	s_add_nc_u64 s[8:9], s[8:9], 8
	s_add_co_i32 s13, s13, 64
	ds_load_2addr_b64 v[6:9], v18 offset1:1
	ds_load_2addr_b64 v[10:13], v18 offset0:2 offset1:3
	s_cmp_eq_u64 s[2:3], s[8:9]
	s_wait_dscnt 0x1
	v_cmp_gt_i64_e32 vcc_lo, v[2:3], v[6:7]
	v_cndmask_b32_e64 v14, 0, 1, vcc_lo
	v_cmp_gt_i64_e32 vcc_lo, v[2:3], v[8:9]
	s_delay_alu instid0(VALU_DEP_2) | instskip(SKIP_4) | instid1(VALU_DEP_2)
	v_add_nc_u64_e32 v[8:9], v[4:5], v[14:15]
	ds_load_2addr_b64 v[4:7], v18 offset0:4 offset1:5
	v_cndmask_b32_e64 v16, 0, 1, vcc_lo
	s_wait_dscnt 0x1
	v_cmp_gt_i64_e32 vcc_lo, v[2:3], v[10:11]
	v_add_nc_u64_e32 v[8:9], v[8:9], v[16:17]
	v_cndmask_b32_e64 v14, 0, 1, vcc_lo
	v_cmp_gt_i64_e32 vcc_lo, v[2:3], v[12:13]
	s_delay_alu instid0(VALU_DEP_2)
	v_add_nc_u64_e32 v[12:13], v[8:9], v[14:15]
	ds_load_2addr_b64 v[8:11], v18 offset0:6 offset1:7
	v_cndmask_b32_e64 v16, 0, 1, vcc_lo
	s_wait_dscnt 0x1
	v_cmp_gt_i64_e32 vcc_lo, v[2:3], v[4:5]
	v_mov_b32_e32 v5, s23
	s_delay_alu instid0(VALU_DEP_3) | instskip(SKIP_3) | instid1(VALU_DEP_3)
	v_add_nc_u64_e32 v[12:13], v[12:13], v[16:17]
	v_cndmask_b32_e64 v14, 0, 1, vcc_lo
	v_cmp_gt_i64_e32 vcc_lo, v[2:3], v[6:7]
	v_mov_b32_e32 v7, s23
	v_add_nc_u64_e32 v[12:13], v[12:13], v[14:15]
	v_cndmask_b32_e64 v4, 0, 1, vcc_lo
	s_wait_dscnt 0x0
	v_cmp_gt_i64_e32 vcc_lo, v[2:3], v[8:9]
	v_mov_b32_e32 v9, s23
	s_delay_alu instid0(VALU_DEP_3) | instskip(SKIP_2) | instid1(VALU_DEP_2)
	v_add_nc_u64_e32 v[4:5], v[12:13], v[4:5]
	v_cndmask_b32_e64 v6, 0, 1, vcc_lo
	v_cmp_gt_i64_e32 vcc_lo, v[2:3], v[10:11]
	v_add_nc_u64_e32 v[4:5], v[4:5], v[6:7]
	v_cndmask_b32_e64 v8, 0, 1, vcc_lo
	s_delay_alu instid0(VALU_DEP_1)
	v_add_nc_u64_e32 v[4:5], v[4:5], v[8:9]
	s_cbranch_scc0 .LBB155_86
; %bb.87:                               ;   in Loop: Header=BB155_84 Depth=1
	s_mov_b64 s[8:9], s[2:3]
.LBB155_88:                             ;   in Loop: Header=BB155_84 Depth=1
	s_and_not1_b32 vcc_lo, exec_lo, s11
	s_cbranch_vccnz .LBB155_83
; %bb.89:                               ;   in Loop: Header=BB155_84 Depth=1
	s_lshl_b32 s8, s8, 3
	s_delay_alu instid0(SALU_CYCLE_1)
	s_add_co_i32 s13, s8, 0
	s_mov_b64 s[8:9], s[6:7]
.LBB155_90:                             ;   Parent Loop BB155_84 Depth=1
                                        ; =>  This Inner Loop Header: Depth=2
	v_dual_mov_b32 v6, s13 :: v_dual_mov_b32 v9, s23
	s_add_nc_u64 s[8:9], s[8:9], -1
	s_add_co_i32 s13, s13, 8
	s_cmp_lg_u64 s[8:9], 0
	ds_load_b64 v[6:7], v6
	s_wait_dscnt 0x0
	v_cmp_gt_i64_e32 vcc_lo, v[2:3], v[6:7]
	v_cndmask_b32_e64 v8, 0, 1, vcc_lo
	s_delay_alu instid0(VALU_DEP_1)
	v_add_nc_u64_e32 v[4:5], v[4:5], v[8:9]
	s_cbranch_scc1 .LBB155_90
	s_branch .LBB155_83
.LBB155_91:
	s_endpgm
	.section	.rodata,"a",@progbits
	.p2align	6, 0x0
	.amdhsa_kernel _ZN9rocsparseL41csrgemm_numeric_fill_block_per_row_kernelILj1024ELj64ELj16384ELj137ELj64Ell21rocsparse_complex_numIdEEEvT5_PKS3_S5_NS_24const_host_device_scalarIT6_EEPKT4_S5_PKS7_SB_S5_SD_S8_SB_S5_SD_SB_S5_PS7_21rocsparse_index_base_SF_SF_SF_bbb
		.amdhsa_group_segment_fixed_size 0
		.amdhsa_private_segment_fixed_size 40
		.amdhsa_kernarg_size 172
		.amdhsa_user_sgpr_count 2
		.amdhsa_user_sgpr_dispatch_ptr 0
		.amdhsa_user_sgpr_queue_ptr 0
		.amdhsa_user_sgpr_kernarg_segment_ptr 1
		.amdhsa_user_sgpr_dispatch_id 0
		.amdhsa_user_sgpr_kernarg_preload_length 0
		.amdhsa_user_sgpr_kernarg_preload_offset 0
		.amdhsa_user_sgpr_private_segment_size 0
		.amdhsa_wavefront_size32 1
		.amdhsa_uses_dynamic_stack 0
		.amdhsa_enable_private_segment 1
		.amdhsa_system_sgpr_workgroup_id_x 1
		.amdhsa_system_sgpr_workgroup_id_y 0
		.amdhsa_system_sgpr_workgroup_id_z 0
		.amdhsa_system_sgpr_workgroup_info 0
		.amdhsa_system_vgpr_workitem_id 0
		.amdhsa_next_free_vgpr 40
		.amdhsa_next_free_sgpr 45
		.amdhsa_named_barrier_count 0
		.amdhsa_reserve_vcc 1
		.amdhsa_float_round_mode_32 0
		.amdhsa_float_round_mode_16_64 0
		.amdhsa_float_denorm_mode_32 3
		.amdhsa_float_denorm_mode_16_64 3
		.amdhsa_fp16_overflow 0
		.amdhsa_memory_ordered 1
		.amdhsa_forward_progress 1
		.amdhsa_inst_pref_size 31
		.amdhsa_round_robin_scheduling 0
		.amdhsa_exception_fp_ieee_invalid_op 0
		.amdhsa_exception_fp_denorm_src 0
		.amdhsa_exception_fp_ieee_div_zero 0
		.amdhsa_exception_fp_ieee_overflow 0
		.amdhsa_exception_fp_ieee_underflow 0
		.amdhsa_exception_fp_ieee_inexact 0
		.amdhsa_exception_int_div_zero 0
	.end_amdhsa_kernel
	.section	.text._ZN9rocsparseL41csrgemm_numeric_fill_block_per_row_kernelILj1024ELj64ELj16384ELj137ELj64Ell21rocsparse_complex_numIdEEEvT5_PKS3_S5_NS_24const_host_device_scalarIT6_EEPKT4_S5_PKS7_SB_S5_SD_S8_SB_S5_SD_SB_S5_PS7_21rocsparse_index_base_SF_SF_SF_bbb,"axG",@progbits,_ZN9rocsparseL41csrgemm_numeric_fill_block_per_row_kernelILj1024ELj64ELj16384ELj137ELj64Ell21rocsparse_complex_numIdEEEvT5_PKS3_S5_NS_24const_host_device_scalarIT6_EEPKT4_S5_PKS7_SB_S5_SD_S8_SB_S5_SD_SB_S5_PS7_21rocsparse_index_base_SF_SF_SF_bbb,comdat
.Lfunc_end155:
	.size	_ZN9rocsparseL41csrgemm_numeric_fill_block_per_row_kernelILj1024ELj64ELj16384ELj137ELj64Ell21rocsparse_complex_numIdEEEvT5_PKS3_S5_NS_24const_host_device_scalarIT6_EEPKT4_S5_PKS7_SB_S5_SD_S8_SB_S5_SD_SB_S5_PS7_21rocsparse_index_base_SF_SF_SF_bbb, .Lfunc_end155-_ZN9rocsparseL41csrgemm_numeric_fill_block_per_row_kernelILj1024ELj64ELj16384ELj137ELj64Ell21rocsparse_complex_numIdEEEvT5_PKS3_S5_NS_24const_host_device_scalarIT6_EEPKT4_S5_PKS7_SB_S5_SD_S8_SB_S5_SD_SB_S5_PS7_21rocsparse_index_base_SF_SF_SF_bbb
                                        ; -- End function
	.set _ZN9rocsparseL41csrgemm_numeric_fill_block_per_row_kernelILj1024ELj64ELj16384ELj137ELj64Ell21rocsparse_complex_numIdEEEvT5_PKS3_S5_NS_24const_host_device_scalarIT6_EEPKT4_S5_PKS7_SB_S5_SD_S8_SB_S5_SD_SB_S5_PS7_21rocsparse_index_base_SF_SF_SF_bbb.num_vgpr, 40
	.set _ZN9rocsparseL41csrgemm_numeric_fill_block_per_row_kernelILj1024ELj64ELj16384ELj137ELj64Ell21rocsparse_complex_numIdEEEvT5_PKS3_S5_NS_24const_host_device_scalarIT6_EEPKT4_S5_PKS7_SB_S5_SD_S8_SB_S5_SD_SB_S5_PS7_21rocsparse_index_base_SF_SF_SF_bbb.num_agpr, 0
	.set _ZN9rocsparseL41csrgemm_numeric_fill_block_per_row_kernelILj1024ELj64ELj16384ELj137ELj64Ell21rocsparse_complex_numIdEEEvT5_PKS3_S5_NS_24const_host_device_scalarIT6_EEPKT4_S5_PKS7_SB_S5_SD_S8_SB_S5_SD_SB_S5_PS7_21rocsparse_index_base_SF_SF_SF_bbb.numbered_sgpr, 45
	.set _ZN9rocsparseL41csrgemm_numeric_fill_block_per_row_kernelILj1024ELj64ELj16384ELj137ELj64Ell21rocsparse_complex_numIdEEEvT5_PKS3_S5_NS_24const_host_device_scalarIT6_EEPKT4_S5_PKS7_SB_S5_SD_S8_SB_S5_SD_SB_S5_PS7_21rocsparse_index_base_SF_SF_SF_bbb.num_named_barrier, 0
	.set _ZN9rocsparseL41csrgemm_numeric_fill_block_per_row_kernelILj1024ELj64ELj16384ELj137ELj64Ell21rocsparse_complex_numIdEEEvT5_PKS3_S5_NS_24const_host_device_scalarIT6_EEPKT4_S5_PKS7_SB_S5_SD_S8_SB_S5_SD_SB_S5_PS7_21rocsparse_index_base_SF_SF_SF_bbb.private_seg_size, 40
	.set _ZN9rocsparseL41csrgemm_numeric_fill_block_per_row_kernelILj1024ELj64ELj16384ELj137ELj64Ell21rocsparse_complex_numIdEEEvT5_PKS3_S5_NS_24const_host_device_scalarIT6_EEPKT4_S5_PKS7_SB_S5_SD_S8_SB_S5_SD_SB_S5_PS7_21rocsparse_index_base_SF_SF_SF_bbb.uses_vcc, 1
	.set _ZN9rocsparseL41csrgemm_numeric_fill_block_per_row_kernelILj1024ELj64ELj16384ELj137ELj64Ell21rocsparse_complex_numIdEEEvT5_PKS3_S5_NS_24const_host_device_scalarIT6_EEPKT4_S5_PKS7_SB_S5_SD_S8_SB_S5_SD_SB_S5_PS7_21rocsparse_index_base_SF_SF_SF_bbb.uses_flat_scratch, 1
	.set _ZN9rocsparseL41csrgemm_numeric_fill_block_per_row_kernelILj1024ELj64ELj16384ELj137ELj64Ell21rocsparse_complex_numIdEEEvT5_PKS3_S5_NS_24const_host_device_scalarIT6_EEPKT4_S5_PKS7_SB_S5_SD_S8_SB_S5_SD_SB_S5_PS7_21rocsparse_index_base_SF_SF_SF_bbb.has_dyn_sized_stack, 0
	.set _ZN9rocsparseL41csrgemm_numeric_fill_block_per_row_kernelILj1024ELj64ELj16384ELj137ELj64Ell21rocsparse_complex_numIdEEEvT5_PKS3_S5_NS_24const_host_device_scalarIT6_EEPKT4_S5_PKS7_SB_S5_SD_S8_SB_S5_SD_SB_S5_PS7_21rocsparse_index_base_SF_SF_SF_bbb.has_recursion, 0
	.set _ZN9rocsparseL41csrgemm_numeric_fill_block_per_row_kernelILj1024ELj64ELj16384ELj137ELj64Ell21rocsparse_complex_numIdEEEvT5_PKS3_S5_NS_24const_host_device_scalarIT6_EEPKT4_S5_PKS7_SB_S5_SD_S8_SB_S5_SD_SB_S5_PS7_21rocsparse_index_base_SF_SF_SF_bbb.has_indirect_call, 0
	.section	.AMDGPU.csdata,"",@progbits
; Kernel info:
; codeLenInByte = 3876
; TotalNumSgprs: 47
; NumVgprs: 40
; ScratchSize: 40
; MemoryBound: 0
; FloatMode: 240
; IeeeMode: 1
; LDSByteSize: 0 bytes/workgroup (compile time only)
; SGPRBlocks: 0
; VGPRBlocks: 2
; NumSGPRsForWavesPerEU: 47
; NumVGPRsForWavesPerEU: 40
; NamedBarCnt: 0
; Occupancy: 16
; WaveLimiterHint : 1
; COMPUTE_PGM_RSRC2:SCRATCH_EN: 1
; COMPUTE_PGM_RSRC2:USER_SGPR: 2
; COMPUTE_PGM_RSRC2:TRAP_HANDLER: 0
; COMPUTE_PGM_RSRC2:TGID_X_EN: 1
; COMPUTE_PGM_RSRC2:TGID_Y_EN: 0
; COMPUTE_PGM_RSRC2:TGID_Z_EN: 0
; COMPUTE_PGM_RSRC2:TIDIG_COMP_CNT: 0
	.section	.text._ZN9rocsparseL41csrgemm_numeric_fill_block_per_row_kernelILj1024ELj64ELj32768ELj137ELj32Ell21rocsparse_complex_numIdEEEvT5_PKS3_S5_NS_24const_host_device_scalarIT6_EEPKT4_S5_PKS7_SB_S5_SD_S8_SB_S5_SD_SB_S5_PS7_21rocsparse_index_base_SF_SF_SF_bbb,"axG",@progbits,_ZN9rocsparseL41csrgemm_numeric_fill_block_per_row_kernelILj1024ELj64ELj32768ELj137ELj32Ell21rocsparse_complex_numIdEEEvT5_PKS3_S5_NS_24const_host_device_scalarIT6_EEPKT4_S5_PKS7_SB_S5_SD_S8_SB_S5_SD_SB_S5_PS7_21rocsparse_index_base_SF_SF_SF_bbb,comdat
	.globl	_ZN9rocsparseL41csrgemm_numeric_fill_block_per_row_kernelILj1024ELj64ELj32768ELj137ELj32Ell21rocsparse_complex_numIdEEEvT5_PKS3_S5_NS_24const_host_device_scalarIT6_EEPKT4_S5_PKS7_SB_S5_SD_S8_SB_S5_SD_SB_S5_PS7_21rocsparse_index_base_SF_SF_SF_bbb ; -- Begin function _ZN9rocsparseL41csrgemm_numeric_fill_block_per_row_kernelILj1024ELj64ELj32768ELj137ELj32Ell21rocsparse_complex_numIdEEEvT5_PKS3_S5_NS_24const_host_device_scalarIT6_EEPKT4_S5_PKS7_SB_S5_SD_S8_SB_S5_SD_SB_S5_PS7_21rocsparse_index_base_SF_SF_SF_bbb
	.p2align	8
	.type	_ZN9rocsparseL41csrgemm_numeric_fill_block_per_row_kernelILj1024ELj64ELj32768ELj137ELj32Ell21rocsparse_complex_numIdEEEvT5_PKS3_S5_NS_24const_host_device_scalarIT6_EEPKT4_S5_PKS7_SB_S5_SD_S8_SB_S5_SD_SB_S5_PS7_21rocsparse_index_base_SF_SF_SF_bbb,@function
_ZN9rocsparseL41csrgemm_numeric_fill_block_per_row_kernelILj1024ELj64ELj32768ELj137ELj32Ell21rocsparse_complex_numIdEEEvT5_PKS3_S5_NS_24const_host_device_scalarIT6_EEPKT4_S5_PKS7_SB_S5_SD_S8_SB_S5_SD_SB_S5_PS7_21rocsparse_index_base_SF_SF_SF_bbb: ; @_ZN9rocsparseL41csrgemm_numeric_fill_block_per_row_kernelILj1024ELj64ELj32768ELj137ELj32Ell21rocsparse_complex_numIdEEEvT5_PKS3_S5_NS_24const_host_device_scalarIT6_EEPKT4_S5_PKS7_SB_S5_SD_S8_SB_S5_SD_SB_S5_PS7_21rocsparse_index_base_SF_SF_SF_bbb
; %bb.0:
	s_clause 0x3
	s_load_b32 s3, s[0:1], 0xa8
	s_load_b128 s[8:11], s[0:1], 0x18
	s_load_b128 s[4:7], s[0:1], 0x58
	;; [unrolled: 1-line block ×3, first 2 shown]
	v_mov_b64_e32 v[6:7], 0
	v_mov_b64_e32 v[10:11], 0
	;; [unrolled: 1-line block ×3, first 2 shown]
	v_mbcnt_lo_u32_b32 v36, -1, 0
	s_wait_kmcnt 0x0
	s_bitcmp1_b32 s3, 0
	v_mov_b64_e32 v[2:3], s[8:9]
	s_cselect_b32 s19, -1, 0
	s_bitcmp1_b32 s3, 16
	v_mov_b64_e32 v[4:5], s[4:5]
	s_cselect_b32 s2, -1, 0
	s_clause 0x1
	scratch_store_b64 off, v[2:3], off offset:16
	scratch_store_b64 off, v[4:5], off offset:24
	s_xor_b32 s12, s2, -1
	s_bitcmp0_b32 s3, 0
	v_cndmask_b32_e64 v1, 0, 1, s12
	s_delay_alu instid0(VALU_DEP_1)
	v_cmp_ne_u32_e32 vcc_lo, 1, v1
	s_cbranch_scc1 .LBB156_3
; %bb.1:
	s_wait_xcnt 0x1
	v_dual_mov_b32 v2, 16 :: v_dual_lshlrev_b32 v3, 20, v36
	v_mov_b64_e32 v[12:13], s[10:11]
	s_and_b32 vcc_lo, exec_lo, vcc_lo
	s_delay_alu instid0(VALU_DEP_2) | instskip(NEXT) | instid1(VALU_DEP_1)
	v_add_nc_u64_e32 v[2:3], src_flat_scratch_base_lo, v[2:3]
	v_cndmask_b32_e64 v3, s9, v3, s2
	s_delay_alu instid0(VALU_DEP_2)
	v_cndmask_b32_e64 v2, s8, v2, s2
	flat_load_b64 v[10:11], v[2:3]
	s_cbranch_vccnz .LBB156_3
; %bb.2:
	v_mov_b32_e32 v1, 0
	flat_load_b64 v[12:13], v1, s[8:9] offset:8
.LBB156_3:
	s_load_b64 s[16:17], s[0:1], 0x8
	v_mov_b64_e32 v[8:9], 0
	s_bitcmp1_b32 s3, 8
	s_cselect_b32 s18, -1, 0
	s_bfe_u32 s3, s3, 0x10008
	s_delay_alu instid0(SALU_CYCLE_1)
	s_cmp_eq_u32 s3, 0
	s_cbranch_scc1 .LBB156_6
; %bb.4:
	v_dual_mov_b32 v2, 24 :: v_dual_lshlrev_b32 v3, 20, v36
	v_mov_b64_e32 v[6:7], s[6:7]
	s_and_not1_b32 vcc_lo, exec_lo, s12
	s_delay_alu instid0(VALU_DEP_2) | instskip(NEXT) | instid1(VALU_DEP_1)
	v_add_nc_u64_e32 v[2:3], src_flat_scratch_base_lo, v[2:3]
	v_cndmask_b32_e64 v3, s5, v3, s2
	s_delay_alu instid0(VALU_DEP_2)
	v_cndmask_b32_e64 v2, s4, v2, s2
	flat_load_b64 v[8:9], v[2:3]
	s_cbranch_vccnz .LBB156_6
; %bb.5:
	v_mov_b32_e32 v1, 0
	flat_load_b64 v[6:7], v1, s[4:5] offset:8
.LBB156_6:
	s_clause 0x5
	s_load_b64 s[48:49], s[0:1], 0x0
	s_load_b64 s[2:3], s[0:1], 0x10
	;; [unrolled: 1-line block ×3, first 2 shown]
	s_load_b256 s[36:43], s[0:1], 0x68
	s_load_b128 s[12:15], s[0:1], 0x48
	s_load_b256 s[4:11], s[0:1], 0x28
	s_wait_xcnt 0x0
	s_mov_b32 s0, 0
	v_or_b32_e32 v34, 0xfffffc00, v0
	v_lshl_add_u32 v35, v0, 3, 0
	v_lshlrev_b32_e32 v37, 4, v0
	s_mov_b32 s1, s0
	s_mov_b32 s20, s0
	;; [unrolled: 1-line block ×3, first 2 shown]
	v_mov_b64_e32 v[2:3], s[0:1]
	v_mov_b64_e32 v[4:5], s[20:21]
	v_mov_b32_e32 v16, v35
	v_add3_u32 v1, v37, 0, 0x40008
	v_mov_b32_e32 v17, v34
	s_wait_kmcnt 0x0
	v_mov_b64_e32 v[14:15], s[48:49]
.LBB156_7:                              ; =>This Inner Loop Header: Depth=1
	s_delay_alu instid0(VALU_DEP_2)
	v_add_nc_u32_e32 v17, 0x400, v17
	ds_store_b64 v16, v[14:15]
	v_add_nc_u32_e32 v18, -8, v1
	v_add_nc_u32_e32 v1, 0x4000, v1
	v_add_nc_u32_e32 v16, 0x2000, v16
	v_cmp_lt_u32_e32 vcc_lo, 0x7bff, v17
	ds_store_2addr_b64 v18, v[2:3], v[4:5] offset1:1
	s_or_b32 s0, vcc_lo, s0
	s_delay_alu instid0(SALU_CYCLE_1)
	s_and_not1_b32 exec_lo, exec_lo, s0
	s_cbranch_execnz .LBB156_7
; %bb.8:
	s_or_b32 exec_lo, exec_lo, s0
	s_wait_storecnt 0x0
	s_wait_loadcnt_dscnt 0x0
	s_barrier_signal -1
	s_barrier_wait -1
	s_load_b64 s[0:1], s[16:17], 0x0
	s_wait_xcnt 0x0
	s_bfe_u32 s16, ttmp6, 0x4000c
	s_and_b32 s17, ttmp6, 15
	s_add_co_i32 s16, s16, 1
	s_getreg_b32 s20, hwreg(HW_REG_IB_STS2, 6, 4)
	s_mul_i32 s16, ttmp9, s16
	s_delay_alu instid0(SALU_CYCLE_1)
	s_add_co_i32 s17, s17, s16
	s_wait_kmcnt 0x0
	s_lshl_b64 s[0:1], s[0:1], 3
	s_cmp_eq_u32 s20, 0
	s_add_nc_u64 s[0:1], s[2:3], s[0:1]
	s_cselect_b32 s2, ttmp9, s17
	s_and_b32 vcc_lo, exec_lo, s19
	s_load_b64 s[50:51], s[0:1], s2 offset:0x0 scale_offset
	s_wait_xcnt 0x0
	s_mov_b32 s1, 0
	s_cbranch_vccz .LBB156_28
; %bb.9:
	s_wait_kmcnt 0x0
	s_lshl_b64 s[2:3], s[50:51], 3
	v_dual_mov_b32 v3, 0 :: v_dual_lshrrev_b32 v2, 6, v0
	s_add_nc_u64 s[2:3], s[4:5], s[2:3]
	s_mov_b32 s0, s44
	s_load_b128 s[20:23], s[2:3], 0x0
	s_mov_b32 s16, exec_lo
	v_sub_nc_u64_e64 v[4:5], v[2:3], s[0:1]
	s_wait_kmcnt 0x0
	s_delay_alu instid0(VALU_DEP_1)
	v_add_nc_u64_e32 v[14:15], s[20:21], v[4:5]
	s_sub_nc_u64 s[2:3], s[22:23], s[0:1]
	s_delay_alu instid0(VALU_DEP_1) | instid1(SALU_CYCLE_1)
	v_cmpx_gt_i64_e64 s[2:3], v[14:15]
	s_cbranch_execz .LBB156_27
; %bb.10:
	v_and_b32_e32 v2, 63, v0
	s_mov_b32 s5, 0
	s_mov_b32 s4, s45
	;; [unrolled: 1-line block ×3, first 2 shown]
	s_delay_alu instid0(VALU_DEP_1)
	v_sub_nc_u64_e64 v[16:17], v[2:3], s[4:5]
	s_branch .LBB156_12
.LBB156_11:                             ;   in Loop: Header=BB156_12 Depth=1
	s_or_b32 exec_lo, exec_lo, s19
	v_add_nc_u64_e32 v[14:15], 16, v[14:15]
	s_delay_alu instid0(VALU_DEP_1) | instskip(SKIP_1) | instid1(SALU_CYCLE_1)
	v_cmp_le_i64_e32 vcc_lo, s[2:3], v[14:15]
	s_or_b32 s17, vcc_lo, s17
	s_and_not1_b32 exec_lo, exec_lo, s17
	s_cbranch_execz .LBB156_27
.LBB156_12:                             ; =>This Loop Header: Depth=1
                                        ;     Child Loop BB156_16 Depth 2
                                        ;       Child Loop BB156_19 Depth 3
	v_lshl_add_u64 v[2:3], v[14:15], 3, s[6:7]
	s_mov_b32 s19, exec_lo
	global_load_b64 v[2:3], v[2:3], off
	s_wait_loadcnt 0x0
	s_wait_xcnt 0x0
	v_sub_nc_u64_e64 v[2:3], v[2:3], s[0:1]
	s_delay_alu instid0(VALU_DEP_1)
	v_lshl_add_u64 v[2:3], v[2:3], 3, s[10:11]
	global_load_b128 v[2:5], v[2:3], off
	s_wait_loadcnt 0x0
	v_sub_nc_u64_e64 v[18:19], v[4:5], s[4:5]
	v_add_nc_u64_e32 v[20:21], v[2:3], v[16:17]
	s_wait_xcnt 0x0
	s_delay_alu instid0(VALU_DEP_1)
	v_cmpx_lt_i64_e64 v[20:21], v[18:19]
	s_cbranch_execz .LBB156_11
; %bb.13:                               ;   in Loop: Header=BB156_12 Depth=1
	v_lshl_add_u64 v[2:3], v[14:15], 4, s[8:9]
	s_mov_b32 s20, 0
	global_load_b128 v[2:5], v[2:3], off
	s_wait_loadcnt 0x0
	v_mul_f64_e64 v[22:23], v[4:5], -v[12:13]
	v_mul_f64_e32 v[24:25], v[10:11], v[4:5]
	s_delay_alu instid0(VALU_DEP_2) | instskip(NEXT) | instid1(VALU_DEP_2)
	v_fmac_f64_e32 v[22:23], v[10:11], v[2:3]
	v_fmac_f64_e32 v[24:25], v[12:13], v[2:3]
	s_branch .LBB156_16
.LBB156_14:                             ;   in Loop: Header=BB156_16 Depth=2
	s_or_b32 exec_lo, exec_lo, s22
.LBB156_15:                             ;   in Loop: Header=BB156_16 Depth=2
	s_delay_alu instid0(SALU_CYCLE_1) | instskip(SKIP_4) | instid1(VALU_DEP_3)
	s_or_b32 exec_lo, exec_lo, s21
	s_wait_loadcnt 0x0
	v_dual_mul_f64 v[28:29], v[4:5], -v[24:25] :: v_dual_lshlrev_b32 v1, 4, v26
	v_mul_f64_e32 v[4:5], v[22:23], v[4:5]
	v_add_nc_u64_e32 v[20:21], 64, v[20:21]
	v_add3_u32 v1, 0, v1, 0x40000
	s_delay_alu instid0(VALU_DEP_2)
	v_cmp_ge_i64_e32 vcc_lo, v[20:21], v[18:19]
	s_or_b32 s20, vcc_lo, s20
	v_fmac_f64_e32 v[28:29], v[22:23], v[2:3]
	v_fmac_f64_e32 v[4:5], v[24:25], v[2:3]
	ds_add_f64 v1, v[28:29]
	ds_add_f64 v1, v[4:5] offset:8
	s_and_not1_b32 exec_lo, exec_lo, s20
	s_cbranch_execz .LBB156_11
.LBB156_16:                             ;   Parent Loop BB156_12 Depth=1
                                        ; =>  This Loop Header: Depth=2
                                        ;       Child Loop BB156_19 Depth 3
	s_wait_xcnt 0x0
	v_lshl_add_u64 v[2:3], v[20:21], 3, s[12:13]
	s_mov_b32 s21, exec_lo
	global_load_b64 v[26:27], v[2:3], off
	s_wait_xcnt 0x0
	v_lshl_add_u64 v[2:3], v[20:21], 4, s[14:15]
	global_load_b128 v[2:5], v[2:3], off
	s_wait_loadcnt 0x1
	v_sub_nc_u64_e64 v[28:29], v[26:27], s[4:5]
	s_delay_alu instid0(VALU_DEP_1) | instskip(NEXT) | instid1(VALU_DEP_1)
	v_mul_lo_u32 v1, 0x89, v28
	v_and_b32_e32 v26, 0x7fff, v1
	s_delay_alu instid0(VALU_DEP_1)
	v_lshl_add_u32 v1, v26, 3, 0
	ds_load_b64 v[32:33], v1
	s_wait_dscnt 0x0
	s_wait_xcnt 0x0
	v_cmpx_ne_u64_e64 v[32:33], v[28:29]
	s_cbranch_execz .LBB156_15
; %bb.17:                               ;   in Loop: Header=BB156_16 Depth=2
	s_mov_b32 s22, 0
                                        ; implicit-def: $sgpr23
                                        ; implicit-def: $sgpr24
	s_branch .LBB156_19
.LBB156_18:                             ;   in Loop: Header=BB156_19 Depth=3
	s_or_b32 exec_lo, exec_lo, s27
	s_delay_alu instid0(SALU_CYCLE_1) | instskip(NEXT) | instid1(SALU_CYCLE_1)
	s_and_b32 s25, exec_lo, s26
	s_or_b32 s22, s25, s22
	s_and_not1_b32 s23, s23, exec_lo
	s_and_b32 s25, s24, exec_lo
	s_delay_alu instid0(SALU_CYCLE_1)
	s_or_b32 s23, s23, s25
	s_and_not1_b32 exec_lo, exec_lo, s22
	s_cbranch_execz .LBB156_25
.LBB156_19:                             ;   Parent Loop BB156_12 Depth=1
                                        ;     Parent Loop BB156_16 Depth=2
                                        ; =>    This Inner Loop Header: Depth=3
	v_mov_b64_e32 v[30:31], v[26:27]
	s_mov_b32 s25, 0
	s_mov_b32 s26, exec_lo
                                        ; implicit-def: $vgpr26_vgpr27
	v_cmpx_ne_u64_e64 s[48:49], v[32:33]
	s_xor_b32 s26, exec_lo, s26
; %bb.20:                               ;   in Loop: Header=BB156_19 Depth=3
	s_delay_alu instid0(VALU_DEP_2) | instskip(SKIP_1) | instid1(VALU_DEP_1)
	v_add_nc_u32_e32 v1, 1, v30
	s_mov_b32 s25, exec_lo
	v_and_b32_e32 v26, 0x7fff, v1
                                        ; implicit-def: $vgpr1
; %bb.21:                               ;   in Loop: Header=BB156_19 Depth=3
	s_and_not1_saveexec_b32 s26, s26
	s_cbranch_execz .LBB156_23
; %bb.22:                               ;   in Loop: Header=BB156_19 Depth=3
	v_mov_b64_e32 v[26:27], s[48:49]
	s_and_not1_b32 s25, s25, exec_lo
	ds_cmpstore_rtn_b64 v[26:27], v1, v[28:29], v[26:27]
	s_wait_dscnt 0x0
	v_cmp_ne_u64_e32 vcc_lo, s[48:49], v[26:27]
	v_mov_b64_e32 v[26:27], v[30:31]
	s_and_b32 s27, vcc_lo, exec_lo
	s_delay_alu instid0(SALU_CYCLE_1)
	s_or_b32 s25, s25, s27
.LBB156_23:                             ;   in Loop: Header=BB156_19 Depth=3
	s_or_b32 exec_lo, exec_lo, s26
	s_mov_b32 s26, -1
	s_or_b32 s24, s24, exec_lo
                                        ; implicit-def: $vgpr1
                                        ; implicit-def: $vgpr32_vgpr33
	s_and_saveexec_b32 s27, s25
	s_cbranch_execz .LBB156_18
; %bb.24:                               ;   in Loop: Header=BB156_19 Depth=3
	v_lshl_add_u32 v1, v26, 3, 0
	s_and_not1_b32 s24, s24, exec_lo
	ds_load_b64 v[32:33], v1
	s_wait_dscnt 0x0
	v_cmp_eq_u64_e32 vcc_lo, v[32:33], v[28:29]
	s_or_not1_b32 s26, vcc_lo, exec_lo
	s_branch .LBB156_18
.LBB156_25:                             ;   in Loop: Header=BB156_16 Depth=2
	s_or_b32 exec_lo, exec_lo, s22
	s_and_saveexec_b32 s22, s23
	s_delay_alu instid0(SALU_CYCLE_1)
	s_xor_b32 s22, exec_lo, s22
	s_cbranch_execz .LBB156_14
; %bb.26:                               ;   in Loop: Header=BB156_16 Depth=2
	v_mov_b32_e32 v26, v30
	s_branch .LBB156_14
.LBB156_27:
	s_or_b32 exec_lo, exec_lo, s16
.LBB156_28:
	s_delay_alu instid0(SALU_CYCLE_1)
	s_and_not1_b32 vcc_lo, exec_lo, s18
	s_cbranch_vccnz .LBB156_45
; %bb.29:
	s_wait_kmcnt 0x0
	s_lshl_b64 s[0:1], s[50:51], 3
	v_mov_b32_e32 v1, 0
	s_add_nc_u64 s[0:1], s[36:37], s[0:1]
	s_load_b128 s[4:7], s[0:1], 0x0
	s_wait_xcnt 0x0
	s_mov_b32 s1, 0
	s_mov_b32 s0, s47
	s_delay_alu instid0(SALU_CYCLE_1) | instskip(SKIP_1) | instid1(VALU_DEP_1)
	v_sub_nc_u64_e64 v[2:3], v[0:1], s[0:1]
	s_wait_kmcnt 0x0
	v_add_nc_u64_e32 v[10:11], s[4:5], v[2:3]
	s_sub_nc_u64 s[2:3], s[6:7], s[0:1]
	s_mov_b32 s4, exec_lo
	s_delay_alu instid0(VALU_DEP_1)
	v_cmpx_gt_i64_e64 s[2:3], v[10:11]
	s_cbranch_execz .LBB156_44
; %bb.30:
	s_mov_b32 s5, s1
	s_branch .LBB156_33
.LBB156_31:                             ;   in Loop: Header=BB156_33 Depth=1
	s_or_b32 exec_lo, exec_lo, s7
.LBB156_32:                             ;   in Loop: Header=BB156_33 Depth=1
	s_delay_alu instid0(SALU_CYCLE_1) | instskip(SKIP_4) | instid1(VALU_DEP_3)
	s_or_b32 exec_lo, exec_lo, s6
	s_wait_loadcnt 0x0
	v_dual_mul_f64 v[14:15], v[4:5], -v[6:7] :: v_dual_lshlrev_b32 v1, 4, v12
	v_mul_f64_e32 v[4:5], v[8:9], v[4:5]
	v_add_nc_u64_e32 v[10:11], 0x400, v[10:11]
	v_add3_u32 v1, 0, v1, 0x40000
	s_delay_alu instid0(VALU_DEP_2)
	v_cmp_le_i64_e32 vcc_lo, s[2:3], v[10:11]
	s_or_b32 s5, vcc_lo, s5
	v_fmac_f64_e32 v[14:15], v[8:9], v[2:3]
	v_fmac_f64_e32 v[4:5], v[6:7], v[2:3]
	ds_add_f64 v1, v[14:15]
	ds_add_f64 v1, v[4:5] offset:8
	s_and_not1_b32 exec_lo, exec_lo, s5
	s_cbranch_execz .LBB156_44
.LBB156_33:                             ; =>This Loop Header: Depth=1
                                        ;     Child Loop BB156_36 Depth 2
	v_lshl_add_u64 v[2:3], v[10:11], 3, s[38:39]
	s_mov_b32 s6, exec_lo
	global_load_b64 v[12:13], v[2:3], off
	s_wait_xcnt 0x0
	v_lshl_add_u64 v[2:3], v[10:11], 4, s[40:41]
	global_load_b128 v[2:5], v[2:3], off
	s_wait_loadcnt 0x1
	v_sub_nc_u64_e64 v[14:15], v[12:13], s[0:1]
	s_delay_alu instid0(VALU_DEP_1) | instskip(NEXT) | instid1(VALU_DEP_1)
	v_mul_lo_u32 v1, 0x89, v14
	v_and_b32_e32 v12, 0x7fff, v1
	s_delay_alu instid0(VALU_DEP_1)
	v_lshl_add_u32 v1, v12, 3, 0
	ds_load_b64 v[18:19], v1
	s_wait_dscnt 0x0
	s_wait_xcnt 0x0
	v_cmpx_ne_u64_e64 v[18:19], v[14:15]
	s_cbranch_execz .LBB156_32
; %bb.34:                               ;   in Loop: Header=BB156_33 Depth=1
	s_mov_b32 s7, 0
                                        ; implicit-def: $sgpr8
                                        ; implicit-def: $sgpr9
	s_branch .LBB156_36
.LBB156_35:                             ;   in Loop: Header=BB156_36 Depth=2
	s_or_b32 exec_lo, exec_lo, s12
	s_delay_alu instid0(SALU_CYCLE_1) | instskip(NEXT) | instid1(SALU_CYCLE_1)
	s_and_b32 s10, exec_lo, s11
	s_or_b32 s7, s10, s7
	s_and_not1_b32 s8, s8, exec_lo
	s_and_b32 s10, s9, exec_lo
	s_delay_alu instid0(SALU_CYCLE_1)
	s_or_b32 s8, s8, s10
	s_and_not1_b32 exec_lo, exec_lo, s7
	s_cbranch_execz .LBB156_42
.LBB156_36:                             ;   Parent Loop BB156_33 Depth=1
                                        ; =>  This Inner Loop Header: Depth=2
	v_mov_b64_e32 v[16:17], v[12:13]
	s_mov_b32 s10, 0
	s_mov_b32 s11, exec_lo
                                        ; implicit-def: $vgpr12_vgpr13
	v_cmpx_ne_u64_e64 s[48:49], v[18:19]
	s_xor_b32 s11, exec_lo, s11
; %bb.37:                               ;   in Loop: Header=BB156_36 Depth=2
	s_delay_alu instid0(VALU_DEP_2) | instskip(SKIP_1) | instid1(VALU_DEP_1)
	v_add_nc_u32_e32 v1, 1, v16
	s_mov_b32 s10, exec_lo
	v_and_b32_e32 v12, 0x7fff, v1
                                        ; implicit-def: $vgpr1
; %bb.38:                               ;   in Loop: Header=BB156_36 Depth=2
	s_and_not1_saveexec_b32 s11, s11
	s_cbranch_execz .LBB156_40
; %bb.39:                               ;   in Loop: Header=BB156_36 Depth=2
	v_mov_b64_e32 v[12:13], s[48:49]
	s_and_not1_b32 s10, s10, exec_lo
	ds_cmpstore_rtn_b64 v[12:13], v1, v[14:15], v[12:13]
	s_wait_dscnt 0x0
	v_cmp_ne_u64_e32 vcc_lo, s[48:49], v[12:13]
	v_mov_b64_e32 v[12:13], v[16:17]
	s_and_b32 s12, vcc_lo, exec_lo
	s_delay_alu instid0(SALU_CYCLE_1)
	s_or_b32 s10, s10, s12
.LBB156_40:                             ;   in Loop: Header=BB156_36 Depth=2
	s_or_b32 exec_lo, exec_lo, s11
	s_mov_b32 s11, -1
	s_or_b32 s9, s9, exec_lo
                                        ; implicit-def: $vgpr1
                                        ; implicit-def: $vgpr18_vgpr19
	s_and_saveexec_b32 s12, s10
	s_cbranch_execz .LBB156_35
; %bb.41:                               ;   in Loop: Header=BB156_36 Depth=2
	v_lshl_add_u32 v1, v12, 3, 0
	s_and_not1_b32 s9, s9, exec_lo
	ds_load_b64 v[18:19], v1
	s_wait_dscnt 0x0
	v_cmp_eq_u64_e32 vcc_lo, v[18:19], v[14:15]
	s_or_not1_b32 s11, vcc_lo, exec_lo
	s_branch .LBB156_35
.LBB156_42:                             ;   in Loop: Header=BB156_33 Depth=1
	s_or_b32 exec_lo, exec_lo, s7
	s_and_saveexec_b32 s7, s8
	s_delay_alu instid0(SALU_CYCLE_1)
	s_xor_b32 s7, exec_lo, s7
	s_cbranch_execz .LBB156_31
; %bb.43:                               ;   in Loop: Header=BB156_33 Depth=1
	v_mov_b32_e32 v12, v16
	s_branch .LBB156_31
.LBB156_44:
	s_or_b32 exec_lo, exec_lo, s4
.LBB156_45:
	v_dual_lshrrev_b32 v1, 2, v0 :: v_dual_mov_b32 v3, 0
	v_xor_b32_e32 v2, 31, v36
	v_mov_b64_e32 v[6:7], 0
	v_cmp_lt_u32_e64 s0, 31, v0
	s_delay_alu instid0(VALU_DEP_4)
	v_and_b32_e32 v1, 0xf8, v1
	v_cmp_lt_u32_e64 s1, 63, v0
	v_lshrrev_b32_e64 v4, v2, -1
	v_cmp_lt_u32_e64 s2, 0x5f, v0
	v_cmp_lt_u32_e64 s3, 0x7f, v0
	v_add3_u32 v1, 0xc0000, 0, v1
	v_cmp_lt_u32_e64 s4, 0x9f, v0
	v_cmp_lt_u32_e64 s5, 0xbf, v0
	;; [unrolled: 1-line block ×27, first 2 shown]
	v_add3_u32 v5, v37, 0, 0x40000
	s_mov_b32 s33, 0
	s_add_co_i32 s36, 0, 0xc0000
	s_add_co_i32 s37, 0, 0xc0008
	;; [unrolled: 1-line block ×32, first 2 shown]
	s_wait_dscnt 0x0
	s_barrier_signal -1
	s_barrier_wait -1
	v_cmp_eq_u32_e32 vcc_lo, 0x3ff, v0
	s_branch .LBB156_47
.LBB156_46:                             ;   in Loop: Header=BB156_47 Depth=1
	s_or_b32 exec_lo, exec_lo, s31
	v_dual_mov_b32 v2, s74 :: v_dual_add_nc_u32 v5, 0x4000, v5
	s_wait_dscnt 0x0
	s_barrier_signal -1
	s_barrier_wait -1
	ds_load_b64 v[8:9], v2
	v_add_nc_u32_e32 v34, 0x400, v34
	v_add_nc_u32_e32 v35, 0x2000, v35
	s_delay_alu instid0(VALU_DEP_2)
	v_cmp_lt_u32_e64 s31, 0x7bff, v34
	s_or_b32 s33, s31, s33
	s_wait_dscnt 0x0
	v_add_nc_u64_e32 v[6:7], v[8:9], v[6:7]
	s_and_not1_b32 exec_lo, exec_lo, s33
	s_cbranch_execz .LBB156_113
.LBB156_47:                             ; =>This Inner Loop Header: Depth=1
	ds_load_b64 v[8:9], v35
	ds_load_2addr_b64 v[10:13], v5 offset1:1
	s_wait_dscnt 0x1
	v_cmp_gt_i64_e64 s31, s[48:49], v[8:9]
	s_wait_dscnt 0x0
	scratch_store_b128 off, v[10:13], off
	s_wait_storecnt 0x0
	s_barrier_signal -1
	s_barrier_wait -1
	s_bcnt1_i32_b32 s75, s31
	s_wait_xcnt 0x0
	v_dual_mov_b32 v2, s75 :: v_dual_bitop2_b32 v10, s31, v4 bitop3:0x40
	s_delay_alu instid0(VALU_DEP_1)
	v_bcnt_u32_b32 v10, v10, 0
	ds_store_b64 v1, v[2:3]
	s_wait_dscnt 0x0
	s_barrier_signal -1
	s_barrier_wait -1
	s_and_saveexec_b32 s75, s0
	s_cbranch_execnz .LBB156_80
; %bb.48:                               ;   in Loop: Header=BB156_47 Depth=1
	s_or_b32 exec_lo, exec_lo, s75
	s_and_saveexec_b32 s75, s1
	s_cbranch_execnz .LBB156_81
.LBB156_49:                             ;   in Loop: Header=BB156_47 Depth=1
	s_or_b32 exec_lo, exec_lo, s75
	s_and_saveexec_b32 s75, s2
	s_cbranch_execnz .LBB156_82
.LBB156_50:                             ;   in Loop: Header=BB156_47 Depth=1
	s_or_b32 exec_lo, exec_lo, s75
	s_and_saveexec_b32 s75, s3
	s_cbranch_execnz .LBB156_83
.LBB156_51:                             ;   in Loop: Header=BB156_47 Depth=1
	s_or_b32 exec_lo, exec_lo, s75
	s_and_saveexec_b32 s75, s4
	s_cbranch_execnz .LBB156_84
.LBB156_52:                             ;   in Loop: Header=BB156_47 Depth=1
	s_or_b32 exec_lo, exec_lo, s75
	s_and_saveexec_b32 s75, s5
	s_cbranch_execnz .LBB156_85
.LBB156_53:                             ;   in Loop: Header=BB156_47 Depth=1
	s_or_b32 exec_lo, exec_lo, s75
	s_and_saveexec_b32 s75, s6
	s_cbranch_execnz .LBB156_86
.LBB156_54:                             ;   in Loop: Header=BB156_47 Depth=1
	s_or_b32 exec_lo, exec_lo, s75
	s_and_saveexec_b32 s75, s7
	s_cbranch_execnz .LBB156_87
.LBB156_55:                             ;   in Loop: Header=BB156_47 Depth=1
	s_or_b32 exec_lo, exec_lo, s75
	s_and_saveexec_b32 s75, s8
	s_cbranch_execnz .LBB156_88
.LBB156_56:                             ;   in Loop: Header=BB156_47 Depth=1
	s_or_b32 exec_lo, exec_lo, s75
	s_and_saveexec_b32 s75, s9
	s_cbranch_execnz .LBB156_89
.LBB156_57:                             ;   in Loop: Header=BB156_47 Depth=1
	s_or_b32 exec_lo, exec_lo, s75
	s_and_saveexec_b32 s75, s10
	s_cbranch_execnz .LBB156_90
.LBB156_58:                             ;   in Loop: Header=BB156_47 Depth=1
	s_or_b32 exec_lo, exec_lo, s75
	s_and_saveexec_b32 s75, s11
	s_cbranch_execnz .LBB156_91
.LBB156_59:                             ;   in Loop: Header=BB156_47 Depth=1
	s_or_b32 exec_lo, exec_lo, s75
	s_and_saveexec_b32 s75, s12
	s_cbranch_execnz .LBB156_92
.LBB156_60:                             ;   in Loop: Header=BB156_47 Depth=1
	s_or_b32 exec_lo, exec_lo, s75
	s_and_saveexec_b32 s75, s13
	s_cbranch_execnz .LBB156_93
.LBB156_61:                             ;   in Loop: Header=BB156_47 Depth=1
	s_or_b32 exec_lo, exec_lo, s75
	s_and_saveexec_b32 s75, s14
	s_cbranch_execnz .LBB156_94
.LBB156_62:                             ;   in Loop: Header=BB156_47 Depth=1
	s_or_b32 exec_lo, exec_lo, s75
	s_and_saveexec_b32 s75, s15
	s_cbranch_execnz .LBB156_95
.LBB156_63:                             ;   in Loop: Header=BB156_47 Depth=1
	s_or_b32 exec_lo, exec_lo, s75
	s_and_saveexec_b32 s75, s16
	s_cbranch_execnz .LBB156_96
.LBB156_64:                             ;   in Loop: Header=BB156_47 Depth=1
	s_or_b32 exec_lo, exec_lo, s75
	s_and_saveexec_b32 s75, s17
	s_cbranch_execnz .LBB156_97
.LBB156_65:                             ;   in Loop: Header=BB156_47 Depth=1
	s_or_b32 exec_lo, exec_lo, s75
	s_and_saveexec_b32 s75, s18
	s_cbranch_execnz .LBB156_98
.LBB156_66:                             ;   in Loop: Header=BB156_47 Depth=1
	s_or_b32 exec_lo, exec_lo, s75
	s_and_saveexec_b32 s75, s19
	s_cbranch_execnz .LBB156_99
.LBB156_67:                             ;   in Loop: Header=BB156_47 Depth=1
	s_or_b32 exec_lo, exec_lo, s75
	s_and_saveexec_b32 s75, s20
	s_cbranch_execnz .LBB156_100
.LBB156_68:                             ;   in Loop: Header=BB156_47 Depth=1
	s_or_b32 exec_lo, exec_lo, s75
	s_and_saveexec_b32 s75, s21
	s_cbranch_execnz .LBB156_101
.LBB156_69:                             ;   in Loop: Header=BB156_47 Depth=1
	s_or_b32 exec_lo, exec_lo, s75
	s_and_saveexec_b32 s75, s22
	s_cbranch_execnz .LBB156_102
.LBB156_70:                             ;   in Loop: Header=BB156_47 Depth=1
	s_or_b32 exec_lo, exec_lo, s75
	s_and_saveexec_b32 s75, s23
	s_cbranch_execnz .LBB156_103
.LBB156_71:                             ;   in Loop: Header=BB156_47 Depth=1
	s_or_b32 exec_lo, exec_lo, s75
	s_and_saveexec_b32 s75, s24
	s_cbranch_execnz .LBB156_104
.LBB156_72:                             ;   in Loop: Header=BB156_47 Depth=1
	s_or_b32 exec_lo, exec_lo, s75
	s_and_saveexec_b32 s75, s25
	s_cbranch_execnz .LBB156_105
.LBB156_73:                             ;   in Loop: Header=BB156_47 Depth=1
	s_or_b32 exec_lo, exec_lo, s75
	s_and_saveexec_b32 s75, s26
	s_cbranch_execnz .LBB156_106
.LBB156_74:                             ;   in Loop: Header=BB156_47 Depth=1
	s_or_b32 exec_lo, exec_lo, s75
	s_and_saveexec_b32 s75, s27
	s_cbranch_execnz .LBB156_107
.LBB156_75:                             ;   in Loop: Header=BB156_47 Depth=1
	s_or_b32 exec_lo, exec_lo, s75
	s_and_saveexec_b32 s75, s28
	s_cbranch_execnz .LBB156_108
.LBB156_76:                             ;   in Loop: Header=BB156_47 Depth=1
	s_or_b32 exec_lo, exec_lo, s75
	s_and_saveexec_b32 s75, s29
	s_cbranch_execnz .LBB156_109
.LBB156_77:                             ;   in Loop: Header=BB156_47 Depth=1
	s_or_b32 exec_lo, exec_lo, s75
	s_and_saveexec_b32 s75, s30
	s_cbranch_execnz .LBB156_110
.LBB156_78:                             ;   in Loop: Header=BB156_47 Depth=1
	s_or_b32 exec_lo, exec_lo, s75
	v_ashrrev_i32_e32 v11, 31, v10
	s_and_saveexec_b32 s75, s31
	s_cbranch_execnz .LBB156_111
.LBB156_79:                             ;   in Loop: Header=BB156_47 Depth=1
	s_or_b32 exec_lo, exec_lo, s75
	s_and_saveexec_b32 s31, vcc_lo
	s_cbranch_execz .LBB156_46
	s_branch .LBB156_112
.LBB156_80:                             ;   in Loop: Header=BB156_47 Depth=1
	v_mov_b32_e32 v2, s36
	ds_load_b32 v2, v2
	s_wait_dscnt 0x0
	v_add_nc_u32_e32 v10, v2, v10
	s_or_b32 exec_lo, exec_lo, s75
	s_and_saveexec_b32 s75, s1
	s_cbranch_execz .LBB156_49
.LBB156_81:                             ;   in Loop: Header=BB156_47 Depth=1
	v_mov_b32_e32 v2, s37
	ds_load_b32 v2, v2
	s_wait_dscnt 0x0
	v_add_nc_u32_e32 v10, v10, v2
	s_or_b32 exec_lo, exec_lo, s75
	s_and_saveexec_b32 s75, s2
	s_cbranch_execz .LBB156_50
.LBB156_82:                             ;   in Loop: Header=BB156_47 Depth=1
	v_mov_b32_e32 v2, s38
	ds_load_b32 v2, v2
	s_wait_dscnt 0x0
	v_add_nc_u32_e32 v10, v10, v2
	s_or_b32 exec_lo, exec_lo, s75
	s_and_saveexec_b32 s75, s3
	s_cbranch_execz .LBB156_51
.LBB156_83:                             ;   in Loop: Header=BB156_47 Depth=1
	v_mov_b32_e32 v2, s39
	ds_load_b32 v2, v2
	s_wait_dscnt 0x0
	v_add_nc_u32_e32 v10, v10, v2
	s_or_b32 exec_lo, exec_lo, s75
	s_and_saveexec_b32 s75, s4
	s_cbranch_execz .LBB156_52
.LBB156_84:                             ;   in Loop: Header=BB156_47 Depth=1
	v_mov_b32_e32 v2, s40
	ds_load_b32 v2, v2
	s_wait_dscnt 0x0
	v_add_nc_u32_e32 v10, v10, v2
	s_or_b32 exec_lo, exec_lo, s75
	s_and_saveexec_b32 s75, s5
	s_cbranch_execz .LBB156_53
.LBB156_85:                             ;   in Loop: Header=BB156_47 Depth=1
	v_mov_b32_e32 v2, s41
	ds_load_b32 v2, v2
	s_wait_dscnt 0x0
	v_add_nc_u32_e32 v10, v10, v2
	s_or_b32 exec_lo, exec_lo, s75
	s_and_saveexec_b32 s75, s6
	s_cbranch_execz .LBB156_54
.LBB156_86:                             ;   in Loop: Header=BB156_47 Depth=1
	v_mov_b32_e32 v2, s44
	ds_load_b32 v2, v2
	s_wait_dscnt 0x0
	v_add_nc_u32_e32 v10, v10, v2
	s_or_b32 exec_lo, exec_lo, s75
	s_and_saveexec_b32 s75, s7
	s_cbranch_execz .LBB156_55
.LBB156_87:                             ;   in Loop: Header=BB156_47 Depth=1
	v_mov_b32_e32 v2, s45
	ds_load_b32 v2, v2
	s_wait_dscnt 0x0
	v_add_nc_u32_e32 v10, v10, v2
	s_or_b32 exec_lo, exec_lo, s75
	s_and_saveexec_b32 s75, s8
	s_cbranch_execz .LBB156_56
.LBB156_88:                             ;   in Loop: Header=BB156_47 Depth=1
	v_mov_b32_e32 v2, s47
	ds_load_b32 v2, v2
	s_wait_dscnt 0x0
	v_add_nc_u32_e32 v10, v10, v2
	s_or_b32 exec_lo, exec_lo, s75
	s_and_saveexec_b32 s75, s9
	s_cbranch_execz .LBB156_57
.LBB156_89:                             ;   in Loop: Header=BB156_47 Depth=1
	v_mov_b32_e32 v2, s52
	ds_load_b32 v2, v2
	s_wait_dscnt 0x0
	v_add_nc_u32_e32 v10, v10, v2
	s_or_b32 exec_lo, exec_lo, s75
	s_and_saveexec_b32 s75, s10
	s_cbranch_execz .LBB156_58
.LBB156_90:                             ;   in Loop: Header=BB156_47 Depth=1
	v_mov_b32_e32 v2, s53
	ds_load_b32 v2, v2
	s_wait_dscnt 0x0
	v_add_nc_u32_e32 v10, v10, v2
	s_or_b32 exec_lo, exec_lo, s75
	s_and_saveexec_b32 s75, s11
	s_cbranch_execz .LBB156_59
.LBB156_91:                             ;   in Loop: Header=BB156_47 Depth=1
	v_mov_b32_e32 v2, s54
	ds_load_b32 v2, v2
	s_wait_dscnt 0x0
	v_add_nc_u32_e32 v10, v10, v2
	s_or_b32 exec_lo, exec_lo, s75
	s_and_saveexec_b32 s75, s12
	s_cbranch_execz .LBB156_60
.LBB156_92:                             ;   in Loop: Header=BB156_47 Depth=1
	v_mov_b32_e32 v2, s55
	ds_load_b32 v2, v2
	s_wait_dscnt 0x0
	v_add_nc_u32_e32 v10, v10, v2
	s_or_b32 exec_lo, exec_lo, s75
	s_and_saveexec_b32 s75, s13
	s_cbranch_execz .LBB156_61
.LBB156_93:                             ;   in Loop: Header=BB156_47 Depth=1
	v_mov_b32_e32 v2, s56
	ds_load_b32 v2, v2
	s_wait_dscnt 0x0
	v_add_nc_u32_e32 v10, v10, v2
	s_or_b32 exec_lo, exec_lo, s75
	s_and_saveexec_b32 s75, s14
	s_cbranch_execz .LBB156_62
.LBB156_94:                             ;   in Loop: Header=BB156_47 Depth=1
	v_mov_b32_e32 v2, s57
	ds_load_b32 v2, v2
	s_wait_dscnt 0x0
	v_add_nc_u32_e32 v10, v10, v2
	s_or_b32 exec_lo, exec_lo, s75
	s_and_saveexec_b32 s75, s15
	s_cbranch_execz .LBB156_63
.LBB156_95:                             ;   in Loop: Header=BB156_47 Depth=1
	v_mov_b32_e32 v2, s58
	ds_load_b32 v2, v2
	s_wait_dscnt 0x0
	v_add_nc_u32_e32 v10, v10, v2
	s_or_b32 exec_lo, exec_lo, s75
	s_and_saveexec_b32 s75, s16
	s_cbranch_execz .LBB156_64
.LBB156_96:                             ;   in Loop: Header=BB156_47 Depth=1
	v_mov_b32_e32 v2, s59
	ds_load_b32 v2, v2
	s_wait_dscnt 0x0
	v_add_nc_u32_e32 v10, v10, v2
	s_or_b32 exec_lo, exec_lo, s75
	s_and_saveexec_b32 s75, s17
	s_cbranch_execz .LBB156_65
.LBB156_97:                             ;   in Loop: Header=BB156_47 Depth=1
	v_mov_b32_e32 v2, s60
	ds_load_b32 v2, v2
	s_wait_dscnt 0x0
	v_add_nc_u32_e32 v10, v10, v2
	s_or_b32 exec_lo, exec_lo, s75
	s_and_saveexec_b32 s75, s18
	s_cbranch_execz .LBB156_66
.LBB156_98:                             ;   in Loop: Header=BB156_47 Depth=1
	v_mov_b32_e32 v2, s61
	ds_load_b32 v2, v2
	s_wait_dscnt 0x0
	v_add_nc_u32_e32 v10, v10, v2
	s_or_b32 exec_lo, exec_lo, s75
	s_and_saveexec_b32 s75, s19
	s_cbranch_execz .LBB156_67
.LBB156_99:                             ;   in Loop: Header=BB156_47 Depth=1
	v_mov_b32_e32 v2, s62
	ds_load_b32 v2, v2
	s_wait_dscnt 0x0
	v_add_nc_u32_e32 v10, v10, v2
	s_or_b32 exec_lo, exec_lo, s75
	s_and_saveexec_b32 s75, s20
	s_cbranch_execz .LBB156_68
.LBB156_100:                            ;   in Loop: Header=BB156_47 Depth=1
	v_mov_b32_e32 v2, s63
	ds_load_b32 v2, v2
	s_wait_dscnt 0x0
	v_add_nc_u32_e32 v10, v10, v2
	s_or_b32 exec_lo, exec_lo, s75
	s_and_saveexec_b32 s75, s21
	s_cbranch_execz .LBB156_69
.LBB156_101:                            ;   in Loop: Header=BB156_47 Depth=1
	v_mov_b32_e32 v2, s64
	ds_load_b32 v2, v2
	s_wait_dscnt 0x0
	v_add_nc_u32_e32 v10, v10, v2
	s_or_b32 exec_lo, exec_lo, s75
	s_and_saveexec_b32 s75, s22
	s_cbranch_execz .LBB156_70
.LBB156_102:                            ;   in Loop: Header=BB156_47 Depth=1
	v_mov_b32_e32 v2, s65
	ds_load_b32 v2, v2
	s_wait_dscnt 0x0
	v_add_nc_u32_e32 v10, v10, v2
	s_or_b32 exec_lo, exec_lo, s75
	s_and_saveexec_b32 s75, s23
	s_cbranch_execz .LBB156_71
.LBB156_103:                            ;   in Loop: Header=BB156_47 Depth=1
	v_mov_b32_e32 v2, s66
	ds_load_b32 v2, v2
	s_wait_dscnt 0x0
	v_add_nc_u32_e32 v10, v10, v2
	s_or_b32 exec_lo, exec_lo, s75
	s_and_saveexec_b32 s75, s24
	s_cbranch_execz .LBB156_72
.LBB156_104:                            ;   in Loop: Header=BB156_47 Depth=1
	v_mov_b32_e32 v2, s67
	ds_load_b32 v2, v2
	s_wait_dscnt 0x0
	v_add_nc_u32_e32 v10, v10, v2
	s_or_b32 exec_lo, exec_lo, s75
	s_and_saveexec_b32 s75, s25
	s_cbranch_execz .LBB156_73
.LBB156_105:                            ;   in Loop: Header=BB156_47 Depth=1
	v_mov_b32_e32 v2, s68
	ds_load_b32 v2, v2
	s_wait_dscnt 0x0
	v_add_nc_u32_e32 v10, v10, v2
	s_or_b32 exec_lo, exec_lo, s75
	s_and_saveexec_b32 s75, s26
	s_cbranch_execz .LBB156_74
.LBB156_106:                            ;   in Loop: Header=BB156_47 Depth=1
	v_mov_b32_e32 v2, s69
	ds_load_b32 v2, v2
	s_wait_dscnt 0x0
	v_add_nc_u32_e32 v10, v10, v2
	s_or_b32 exec_lo, exec_lo, s75
	s_and_saveexec_b32 s75, s27
	s_cbranch_execz .LBB156_75
.LBB156_107:                            ;   in Loop: Header=BB156_47 Depth=1
	v_mov_b32_e32 v2, s70
	ds_load_b32 v2, v2
	s_wait_dscnt 0x0
	v_add_nc_u32_e32 v10, v10, v2
	s_or_b32 exec_lo, exec_lo, s75
	s_and_saveexec_b32 s75, s28
	s_cbranch_execz .LBB156_76
.LBB156_108:                            ;   in Loop: Header=BB156_47 Depth=1
	v_mov_b32_e32 v2, s71
	ds_load_b32 v2, v2
	s_wait_dscnt 0x0
	v_add_nc_u32_e32 v10, v10, v2
	s_or_b32 exec_lo, exec_lo, s75
	s_and_saveexec_b32 s75, s29
	s_cbranch_execz .LBB156_77
.LBB156_109:                            ;   in Loop: Header=BB156_47 Depth=1
	v_mov_b32_e32 v2, s72
	ds_load_b32 v2, v2
	s_wait_dscnt 0x0
	v_add_nc_u32_e32 v10, v10, v2
	s_or_b32 exec_lo, exec_lo, s75
	s_and_saveexec_b32 s75, s30
	s_cbranch_execz .LBB156_78
.LBB156_110:                            ;   in Loop: Header=BB156_47 Depth=1
	v_mov_b32_e32 v2, s73
	ds_load_b32 v2, v2
	s_wait_dscnt 0x0
	v_add_nc_u32_e32 v10, v10, v2
	s_or_b32 exec_lo, exec_lo, s75
	s_delay_alu instid0(VALU_DEP_1)
	v_ashrrev_i32_e32 v11, 31, v10
	s_and_saveexec_b32 s75, s31
	s_cbranch_execz .LBB156_79
.LBB156_111:                            ;   in Loop: Header=BB156_47 Depth=1
	scratch_load_b128 v[12:15], off, off
	v_add3_u32 v2, v6, -1, v10
	s_delay_alu instid0(VALU_DEP_1) | instskip(SKIP_1) | instid1(VALU_DEP_2)
	v_lshlrev_b32_e32 v16, 4, v2
	v_lshl_add_u32 v2, v2, 3, 0
	v_add3_u32 v16, 0, v16, 0x40000
	ds_store_b64 v2, v[8:9]
	s_wait_loadcnt 0x0
	ds_store_2addr_b64 v16, v[12:13], v[14:15] offset1:1
	s_or_b32 exec_lo, exec_lo, s75
	s_and_saveexec_b32 s31, vcc_lo
	s_cbranch_execz .LBB156_46
.LBB156_112:                            ;   in Loop: Header=BB156_47 Depth=1
	v_mov_b32_e32 v2, s74
	ds_store_b64 v2, v[10:11]
	s_branch .LBB156_46
.LBB156_113:
	s_or_b32 exec_lo, exec_lo, s33
	s_wait_kmcnt 0x0
	s_lshl_b64 s[0:1], s[50:51], 3
	v_mov_b32_e32 v1, 0
	s_add_nc_u64 s[4:5], s[42:43], s[0:1]
	s_mov_b32 s6, exec_lo
	s_load_b128 s[0:3], s[4:5], 0x0
	s_wait_kmcnt 0x0
	s_sub_nc_u64 s[4:5], s[2:3], s[0:1]
	s_delay_alu instid0(SALU_CYCLE_1)
	v_cmpx_gt_i64_e64 s[4:5], v[0:1]
	s_cbranch_execz .LBB156_123
; %bb.114:
	s_sub_nc_u64 s[8:9], s[0:1], s[2:3]
	s_and_b64 s[6:7], s[4:5], 7
	v_cmp_lt_u64_e64 s10, s[8:9], -7
	s_and_b64 s[2:3], s[4:5], -8
	s_mov_b32 s47, 0
	s_cmp_lg_u64 s[6:7], 0
	s_sub_nc_u64 s[0:1], s[0:1], s[46:47]
	s_cselect_b32 s11, -1, 0
	s_mov_b32 s12, 0
	s_branch .LBB156_116
.LBB156_115:                            ;   in Loop: Header=BB156_116 Depth=1
	s_wait_dscnt 0x0
	v_lshlrev_b32_e32 v2, 4, v0
	v_add_nc_u64_e32 v[0:1], 0x400, v[0:1]
	s_delay_alu instid0(VALU_DEP_2) | instskip(NEXT) | instid1(VALU_DEP_2)
	v_add3_u32 v2, 0, v2, 0x40000
	v_cmp_le_i64_e32 vcc_lo, s[4:5], v[0:1]
	ds_load_2addr_b64 v[6:9], v2 offset1:1
	v_lshl_add_u64 v[2:3], v[4:5], 4, s[34:35]
	s_or_b32 s12, vcc_lo, s12
	s_wait_dscnt 0x0
	global_store_b128 v[2:3], v[6:9], off
	s_wait_xcnt 0x0
	s_and_not1_b32 exec_lo, exec_lo, s12
	s_cbranch_execz .LBB156_123
.LBB156_116:                            ; =>This Loop Header: Depth=1
                                        ;     Child Loop BB156_118 Depth 2
                                        ;     Child Loop BB156_122 Depth 2
	v_lshl_add_u32 v2, v0, 3, 0
	v_mov_b64_e32 v[4:5], s[0:1]
	s_and_not1_b32 vcc_lo, exec_lo, s10
	s_mov_b64 s[8:9], 0
	ds_load_b64 v[2:3], v2
	s_cbranch_vccnz .LBB156_120
; %bb.117:                              ;   in Loop: Header=BB156_116 Depth=1
	v_mov_b64_e32 v[4:5], s[0:1]
	s_mov_b32 s13, 0
.LBB156_118:                            ;   Parent Loop BB156_116 Depth=1
                                        ; =>  This Inner Loop Header: Depth=2
	s_delay_alu instid0(SALU_CYCLE_1)
	v_dual_mov_b32 v18, s13 :: v_dual_mov_b32 v15, s47
	v_mov_b32_e32 v17, s47
	s_add_nc_u64 s[8:9], s[8:9], 8
	s_add_co_i32 s13, s13, 64
	ds_load_2addr_b64 v[6:9], v18 offset1:1
	ds_load_2addr_b64 v[10:13], v18 offset0:2 offset1:3
	s_cmp_eq_u64 s[2:3], s[8:9]
	s_wait_dscnt 0x1
	v_cmp_gt_i64_e32 vcc_lo, v[2:3], v[6:7]
	v_cndmask_b32_e64 v14, 0, 1, vcc_lo
	v_cmp_gt_i64_e32 vcc_lo, v[2:3], v[8:9]
	s_delay_alu instid0(VALU_DEP_2) | instskip(SKIP_4) | instid1(VALU_DEP_2)
	v_add_nc_u64_e32 v[8:9], v[4:5], v[14:15]
	ds_load_2addr_b64 v[4:7], v18 offset0:4 offset1:5
	v_cndmask_b32_e64 v16, 0, 1, vcc_lo
	s_wait_dscnt 0x1
	v_cmp_gt_i64_e32 vcc_lo, v[2:3], v[10:11]
	v_add_nc_u64_e32 v[8:9], v[8:9], v[16:17]
	v_cndmask_b32_e64 v14, 0, 1, vcc_lo
	v_cmp_gt_i64_e32 vcc_lo, v[2:3], v[12:13]
	s_delay_alu instid0(VALU_DEP_2)
	v_add_nc_u64_e32 v[12:13], v[8:9], v[14:15]
	ds_load_2addr_b64 v[8:11], v18 offset0:6 offset1:7
	v_cndmask_b32_e64 v16, 0, 1, vcc_lo
	s_wait_dscnt 0x1
	v_cmp_gt_i64_e32 vcc_lo, v[2:3], v[4:5]
	v_mov_b32_e32 v5, s47
	s_delay_alu instid0(VALU_DEP_3) | instskip(SKIP_3) | instid1(VALU_DEP_3)
	v_add_nc_u64_e32 v[12:13], v[12:13], v[16:17]
	v_cndmask_b32_e64 v14, 0, 1, vcc_lo
	v_cmp_gt_i64_e32 vcc_lo, v[2:3], v[6:7]
	v_mov_b32_e32 v7, s47
	v_add_nc_u64_e32 v[12:13], v[12:13], v[14:15]
	v_cndmask_b32_e64 v4, 0, 1, vcc_lo
	s_wait_dscnt 0x0
	v_cmp_gt_i64_e32 vcc_lo, v[2:3], v[8:9]
	v_mov_b32_e32 v9, s47
	s_delay_alu instid0(VALU_DEP_3) | instskip(SKIP_2) | instid1(VALU_DEP_2)
	v_add_nc_u64_e32 v[4:5], v[12:13], v[4:5]
	v_cndmask_b32_e64 v6, 0, 1, vcc_lo
	v_cmp_gt_i64_e32 vcc_lo, v[2:3], v[10:11]
	v_add_nc_u64_e32 v[4:5], v[4:5], v[6:7]
	v_cndmask_b32_e64 v8, 0, 1, vcc_lo
	s_delay_alu instid0(VALU_DEP_1)
	v_add_nc_u64_e32 v[4:5], v[4:5], v[8:9]
	s_cbranch_scc0 .LBB156_118
; %bb.119:                              ;   in Loop: Header=BB156_116 Depth=1
	s_mov_b64 s[8:9], s[2:3]
.LBB156_120:                            ;   in Loop: Header=BB156_116 Depth=1
	s_and_not1_b32 vcc_lo, exec_lo, s11
	s_cbranch_vccnz .LBB156_115
; %bb.121:                              ;   in Loop: Header=BB156_116 Depth=1
	s_lshl_b32 s8, s8, 3
	s_delay_alu instid0(SALU_CYCLE_1)
	s_add_co_i32 s13, s8, 0
	s_mov_b64 s[8:9], s[6:7]
.LBB156_122:                            ;   Parent Loop BB156_116 Depth=1
                                        ; =>  This Inner Loop Header: Depth=2
	v_dual_mov_b32 v6, s13 :: v_dual_mov_b32 v9, s47
	s_add_nc_u64 s[8:9], s[8:9], -1
	s_add_co_i32 s13, s13, 8
	s_cmp_lg_u64 s[8:9], 0
	ds_load_b64 v[6:7], v6
	s_wait_dscnt 0x0
	v_cmp_gt_i64_e32 vcc_lo, v[2:3], v[6:7]
	v_cndmask_b32_e64 v8, 0, 1, vcc_lo
	s_delay_alu instid0(VALU_DEP_1)
	v_add_nc_u64_e32 v[4:5], v[4:5], v[8:9]
	s_cbranch_scc1 .LBB156_122
	s_branch .LBB156_115
.LBB156_123:
	s_endpgm
	.section	.rodata,"a",@progbits
	.p2align	6, 0x0
	.amdhsa_kernel _ZN9rocsparseL41csrgemm_numeric_fill_block_per_row_kernelILj1024ELj64ELj32768ELj137ELj32Ell21rocsparse_complex_numIdEEEvT5_PKS3_S5_NS_24const_host_device_scalarIT6_EEPKT4_S5_PKS7_SB_S5_SD_S8_SB_S5_SD_SB_S5_PS7_21rocsparse_index_base_SF_SF_SF_bbb
		.amdhsa_group_segment_fixed_size 0
		.amdhsa_private_segment_fixed_size 40
		.amdhsa_kernarg_size 172
		.amdhsa_user_sgpr_count 2
		.amdhsa_user_sgpr_dispatch_ptr 0
		.amdhsa_user_sgpr_queue_ptr 0
		.amdhsa_user_sgpr_kernarg_segment_ptr 1
		.amdhsa_user_sgpr_dispatch_id 0
		.amdhsa_user_sgpr_kernarg_preload_length 0
		.amdhsa_user_sgpr_kernarg_preload_offset 0
		.amdhsa_user_sgpr_private_segment_size 0
		.amdhsa_wavefront_size32 1
		.amdhsa_uses_dynamic_stack 0
		.amdhsa_enable_private_segment 1
		.amdhsa_system_sgpr_workgroup_id_x 1
		.amdhsa_system_sgpr_workgroup_id_y 0
		.amdhsa_system_sgpr_workgroup_id_z 0
		.amdhsa_system_sgpr_workgroup_info 0
		.amdhsa_system_vgpr_workitem_id 0
		.amdhsa_next_free_vgpr 38
		.amdhsa_next_free_sgpr 76
		.amdhsa_named_barrier_count 0
		.amdhsa_reserve_vcc 1
		.amdhsa_float_round_mode_32 0
		.amdhsa_float_round_mode_16_64 0
		.amdhsa_float_denorm_mode_32 3
		.amdhsa_float_denorm_mode_16_64 3
		.amdhsa_fp16_overflow 0
		.amdhsa_memory_ordered 1
		.amdhsa_forward_progress 1
		.amdhsa_inst_pref_size 39
		.amdhsa_round_robin_scheduling 0
		.amdhsa_exception_fp_ieee_invalid_op 0
		.amdhsa_exception_fp_denorm_src 0
		.amdhsa_exception_fp_ieee_div_zero 0
		.amdhsa_exception_fp_ieee_overflow 0
		.amdhsa_exception_fp_ieee_underflow 0
		.amdhsa_exception_fp_ieee_inexact 0
		.amdhsa_exception_int_div_zero 0
	.end_amdhsa_kernel
	.section	.text._ZN9rocsparseL41csrgemm_numeric_fill_block_per_row_kernelILj1024ELj64ELj32768ELj137ELj32Ell21rocsparse_complex_numIdEEEvT5_PKS3_S5_NS_24const_host_device_scalarIT6_EEPKT4_S5_PKS7_SB_S5_SD_S8_SB_S5_SD_SB_S5_PS7_21rocsparse_index_base_SF_SF_SF_bbb,"axG",@progbits,_ZN9rocsparseL41csrgemm_numeric_fill_block_per_row_kernelILj1024ELj64ELj32768ELj137ELj32Ell21rocsparse_complex_numIdEEEvT5_PKS3_S5_NS_24const_host_device_scalarIT6_EEPKT4_S5_PKS7_SB_S5_SD_S8_SB_S5_SD_SB_S5_PS7_21rocsparse_index_base_SF_SF_SF_bbb,comdat
.Lfunc_end156:
	.size	_ZN9rocsparseL41csrgemm_numeric_fill_block_per_row_kernelILj1024ELj64ELj32768ELj137ELj32Ell21rocsparse_complex_numIdEEEvT5_PKS3_S5_NS_24const_host_device_scalarIT6_EEPKT4_S5_PKS7_SB_S5_SD_S8_SB_S5_SD_SB_S5_PS7_21rocsparse_index_base_SF_SF_SF_bbb, .Lfunc_end156-_ZN9rocsparseL41csrgemm_numeric_fill_block_per_row_kernelILj1024ELj64ELj32768ELj137ELj32Ell21rocsparse_complex_numIdEEEvT5_PKS3_S5_NS_24const_host_device_scalarIT6_EEPKT4_S5_PKS7_SB_S5_SD_S8_SB_S5_SD_SB_S5_PS7_21rocsparse_index_base_SF_SF_SF_bbb
                                        ; -- End function
	.set _ZN9rocsparseL41csrgemm_numeric_fill_block_per_row_kernelILj1024ELj64ELj32768ELj137ELj32Ell21rocsparse_complex_numIdEEEvT5_PKS3_S5_NS_24const_host_device_scalarIT6_EEPKT4_S5_PKS7_SB_S5_SD_S8_SB_S5_SD_SB_S5_PS7_21rocsparse_index_base_SF_SF_SF_bbb.num_vgpr, 38
	.set _ZN9rocsparseL41csrgemm_numeric_fill_block_per_row_kernelILj1024ELj64ELj32768ELj137ELj32Ell21rocsparse_complex_numIdEEEvT5_PKS3_S5_NS_24const_host_device_scalarIT6_EEPKT4_S5_PKS7_SB_S5_SD_S8_SB_S5_SD_SB_S5_PS7_21rocsparse_index_base_SF_SF_SF_bbb.num_agpr, 0
	.set _ZN9rocsparseL41csrgemm_numeric_fill_block_per_row_kernelILj1024ELj64ELj32768ELj137ELj32Ell21rocsparse_complex_numIdEEEvT5_PKS3_S5_NS_24const_host_device_scalarIT6_EEPKT4_S5_PKS7_SB_S5_SD_S8_SB_S5_SD_SB_S5_PS7_21rocsparse_index_base_SF_SF_SF_bbb.numbered_sgpr, 76
	.set _ZN9rocsparseL41csrgemm_numeric_fill_block_per_row_kernelILj1024ELj64ELj32768ELj137ELj32Ell21rocsparse_complex_numIdEEEvT5_PKS3_S5_NS_24const_host_device_scalarIT6_EEPKT4_S5_PKS7_SB_S5_SD_S8_SB_S5_SD_SB_S5_PS7_21rocsparse_index_base_SF_SF_SF_bbb.num_named_barrier, 0
	.set _ZN9rocsparseL41csrgemm_numeric_fill_block_per_row_kernelILj1024ELj64ELj32768ELj137ELj32Ell21rocsparse_complex_numIdEEEvT5_PKS3_S5_NS_24const_host_device_scalarIT6_EEPKT4_S5_PKS7_SB_S5_SD_S8_SB_S5_SD_SB_S5_PS7_21rocsparse_index_base_SF_SF_SF_bbb.private_seg_size, 40
	.set _ZN9rocsparseL41csrgemm_numeric_fill_block_per_row_kernelILj1024ELj64ELj32768ELj137ELj32Ell21rocsparse_complex_numIdEEEvT5_PKS3_S5_NS_24const_host_device_scalarIT6_EEPKT4_S5_PKS7_SB_S5_SD_S8_SB_S5_SD_SB_S5_PS7_21rocsparse_index_base_SF_SF_SF_bbb.uses_vcc, 1
	.set _ZN9rocsparseL41csrgemm_numeric_fill_block_per_row_kernelILj1024ELj64ELj32768ELj137ELj32Ell21rocsparse_complex_numIdEEEvT5_PKS3_S5_NS_24const_host_device_scalarIT6_EEPKT4_S5_PKS7_SB_S5_SD_S8_SB_S5_SD_SB_S5_PS7_21rocsparse_index_base_SF_SF_SF_bbb.uses_flat_scratch, 1
	.set _ZN9rocsparseL41csrgemm_numeric_fill_block_per_row_kernelILj1024ELj64ELj32768ELj137ELj32Ell21rocsparse_complex_numIdEEEvT5_PKS3_S5_NS_24const_host_device_scalarIT6_EEPKT4_S5_PKS7_SB_S5_SD_S8_SB_S5_SD_SB_S5_PS7_21rocsparse_index_base_SF_SF_SF_bbb.has_dyn_sized_stack, 0
	.set _ZN9rocsparseL41csrgemm_numeric_fill_block_per_row_kernelILj1024ELj64ELj32768ELj137ELj32Ell21rocsparse_complex_numIdEEEvT5_PKS3_S5_NS_24const_host_device_scalarIT6_EEPKT4_S5_PKS7_SB_S5_SD_S8_SB_S5_SD_SB_S5_PS7_21rocsparse_index_base_SF_SF_SF_bbb.has_recursion, 0
	.set _ZN9rocsparseL41csrgemm_numeric_fill_block_per_row_kernelILj1024ELj64ELj32768ELj137ELj32Ell21rocsparse_complex_numIdEEEvT5_PKS3_S5_NS_24const_host_device_scalarIT6_EEPKT4_S5_PKS7_SB_S5_SD_S8_SB_S5_SD_SB_S5_PS7_21rocsparse_index_base_SF_SF_SF_bbb.has_indirect_call, 0
	.section	.AMDGPU.csdata,"",@progbits
; Kernel info:
; codeLenInByte = 4892
; TotalNumSgprs: 78
; NumVgprs: 38
; ScratchSize: 40
; MemoryBound: 0
; FloatMode: 240
; IeeeMode: 1
; LDSByteSize: 0 bytes/workgroup (compile time only)
; SGPRBlocks: 0
; VGPRBlocks: 2
; NumSGPRsForWavesPerEU: 78
; NumVGPRsForWavesPerEU: 38
; NamedBarCnt: 0
; Occupancy: 16
; WaveLimiterHint : 1
; COMPUTE_PGM_RSRC2:SCRATCH_EN: 1
; COMPUTE_PGM_RSRC2:USER_SGPR: 2
; COMPUTE_PGM_RSRC2:TRAP_HANDLER: 0
; COMPUTE_PGM_RSRC2:TGID_X_EN: 1
; COMPUTE_PGM_RSRC2:TGID_Y_EN: 0
; COMPUTE_PGM_RSRC2:TGID_Z_EN: 0
; COMPUTE_PGM_RSRC2:TIDIG_COMP_CNT: 0
	.section	.text._ZN9rocsparseL41csrgemm_numeric_fill_block_per_row_kernelILj1024ELj64ELj32768ELj137ELj64Ell21rocsparse_complex_numIdEEEvT5_PKS3_S5_NS_24const_host_device_scalarIT6_EEPKT4_S5_PKS7_SB_S5_SD_S8_SB_S5_SD_SB_S5_PS7_21rocsparse_index_base_SF_SF_SF_bbb,"axG",@progbits,_ZN9rocsparseL41csrgemm_numeric_fill_block_per_row_kernelILj1024ELj64ELj32768ELj137ELj64Ell21rocsparse_complex_numIdEEEvT5_PKS3_S5_NS_24const_host_device_scalarIT6_EEPKT4_S5_PKS7_SB_S5_SD_S8_SB_S5_SD_SB_S5_PS7_21rocsparse_index_base_SF_SF_SF_bbb,comdat
	.globl	_ZN9rocsparseL41csrgemm_numeric_fill_block_per_row_kernelILj1024ELj64ELj32768ELj137ELj64Ell21rocsparse_complex_numIdEEEvT5_PKS3_S5_NS_24const_host_device_scalarIT6_EEPKT4_S5_PKS7_SB_S5_SD_S8_SB_S5_SD_SB_S5_PS7_21rocsparse_index_base_SF_SF_SF_bbb ; -- Begin function _ZN9rocsparseL41csrgemm_numeric_fill_block_per_row_kernelILj1024ELj64ELj32768ELj137ELj64Ell21rocsparse_complex_numIdEEEvT5_PKS3_S5_NS_24const_host_device_scalarIT6_EEPKT4_S5_PKS7_SB_S5_SD_S8_SB_S5_SD_SB_S5_PS7_21rocsparse_index_base_SF_SF_SF_bbb
	.p2align	8
	.type	_ZN9rocsparseL41csrgemm_numeric_fill_block_per_row_kernelILj1024ELj64ELj32768ELj137ELj64Ell21rocsparse_complex_numIdEEEvT5_PKS3_S5_NS_24const_host_device_scalarIT6_EEPKT4_S5_PKS7_SB_S5_SD_S8_SB_S5_SD_SB_S5_PS7_21rocsparse_index_base_SF_SF_SF_bbb,@function
_ZN9rocsparseL41csrgemm_numeric_fill_block_per_row_kernelILj1024ELj64ELj32768ELj137ELj64Ell21rocsparse_complex_numIdEEEvT5_PKS3_S5_NS_24const_host_device_scalarIT6_EEPKT4_S5_PKS7_SB_S5_SD_S8_SB_S5_SD_SB_S5_PS7_21rocsparse_index_base_SF_SF_SF_bbb: ; @_ZN9rocsparseL41csrgemm_numeric_fill_block_per_row_kernelILj1024ELj64ELj32768ELj137ELj64Ell21rocsparse_complex_numIdEEEvT5_PKS3_S5_NS_24const_host_device_scalarIT6_EEPKT4_S5_PKS7_SB_S5_SD_S8_SB_S5_SD_SB_S5_PS7_21rocsparse_index_base_SF_SF_SF_bbb
; %bb.0:
	s_clause 0x3
	s_load_b32 s3, s[0:1], 0xa8
	s_load_b128 s[8:11], s[0:1], 0x18
	s_load_b128 s[4:7], s[0:1], 0x58
	;; [unrolled: 1-line block ×3, first 2 shown]
	v_mov_b64_e32 v[6:7], 0
	v_mov_b64_e32 v[12:13], 0
	;; [unrolled: 1-line block ×3, first 2 shown]
	v_mbcnt_lo_u32_b32 v38, -1, 0
	s_wait_kmcnt 0x0
	s_bitcmp1_b32 s3, 0
	v_mov_b64_e32 v[2:3], s[8:9]
	s_cselect_b32 s36, -1, 0
	s_bitcmp1_b32 s3, 16
	v_mov_b64_e32 v[4:5], s[4:5]
	s_cselect_b32 s2, -1, 0
	s_clause 0x1
	scratch_store_b64 off, v[2:3], off offset:16
	scratch_store_b64 off, v[4:5], off offset:24
	s_xor_b32 s12, s2, -1
	s_bitcmp0_b32 s3, 0
	v_cndmask_b32_e64 v1, 0, 1, s12
	s_delay_alu instid0(VALU_DEP_1)
	v_cmp_ne_u32_e32 vcc_lo, 1, v1
	s_cbranch_scc1 .LBB157_3
; %bb.1:
	s_wait_xcnt 0x1
	v_dual_mov_b32 v2, 16 :: v_dual_lshlrev_b32 v3, 20, v38
	v_mov_b64_e32 v[14:15], s[10:11]
	s_and_b32 vcc_lo, exec_lo, vcc_lo
	s_delay_alu instid0(VALU_DEP_2) | instskip(NEXT) | instid1(VALU_DEP_1)
	v_add_nc_u64_e32 v[2:3], src_flat_scratch_base_lo, v[2:3]
	v_cndmask_b32_e64 v3, s9, v3, s2
	s_delay_alu instid0(VALU_DEP_2)
	v_cndmask_b32_e64 v2, s8, v2, s2
	flat_load_b64 v[12:13], v[2:3]
	s_cbranch_vccnz .LBB157_3
; %bb.2:
	v_mov_b32_e32 v1, 0
	flat_load_b64 v[14:15], v1, s[8:9] offset:8
.LBB157_3:
	s_load_b64 s[34:35], s[0:1], 0x8
	v_mov_b64_e32 v[8:9], 0
	s_bitcmp1_b32 s3, 8
	s_cselect_b32 s33, -1, 0
	s_bfe_u32 s3, s3, 0x10008
	s_delay_alu instid0(SALU_CYCLE_1)
	s_cmp_eq_u32 s3, 0
	s_cbranch_scc1 .LBB157_6
; %bb.4:
	v_dual_mov_b32 v2, 24 :: v_dual_lshlrev_b32 v3, 20, v38
	v_mov_b64_e32 v[6:7], s[6:7]
	s_and_not1_b32 vcc_lo, exec_lo, s12
	s_delay_alu instid0(VALU_DEP_2) | instskip(NEXT) | instid1(VALU_DEP_1)
	v_add_nc_u64_e32 v[2:3], src_flat_scratch_base_lo, v[2:3]
	v_cndmask_b32_e64 v3, s5, v3, s2
	s_delay_alu instid0(VALU_DEP_2)
	v_cndmask_b32_e64 v2, s4, v2, s2
	flat_load_b64 v[8:9], v[2:3]
	s_cbranch_vccnz .LBB157_6
; %bb.5:
	v_mov_b32_e32 v1, 0
	flat_load_b64 v[6:7], v1, s[4:5] offset:8
.LBB157_6:
	s_clause 0x5
	s_load_b64 s[30:31], s[0:1], 0x0
	s_load_b64 s[2:3], s[0:1], 0x10
	;; [unrolled: 1-line block ×3, first 2 shown]
	s_load_b256 s[12:19], s[0:1], 0x68
	s_load_b128 s[24:27], s[0:1], 0x48
	s_load_b256 s[4:11], s[0:1], 0x28
	s_wait_xcnt 0x0
	s_mov_b32 s0, 0
	v_or_b32_e32 v36, 0xfffffc00, v0
	v_lshl_add_u32 v37, v0, 3, 0
	v_lshlrev_b32_e32 v39, 4, v0
	s_mov_b32 s1, s0
	s_mov_b32 s38, s0
	;; [unrolled: 1-line block ×3, first 2 shown]
	v_mov_b64_e32 v[2:3], s[0:1]
	v_mov_b64_e32 v[4:5], s[38:39]
	v_mov_b32_e32 v16, v37
	v_add3_u32 v1, v39, 0, 0x40008
	v_mov_b32_e32 v17, v36
	s_wait_kmcnt 0x0
	v_mov_b64_e32 v[10:11], s[30:31]
.LBB157_7:                              ; =>This Inner Loop Header: Depth=1
	s_delay_alu instid0(VALU_DEP_2)
	v_add_nc_u32_e32 v17, 0x400, v17
	ds_store_b64 v16, v[10:11]
	v_add_nc_u32_e32 v18, -8, v1
	v_add_nc_u32_e32 v1, 0x4000, v1
	v_add_nc_u32_e32 v16, 0x2000, v16
	v_cmp_lt_u32_e32 vcc_lo, 0x7bff, v17
	ds_store_2addr_b64 v18, v[2:3], v[4:5] offset1:1
	s_or_b32 s0, vcc_lo, s0
	s_delay_alu instid0(SALU_CYCLE_1)
	s_and_not1_b32 exec_lo, exec_lo, s0
	s_cbranch_execnz .LBB157_7
; %bb.8:
	s_or_b32 exec_lo, exec_lo, s0
	s_wait_storecnt 0x0
	s_wait_loadcnt_dscnt 0x0
	s_barrier_signal -1
	s_barrier_wait -1
	s_load_b64 s[0:1], s[34:35], 0x0
	s_wait_xcnt 0x0
	s_bfe_u32 s34, ttmp6, 0x4000c
	s_and_b32 s35, ttmp6, 15
	s_add_co_i32 s34, s34, 1
	s_getreg_b32 s37, hwreg(HW_REG_IB_STS2, 6, 4)
	s_mul_i32 s34, ttmp9, s34
	v_lshrrev_b32_e32 v10, 6, v0
	s_add_co_i32 s35, s35, s34
	s_wait_kmcnt 0x0
	s_lshl_b64 s[0:1], s[0:1], 3
	s_cmp_eq_u32 s37, 0
	s_add_nc_u64 s[0:1], s[2:3], s[0:1]
	s_cselect_b32 s2, ttmp9, s35
	s_and_b32 vcc_lo, exec_lo, s36
	s_load_b64 s[34:35], s[0:1], s2 offset:0x0 scale_offset
	s_wait_xcnt 0x0
	s_mov_b32 s1, 0
	s_cbranch_vccz .LBB157_28
; %bb.9:
	s_wait_kmcnt 0x0
	s_lshl_b64 s[2:3], s[34:35], 3
	v_mov_b32_e32 v11, 0
	s_add_nc_u64 s[2:3], s[4:5], s[2:3]
	s_mov_b32 s0, s20
	s_load_b128 s[36:39], s[2:3], 0x0
	s_mov_b32 s20, exec_lo
	v_sub_nc_u64_e64 v[2:3], v[10:11], s[0:1]
	s_wait_kmcnt 0x0
	s_delay_alu instid0(VALU_DEP_1)
	v_add_nc_u64_e32 v[16:17], s[36:37], v[2:3]
	s_sub_nc_u64 s[2:3], s[38:39], s[0:1]
	s_delay_alu instid0(VALU_DEP_1) | instid1(SALU_CYCLE_1)
	v_cmpx_gt_i64_e64 s[2:3], v[16:17]
	s_cbranch_execz .LBB157_27
; %bb.10:
	v_dual_mov_b32 v3, v11 :: v_dual_bitop2_b32 v2, 63, v0 bitop3:0x40
	s_mov_b32 s5, 0
	s_mov_b32 s4, s21
	;; [unrolled: 1-line block ×3, first 2 shown]
	s_delay_alu instid0(VALU_DEP_1)
	v_sub_nc_u64_e64 v[18:19], v[2:3], s[4:5]
	s_branch .LBB157_12
.LBB157_11:                             ;   in Loop: Header=BB157_12 Depth=1
	s_or_b32 exec_lo, exec_lo, s36
	v_add_nc_u64_e32 v[16:17], 16, v[16:17]
	s_delay_alu instid0(VALU_DEP_1) | instskip(SKIP_1) | instid1(SALU_CYCLE_1)
	v_cmp_le_i64_e32 vcc_lo, s[2:3], v[16:17]
	s_or_b32 s21, vcc_lo, s21
	s_and_not1_b32 exec_lo, exec_lo, s21
	s_cbranch_execz .LBB157_27
.LBB157_12:                             ; =>This Loop Header: Depth=1
                                        ;     Child Loop BB157_16 Depth 2
                                        ;       Child Loop BB157_19 Depth 3
	v_lshl_add_u64 v[2:3], v[16:17], 3, s[6:7]
	s_mov_b32 s36, exec_lo
	global_load_b64 v[2:3], v[2:3], off
	s_wait_loadcnt 0x0
	s_wait_xcnt 0x0
	v_sub_nc_u64_e64 v[2:3], v[2:3], s[0:1]
	s_delay_alu instid0(VALU_DEP_1)
	v_lshl_add_u64 v[2:3], v[2:3], 3, s[10:11]
	global_load_b128 v[2:5], v[2:3], off
	s_wait_loadcnt 0x0
	v_sub_nc_u64_e64 v[20:21], v[4:5], s[4:5]
	v_add_nc_u64_e32 v[22:23], v[2:3], v[18:19]
	s_wait_xcnt 0x0
	s_delay_alu instid0(VALU_DEP_1)
	v_cmpx_lt_i64_e64 v[22:23], v[20:21]
	s_cbranch_execz .LBB157_11
; %bb.13:                               ;   in Loop: Header=BB157_12 Depth=1
	v_lshl_add_u64 v[2:3], v[16:17], 4, s[8:9]
	s_mov_b32 s37, 0
	global_load_b128 v[2:5], v[2:3], off
	s_wait_loadcnt 0x0
	v_mul_f64_e64 v[24:25], v[4:5], -v[14:15]
	v_mul_f64_e32 v[26:27], v[12:13], v[4:5]
	s_delay_alu instid0(VALU_DEP_2) | instskip(NEXT) | instid1(VALU_DEP_2)
	v_fmac_f64_e32 v[24:25], v[12:13], v[2:3]
	v_fmac_f64_e32 v[26:27], v[14:15], v[2:3]
	s_branch .LBB157_16
.LBB157_14:                             ;   in Loop: Header=BB157_16 Depth=2
	s_or_b32 exec_lo, exec_lo, s39
.LBB157_15:                             ;   in Loop: Header=BB157_16 Depth=2
	s_delay_alu instid0(SALU_CYCLE_1) | instskip(SKIP_4) | instid1(VALU_DEP_3)
	s_or_b32 exec_lo, exec_lo, s38
	s_wait_loadcnt 0x0
	v_dual_mul_f64 v[30:31], v[4:5], -v[26:27] :: v_dual_lshlrev_b32 v1, 4, v28
	v_mul_f64_e32 v[4:5], v[24:25], v[4:5]
	v_add_nc_u64_e32 v[22:23], 64, v[22:23]
	v_add3_u32 v1, 0, v1, 0x40000
	s_delay_alu instid0(VALU_DEP_2)
	v_cmp_ge_i64_e32 vcc_lo, v[22:23], v[20:21]
	s_or_b32 s37, vcc_lo, s37
	v_fmac_f64_e32 v[30:31], v[24:25], v[2:3]
	v_fmac_f64_e32 v[4:5], v[26:27], v[2:3]
	ds_add_f64 v1, v[30:31]
	ds_add_f64 v1, v[4:5] offset:8
	s_and_not1_b32 exec_lo, exec_lo, s37
	s_cbranch_execz .LBB157_11
.LBB157_16:                             ;   Parent Loop BB157_12 Depth=1
                                        ; =>  This Loop Header: Depth=2
                                        ;       Child Loop BB157_19 Depth 3
	s_wait_xcnt 0x0
	v_lshl_add_u64 v[2:3], v[22:23], 3, s[24:25]
	s_mov_b32 s38, exec_lo
	global_load_b64 v[28:29], v[2:3], off
	s_wait_xcnt 0x0
	v_lshl_add_u64 v[2:3], v[22:23], 4, s[26:27]
	global_load_b128 v[2:5], v[2:3], off
	s_wait_loadcnt 0x1
	v_sub_nc_u64_e64 v[30:31], v[28:29], s[4:5]
	s_delay_alu instid0(VALU_DEP_1) | instskip(NEXT) | instid1(VALU_DEP_1)
	v_mul_lo_u32 v1, 0x89, v30
	v_and_b32_e32 v28, 0x7fff, v1
	s_delay_alu instid0(VALU_DEP_1)
	v_lshl_add_u32 v1, v28, 3, 0
	ds_load_b64 v[34:35], v1
	s_wait_dscnt 0x0
	s_wait_xcnt 0x0
	v_cmpx_ne_u64_e64 v[34:35], v[30:31]
	s_cbranch_execz .LBB157_15
; %bb.17:                               ;   in Loop: Header=BB157_16 Depth=2
	s_mov_b32 s39, 0
                                        ; implicit-def: $sgpr40
                                        ; implicit-def: $sgpr41
	s_branch .LBB157_19
.LBB157_18:                             ;   in Loop: Header=BB157_19 Depth=3
	s_or_b32 exec_lo, exec_lo, s44
	s_delay_alu instid0(SALU_CYCLE_1) | instskip(NEXT) | instid1(SALU_CYCLE_1)
	s_and_b32 s42, exec_lo, s43
	s_or_b32 s39, s42, s39
	s_and_not1_b32 s40, s40, exec_lo
	s_and_b32 s42, s41, exec_lo
	s_delay_alu instid0(SALU_CYCLE_1)
	s_or_b32 s40, s40, s42
	s_and_not1_b32 exec_lo, exec_lo, s39
	s_cbranch_execz .LBB157_25
.LBB157_19:                             ;   Parent Loop BB157_12 Depth=1
                                        ;     Parent Loop BB157_16 Depth=2
                                        ; =>    This Inner Loop Header: Depth=3
	v_mov_b64_e32 v[32:33], v[28:29]
	s_mov_b32 s42, 0
	s_mov_b32 s43, exec_lo
                                        ; implicit-def: $vgpr28_vgpr29
	v_cmpx_ne_u64_e64 s[30:31], v[34:35]
	s_xor_b32 s43, exec_lo, s43
; %bb.20:                               ;   in Loop: Header=BB157_19 Depth=3
	s_delay_alu instid0(VALU_DEP_2) | instskip(SKIP_1) | instid1(VALU_DEP_1)
	v_add_nc_u32_e32 v1, 1, v32
	s_mov_b32 s42, exec_lo
	v_and_b32_e32 v28, 0x7fff, v1
                                        ; implicit-def: $vgpr1
; %bb.21:                               ;   in Loop: Header=BB157_19 Depth=3
	s_and_not1_saveexec_b32 s43, s43
	s_cbranch_execz .LBB157_23
; %bb.22:                               ;   in Loop: Header=BB157_19 Depth=3
	v_mov_b64_e32 v[28:29], s[30:31]
	s_and_not1_b32 s42, s42, exec_lo
	ds_cmpstore_rtn_b64 v[28:29], v1, v[30:31], v[28:29]
	s_wait_dscnt 0x0
	v_cmp_ne_u64_e32 vcc_lo, s[30:31], v[28:29]
	v_mov_b64_e32 v[28:29], v[32:33]
	s_and_b32 s44, vcc_lo, exec_lo
	s_delay_alu instid0(SALU_CYCLE_1)
	s_or_b32 s42, s42, s44
.LBB157_23:                             ;   in Loop: Header=BB157_19 Depth=3
	s_or_b32 exec_lo, exec_lo, s43
	s_mov_b32 s43, -1
	s_or_b32 s41, s41, exec_lo
                                        ; implicit-def: $vgpr1
                                        ; implicit-def: $vgpr34_vgpr35
	s_and_saveexec_b32 s44, s42
	s_cbranch_execz .LBB157_18
; %bb.24:                               ;   in Loop: Header=BB157_19 Depth=3
	v_lshl_add_u32 v1, v28, 3, 0
	s_and_not1_b32 s41, s41, exec_lo
	ds_load_b64 v[34:35], v1
	s_wait_dscnt 0x0
	v_cmp_eq_u64_e32 vcc_lo, v[34:35], v[30:31]
	s_or_not1_b32 s43, vcc_lo, exec_lo
	s_branch .LBB157_18
.LBB157_25:                             ;   in Loop: Header=BB157_16 Depth=2
	s_or_b32 exec_lo, exec_lo, s39
	s_and_saveexec_b32 s39, s40
	s_delay_alu instid0(SALU_CYCLE_1)
	s_xor_b32 s39, exec_lo, s39
	s_cbranch_execz .LBB157_14
; %bb.26:                               ;   in Loop: Header=BB157_16 Depth=2
	v_mov_b32_e32 v28, v32
	s_branch .LBB157_14
.LBB157_27:
	s_or_b32 exec_lo, exec_lo, s20
.LBB157_28:
	s_delay_alu instid0(SALU_CYCLE_1)
	s_and_not1_b32 vcc_lo, exec_lo, s33
	s_cbranch_vccnz .LBB157_45
; %bb.29:
	s_wait_kmcnt 0x0
	s_lshl_b64 s[0:1], s[34:35], 3
	v_mov_b32_e32 v1, 0
	s_add_nc_u64 s[0:1], s[12:13], s[0:1]
	s_load_b128 s[4:7], s[0:1], 0x0
	s_wait_xcnt 0x0
	s_mov_b32 s1, 0
	s_mov_b32 s0, s23
	s_delay_alu instid0(SALU_CYCLE_1) | instskip(SKIP_1) | instid1(VALU_DEP_1)
	v_sub_nc_u64_e64 v[2:3], v[0:1], s[0:1]
	s_wait_kmcnt 0x0
	v_add_nc_u64_e32 v[12:13], s[4:5], v[2:3]
	s_sub_nc_u64 s[2:3], s[6:7], s[0:1]
	s_mov_b32 s4, exec_lo
	s_delay_alu instid0(VALU_DEP_1)
	v_cmpx_gt_i64_e64 s[2:3], v[12:13]
	s_cbranch_execz .LBB157_44
; %bb.30:
	s_mov_b32 s5, s1
	s_branch .LBB157_33
.LBB157_31:                             ;   in Loop: Header=BB157_33 Depth=1
	s_or_b32 exec_lo, exec_lo, s7
.LBB157_32:                             ;   in Loop: Header=BB157_33 Depth=1
	s_delay_alu instid0(SALU_CYCLE_1) | instskip(SKIP_4) | instid1(VALU_DEP_2)
	s_or_b32 exec_lo, exec_lo, s6
	s_wait_loadcnt 0x0
	v_mul_f64_e64 v[16:17], v[4:5], -v[6:7]
	v_dual_mul_f64 v[4:5], v[8:9], v[4:5] :: v_dual_lshlrev_b32 v1, 4, v14
	v_add_nc_u64_e32 v[12:13], 0x400, v[12:13]
	v_add3_u32 v1, 0, v1, 0x40000
	s_delay_alu instid0(VALU_DEP_2)
	v_cmp_le_i64_e32 vcc_lo, s[2:3], v[12:13]
	s_or_b32 s5, vcc_lo, s5
	v_fmac_f64_e32 v[16:17], v[8:9], v[2:3]
	v_fmac_f64_e32 v[4:5], v[6:7], v[2:3]
	ds_add_f64 v1, v[16:17]
	ds_add_f64 v1, v[4:5] offset:8
	s_and_not1_b32 exec_lo, exec_lo, s5
	s_cbranch_execz .LBB157_44
.LBB157_33:                             ; =>This Loop Header: Depth=1
                                        ;     Child Loop BB157_36 Depth 2
	v_lshl_add_u64 v[2:3], v[12:13], 3, s[14:15]
	s_mov_b32 s6, exec_lo
	global_load_b64 v[14:15], v[2:3], off
	s_wait_xcnt 0x0
	v_lshl_add_u64 v[2:3], v[12:13], 4, s[16:17]
	global_load_b128 v[2:5], v[2:3], off
	s_wait_loadcnt 0x1
	v_sub_nc_u64_e64 v[16:17], v[14:15], s[0:1]
	s_delay_alu instid0(VALU_DEP_1) | instskip(NEXT) | instid1(VALU_DEP_1)
	v_mul_lo_u32 v1, 0x89, v16
	v_and_b32_e32 v14, 0x7fff, v1
	s_delay_alu instid0(VALU_DEP_1)
	v_lshl_add_u32 v1, v14, 3, 0
	ds_load_b64 v[20:21], v1
	s_wait_dscnt 0x0
	s_wait_xcnt 0x0
	v_cmpx_ne_u64_e64 v[20:21], v[16:17]
	s_cbranch_execz .LBB157_32
; %bb.34:                               ;   in Loop: Header=BB157_33 Depth=1
	s_mov_b32 s7, 0
                                        ; implicit-def: $sgpr8
                                        ; implicit-def: $sgpr9
	s_branch .LBB157_36
.LBB157_35:                             ;   in Loop: Header=BB157_36 Depth=2
	s_or_b32 exec_lo, exec_lo, s12
	s_delay_alu instid0(SALU_CYCLE_1) | instskip(NEXT) | instid1(SALU_CYCLE_1)
	s_and_b32 s10, exec_lo, s11
	s_or_b32 s7, s10, s7
	s_and_not1_b32 s8, s8, exec_lo
	s_and_b32 s10, s9, exec_lo
	s_delay_alu instid0(SALU_CYCLE_1)
	s_or_b32 s8, s8, s10
	s_and_not1_b32 exec_lo, exec_lo, s7
	s_cbranch_execz .LBB157_42
.LBB157_36:                             ;   Parent Loop BB157_33 Depth=1
                                        ; =>  This Inner Loop Header: Depth=2
	v_mov_b64_e32 v[18:19], v[14:15]
	s_mov_b32 s10, 0
	s_mov_b32 s11, exec_lo
                                        ; implicit-def: $vgpr14_vgpr15
	v_cmpx_ne_u64_e64 s[30:31], v[20:21]
	s_xor_b32 s11, exec_lo, s11
; %bb.37:                               ;   in Loop: Header=BB157_36 Depth=2
	s_delay_alu instid0(VALU_DEP_2) | instskip(SKIP_1) | instid1(VALU_DEP_1)
	v_add_nc_u32_e32 v1, 1, v18
	s_mov_b32 s10, exec_lo
	v_and_b32_e32 v14, 0x7fff, v1
                                        ; implicit-def: $vgpr1
; %bb.38:                               ;   in Loop: Header=BB157_36 Depth=2
	s_and_not1_saveexec_b32 s11, s11
	s_cbranch_execz .LBB157_40
; %bb.39:                               ;   in Loop: Header=BB157_36 Depth=2
	v_mov_b64_e32 v[14:15], s[30:31]
	s_and_not1_b32 s10, s10, exec_lo
	ds_cmpstore_rtn_b64 v[14:15], v1, v[16:17], v[14:15]
	s_wait_dscnt 0x0
	v_cmp_ne_u64_e32 vcc_lo, s[30:31], v[14:15]
	v_mov_b64_e32 v[14:15], v[18:19]
	s_and_b32 s12, vcc_lo, exec_lo
	s_delay_alu instid0(SALU_CYCLE_1)
	s_or_b32 s10, s10, s12
.LBB157_40:                             ;   in Loop: Header=BB157_36 Depth=2
	s_or_b32 exec_lo, exec_lo, s11
	s_mov_b32 s11, -1
	s_or_b32 s9, s9, exec_lo
                                        ; implicit-def: $vgpr1
                                        ; implicit-def: $vgpr20_vgpr21
	s_and_saveexec_b32 s12, s10
	s_cbranch_execz .LBB157_35
; %bb.41:                               ;   in Loop: Header=BB157_36 Depth=2
	v_lshl_add_u32 v1, v14, 3, 0
	s_and_not1_b32 s9, s9, exec_lo
	ds_load_b64 v[20:21], v1
	s_wait_dscnt 0x0
	v_cmp_eq_u64_e32 vcc_lo, v[20:21], v[16:17]
	s_or_not1_b32 s11, vcc_lo, exec_lo
	s_branch .LBB157_35
.LBB157_42:                             ;   in Loop: Header=BB157_33 Depth=1
	s_or_b32 exec_lo, exec_lo, s7
	s_and_saveexec_b32 s7, s8
	s_delay_alu instid0(SALU_CYCLE_1)
	s_xor_b32 s7, exec_lo, s7
	s_cbranch_execz .LBB157_31
; %bb.43:                               ;   in Loop: Header=BB157_33 Depth=1
	v_mov_b32_e32 v14, v18
	s_branch .LBB157_31
.LBB157_44:
	s_or_b32 exec_lo, exec_lo, s4
.LBB157_45:
	v_dual_mov_b32 v5, 0 :: v_dual_bitop2_b32 v1, 31, v38 bitop3:0x14
	s_add_co_i32 s38, 0, 0xc0078
	s_delay_alu instid0(SALU_CYCLE_1) | instskip(SKIP_1) | instid1(VALU_DEP_3)
	v_dual_mov_b32 v12, s38 :: v_dual_lshlrev_b32 v3, 3, v10
	v_mov_b64_e32 v[6:7], 0
	v_lshrrev_b32_e64 v2, v1, -1
	v_cmp_lt_u32_e64 s0, 63, v0
	s_delay_alu instid0(VALU_DEP_4)
	v_add3_u32 v1, 0xc0000, 0, v3
	v_cmp_lt_u32_e64 s1, 0x7f, v0
	v_cmp_lt_u32_e64 s2, 0xbf, v0
	;; [unrolled: 1-line block ×14, first 2 shown]
	v_add3_u32 v3, v39, 0, 0x40000
	s_mov_b32 s16, 0
	s_add_co_i32 s17, 0, 0xc0000
	s_add_co_i32 s20, 0, 0xc0008
	;; [unrolled: 1-line block ×15, first 2 shown]
	s_wait_dscnt 0x0
	s_barrier_signal -1
	s_barrier_wait -1
	v_cmp_eq_u32_e32 vcc_lo, 0x3ff, v0
	s_branch .LBB157_47
.LBB157_46:                             ;   in Loop: Header=BB157_47 Depth=1
	s_or_b32 exec_lo, exec_lo, s15
	s_wait_dscnt 0x0
	s_barrier_signal -1
	s_barrier_wait -1
	ds_load_b64 v[8:9], v12
	v_add_nc_u32_e32 v36, 0x400, v36
	v_add_nc_u32_e32 v3, 0x4000, v3
	;; [unrolled: 1-line block ×3, first 2 shown]
	s_delay_alu instid0(VALU_DEP_3)
	v_cmp_lt_u32_e64 s15, 0x7bff, v36
	s_or_b32 s16, s15, s16
	s_wait_dscnt 0x0
	v_add_nc_u64_e32 v[6:7], v[8:9], v[6:7]
	s_and_not1_b32 exec_lo, exec_lo, s16
	s_cbranch_execz .LBB157_81
.LBB157_47:                             ; =>This Inner Loop Header: Depth=1
	ds_load_b64 v[8:9], v37
	ds_load_2addr_b64 v[14:17], v3 offset1:1
	s_wait_dscnt 0x1
	v_cmp_gt_i64_e64 s15, s[30:31], v[8:9]
	s_wait_dscnt 0x0
	scratch_store_b128 off, v[14:17], off
	s_wait_storecnt 0x0
	s_barrier_signal -1
	s_barrier_wait -1
	s_bcnt1_i32_b32 s43, s15
	s_delay_alu instid0(SALU_CYCLE_1) | instskip(NEXT) | instid1(VALU_DEP_1)
	v_dual_mov_b32 v4, s43 :: v_dual_bitop2_b32 v10, s15, v2 bitop3:0x40
	v_bcnt_u32_b32 v10, v10, 0
	ds_store_b64 v1, v[4:5]
	s_wait_dscnt 0x0
	s_barrier_signal -1
	s_barrier_wait -1
	s_wait_xcnt 0x0
	s_and_saveexec_b32 s43, s0
	s_cbranch_execnz .LBB157_64
; %bb.48:                               ;   in Loop: Header=BB157_47 Depth=1
	s_or_b32 exec_lo, exec_lo, s43
	s_and_saveexec_b32 s43, s1
	s_cbranch_execnz .LBB157_65
.LBB157_49:                             ;   in Loop: Header=BB157_47 Depth=1
	s_or_b32 exec_lo, exec_lo, s43
	s_and_saveexec_b32 s43, s2
	s_cbranch_execnz .LBB157_66
.LBB157_50:                             ;   in Loop: Header=BB157_47 Depth=1
	s_or_b32 exec_lo, exec_lo, s43
	s_and_saveexec_b32 s43, s3
	s_cbranch_execnz .LBB157_67
.LBB157_51:                             ;   in Loop: Header=BB157_47 Depth=1
	s_or_b32 exec_lo, exec_lo, s43
	s_and_saveexec_b32 s43, s4
	s_cbranch_execnz .LBB157_68
.LBB157_52:                             ;   in Loop: Header=BB157_47 Depth=1
	s_or_b32 exec_lo, exec_lo, s43
	s_and_saveexec_b32 s43, s5
	s_cbranch_execnz .LBB157_69
.LBB157_53:                             ;   in Loop: Header=BB157_47 Depth=1
	s_or_b32 exec_lo, exec_lo, s43
	s_and_saveexec_b32 s43, s6
	s_cbranch_execnz .LBB157_70
.LBB157_54:                             ;   in Loop: Header=BB157_47 Depth=1
	s_or_b32 exec_lo, exec_lo, s43
	s_and_saveexec_b32 s43, s7
	s_cbranch_execnz .LBB157_71
.LBB157_55:                             ;   in Loop: Header=BB157_47 Depth=1
	s_or_b32 exec_lo, exec_lo, s43
	s_and_saveexec_b32 s43, s8
	s_cbranch_execnz .LBB157_72
.LBB157_56:                             ;   in Loop: Header=BB157_47 Depth=1
	s_or_b32 exec_lo, exec_lo, s43
	s_and_saveexec_b32 s43, s9
	s_cbranch_execnz .LBB157_73
.LBB157_57:                             ;   in Loop: Header=BB157_47 Depth=1
	s_or_b32 exec_lo, exec_lo, s43
	s_and_saveexec_b32 s43, s10
	s_cbranch_execnz .LBB157_74
.LBB157_58:                             ;   in Loop: Header=BB157_47 Depth=1
	s_or_b32 exec_lo, exec_lo, s43
	s_and_saveexec_b32 s43, s11
	s_cbranch_execnz .LBB157_75
.LBB157_59:                             ;   in Loop: Header=BB157_47 Depth=1
	s_or_b32 exec_lo, exec_lo, s43
	s_and_saveexec_b32 s43, s12
	s_cbranch_execnz .LBB157_76
.LBB157_60:                             ;   in Loop: Header=BB157_47 Depth=1
	s_or_b32 exec_lo, exec_lo, s43
	s_and_saveexec_b32 s43, s13
	s_cbranch_execnz .LBB157_77
.LBB157_61:                             ;   in Loop: Header=BB157_47 Depth=1
	s_or_b32 exec_lo, exec_lo, s43
	s_and_saveexec_b32 s43, s14
	s_cbranch_execnz .LBB157_78
.LBB157_62:                             ;   in Loop: Header=BB157_47 Depth=1
	s_or_b32 exec_lo, exec_lo, s43
	v_ashrrev_i32_e32 v11, 31, v10
	s_and_saveexec_b32 s43, s15
	s_cbranch_execnz .LBB157_79
.LBB157_63:                             ;   in Loop: Header=BB157_47 Depth=1
	s_or_b32 exec_lo, exec_lo, s43
	s_and_saveexec_b32 s15, vcc_lo
	s_cbranch_execz .LBB157_46
	s_branch .LBB157_80
.LBB157_64:                             ;   in Loop: Header=BB157_47 Depth=1
	v_mov_b32_e32 v4, s17
	ds_load_b32 v4, v4
	s_wait_dscnt 0x0
	v_add_nc_u32_e32 v10, v4, v10
	s_or_b32 exec_lo, exec_lo, s43
	s_and_saveexec_b32 s43, s1
	s_cbranch_execz .LBB157_49
.LBB157_65:                             ;   in Loop: Header=BB157_47 Depth=1
	v_mov_b32_e32 v4, s20
	ds_load_b32 v4, v4
	s_wait_dscnt 0x0
	v_add_nc_u32_e32 v10, v10, v4
	s_or_b32 exec_lo, exec_lo, s43
	s_and_saveexec_b32 s43, s2
	s_cbranch_execz .LBB157_50
.LBB157_66:                             ;   in Loop: Header=BB157_47 Depth=1
	v_mov_b32_e32 v4, s21
	ds_load_b32 v4, v4
	s_wait_dscnt 0x0
	v_add_nc_u32_e32 v10, v10, v4
	s_or_b32 exec_lo, exec_lo, s43
	s_and_saveexec_b32 s43, s3
	s_cbranch_execz .LBB157_51
.LBB157_67:                             ;   in Loop: Header=BB157_47 Depth=1
	v_mov_b32_e32 v4, s23
	ds_load_b32 v4, v4
	s_wait_dscnt 0x0
	v_add_nc_u32_e32 v10, v10, v4
	s_or_b32 exec_lo, exec_lo, s43
	s_and_saveexec_b32 s43, s4
	s_cbranch_execz .LBB157_52
.LBB157_68:                             ;   in Loop: Header=BB157_47 Depth=1
	v_mov_b32_e32 v4, s24
	ds_load_b32 v4, v4
	s_wait_dscnt 0x0
	v_add_nc_u32_e32 v10, v10, v4
	s_or_b32 exec_lo, exec_lo, s43
	s_and_saveexec_b32 s43, s5
	s_cbranch_execz .LBB157_53
.LBB157_69:                             ;   in Loop: Header=BB157_47 Depth=1
	v_mov_b32_e32 v4, s25
	ds_load_b32 v4, v4
	s_wait_dscnt 0x0
	v_add_nc_u32_e32 v10, v10, v4
	s_or_b32 exec_lo, exec_lo, s43
	s_and_saveexec_b32 s43, s6
	s_cbranch_execz .LBB157_54
.LBB157_70:                             ;   in Loop: Header=BB157_47 Depth=1
	v_mov_b32_e32 v4, s26
	ds_load_b32 v4, v4
	s_wait_dscnt 0x0
	v_add_nc_u32_e32 v10, v10, v4
	s_or_b32 exec_lo, exec_lo, s43
	s_and_saveexec_b32 s43, s7
	s_cbranch_execz .LBB157_55
.LBB157_71:                             ;   in Loop: Header=BB157_47 Depth=1
	v_mov_b32_e32 v4, s27
	ds_load_b32 v4, v4
	s_wait_dscnt 0x0
	v_add_nc_u32_e32 v10, v10, v4
	s_or_b32 exec_lo, exec_lo, s43
	s_and_saveexec_b32 s43, s8
	s_cbranch_execz .LBB157_56
.LBB157_72:                             ;   in Loop: Header=BB157_47 Depth=1
	v_mov_b32_e32 v4, s33
	ds_load_b32 v4, v4
	s_wait_dscnt 0x0
	v_add_nc_u32_e32 v10, v10, v4
	s_or_b32 exec_lo, exec_lo, s43
	s_and_saveexec_b32 s43, s9
	s_cbranch_execz .LBB157_57
.LBB157_73:                             ;   in Loop: Header=BB157_47 Depth=1
	v_mov_b32_e32 v4, s36
	ds_load_b32 v4, v4
	s_wait_dscnt 0x0
	v_add_nc_u32_e32 v10, v10, v4
	s_or_b32 exec_lo, exec_lo, s43
	s_and_saveexec_b32 s43, s10
	s_cbranch_execz .LBB157_58
.LBB157_74:                             ;   in Loop: Header=BB157_47 Depth=1
	v_mov_b32_e32 v4, s37
	ds_load_b32 v4, v4
	s_wait_dscnt 0x0
	v_add_nc_u32_e32 v10, v10, v4
	s_or_b32 exec_lo, exec_lo, s43
	s_and_saveexec_b32 s43, s11
	s_cbranch_execz .LBB157_59
.LBB157_75:                             ;   in Loop: Header=BB157_47 Depth=1
	v_mov_b32_e32 v4, s39
	ds_load_b32 v4, v4
	s_wait_dscnt 0x0
	v_add_nc_u32_e32 v10, v10, v4
	s_or_b32 exec_lo, exec_lo, s43
	s_and_saveexec_b32 s43, s12
	s_cbranch_execz .LBB157_60
.LBB157_76:                             ;   in Loop: Header=BB157_47 Depth=1
	v_mov_b32_e32 v4, s40
	ds_load_b32 v4, v4
	s_wait_dscnt 0x0
	v_add_nc_u32_e32 v10, v10, v4
	s_or_b32 exec_lo, exec_lo, s43
	s_and_saveexec_b32 s43, s13
	s_cbranch_execz .LBB157_61
.LBB157_77:                             ;   in Loop: Header=BB157_47 Depth=1
	v_mov_b32_e32 v4, s41
	ds_load_b32 v4, v4
	s_wait_dscnt 0x0
	v_add_nc_u32_e32 v10, v10, v4
	s_or_b32 exec_lo, exec_lo, s43
	s_and_saveexec_b32 s43, s14
	s_cbranch_execz .LBB157_62
.LBB157_78:                             ;   in Loop: Header=BB157_47 Depth=1
	v_mov_b32_e32 v4, s42
	ds_load_b32 v4, v4
	s_wait_dscnt 0x0
	v_add_nc_u32_e32 v10, v10, v4
	s_or_b32 exec_lo, exec_lo, s43
	s_delay_alu instid0(VALU_DEP_1)
	v_ashrrev_i32_e32 v11, 31, v10
	s_and_saveexec_b32 s43, s15
	s_cbranch_execz .LBB157_63
.LBB157_79:                             ;   in Loop: Header=BB157_47 Depth=1
	scratch_load_b128 v[14:17], off, off
	v_add3_u32 v4, v6, -1, v10
	s_delay_alu instid0(VALU_DEP_1) | instskip(SKIP_1) | instid1(VALU_DEP_2)
	v_lshlrev_b32_e32 v13, 4, v4
	v_lshl_add_u32 v4, v4, 3, 0
	v_add3_u32 v13, 0, v13, 0x40000
	ds_store_b64 v4, v[8:9]
	s_wait_loadcnt 0x0
	ds_store_2addr_b64 v13, v[14:15], v[16:17] offset1:1
	s_or_b32 exec_lo, exec_lo, s43
	s_and_saveexec_b32 s15, vcc_lo
	s_cbranch_execz .LBB157_46
.LBB157_80:                             ;   in Loop: Header=BB157_47 Depth=1
	v_mov_b32_e32 v4, s38
	ds_store_b64 v4, v[10:11]
	s_branch .LBB157_46
.LBB157_81:
	s_or_b32 exec_lo, exec_lo, s16
	s_wait_kmcnt 0x0
	s_lshl_b64 s[0:1], s[34:35], 3
	v_mov_b32_e32 v1, 0
	s_add_nc_u64 s[4:5], s[18:19], s[0:1]
	s_mov_b32 s6, exec_lo
	s_load_b128 s[0:3], s[4:5], 0x0
	s_wait_kmcnt 0x0
	s_sub_nc_u64 s[4:5], s[2:3], s[0:1]
	s_delay_alu instid0(SALU_CYCLE_1)
	v_cmpx_gt_i64_e64 s[4:5], v[0:1]
	s_cbranch_execz .LBB157_91
; %bb.82:
	s_sub_nc_u64 s[8:9], s[0:1], s[2:3]
	s_and_b64 s[6:7], s[4:5], 7
	v_cmp_lt_u64_e64 s10, s[8:9], -7
	s_and_b64 s[2:3], s[4:5], -8
	s_mov_b32 s23, 0
	s_cmp_lg_u64 s[6:7], 0
	s_sub_nc_u64 s[0:1], s[0:1], s[22:23]
	s_cselect_b32 s11, -1, 0
	s_mov_b32 s12, 0
	s_branch .LBB157_84
.LBB157_83:                             ;   in Loop: Header=BB157_84 Depth=1
	s_wait_dscnt 0x0
	v_lshlrev_b32_e32 v2, 4, v0
	v_add_nc_u64_e32 v[0:1], 0x400, v[0:1]
	s_delay_alu instid0(VALU_DEP_2) | instskip(NEXT) | instid1(VALU_DEP_2)
	v_add3_u32 v2, 0, v2, 0x40000
	v_cmp_le_i64_e32 vcc_lo, s[4:5], v[0:1]
	ds_load_2addr_b64 v[6:9], v2 offset1:1
	v_lshl_add_u64 v[2:3], v[4:5], 4, s[28:29]
	s_or_b32 s12, vcc_lo, s12
	s_wait_dscnt 0x0
	global_store_b128 v[2:3], v[6:9], off
	s_wait_xcnt 0x0
	s_and_not1_b32 exec_lo, exec_lo, s12
	s_cbranch_execz .LBB157_91
.LBB157_84:                             ; =>This Loop Header: Depth=1
                                        ;     Child Loop BB157_86 Depth 2
                                        ;     Child Loop BB157_90 Depth 2
	v_lshl_add_u32 v2, v0, 3, 0
	v_mov_b64_e32 v[4:5], s[0:1]
	s_and_not1_b32 vcc_lo, exec_lo, s10
	s_mov_b64 s[8:9], 0
	ds_load_b64 v[2:3], v2
	s_cbranch_vccnz .LBB157_88
; %bb.85:                               ;   in Loop: Header=BB157_84 Depth=1
	v_mov_b64_e32 v[4:5], s[0:1]
	s_mov_b32 s13, 0
.LBB157_86:                             ;   Parent Loop BB157_84 Depth=1
                                        ; =>  This Inner Loop Header: Depth=2
	s_delay_alu instid0(SALU_CYCLE_1)
	v_dual_mov_b32 v18, s13 :: v_dual_mov_b32 v15, s23
	v_mov_b32_e32 v17, s23
	s_add_nc_u64 s[8:9], s[8:9], 8
	s_add_co_i32 s13, s13, 64
	ds_load_2addr_b64 v[6:9], v18 offset1:1
	ds_load_2addr_b64 v[10:13], v18 offset0:2 offset1:3
	s_cmp_eq_u64 s[2:3], s[8:9]
	s_wait_dscnt 0x1
	v_cmp_gt_i64_e32 vcc_lo, v[2:3], v[6:7]
	v_cndmask_b32_e64 v14, 0, 1, vcc_lo
	v_cmp_gt_i64_e32 vcc_lo, v[2:3], v[8:9]
	s_delay_alu instid0(VALU_DEP_2) | instskip(SKIP_4) | instid1(VALU_DEP_2)
	v_add_nc_u64_e32 v[8:9], v[4:5], v[14:15]
	ds_load_2addr_b64 v[4:7], v18 offset0:4 offset1:5
	v_cndmask_b32_e64 v16, 0, 1, vcc_lo
	s_wait_dscnt 0x1
	v_cmp_gt_i64_e32 vcc_lo, v[2:3], v[10:11]
	v_add_nc_u64_e32 v[8:9], v[8:9], v[16:17]
	v_cndmask_b32_e64 v14, 0, 1, vcc_lo
	v_cmp_gt_i64_e32 vcc_lo, v[2:3], v[12:13]
	s_delay_alu instid0(VALU_DEP_2)
	v_add_nc_u64_e32 v[12:13], v[8:9], v[14:15]
	ds_load_2addr_b64 v[8:11], v18 offset0:6 offset1:7
	v_cndmask_b32_e64 v16, 0, 1, vcc_lo
	s_wait_dscnt 0x1
	v_cmp_gt_i64_e32 vcc_lo, v[2:3], v[4:5]
	v_mov_b32_e32 v5, s23
	s_delay_alu instid0(VALU_DEP_3) | instskip(SKIP_3) | instid1(VALU_DEP_3)
	v_add_nc_u64_e32 v[12:13], v[12:13], v[16:17]
	v_cndmask_b32_e64 v14, 0, 1, vcc_lo
	v_cmp_gt_i64_e32 vcc_lo, v[2:3], v[6:7]
	v_mov_b32_e32 v7, s23
	v_add_nc_u64_e32 v[12:13], v[12:13], v[14:15]
	v_cndmask_b32_e64 v4, 0, 1, vcc_lo
	s_wait_dscnt 0x0
	v_cmp_gt_i64_e32 vcc_lo, v[2:3], v[8:9]
	v_mov_b32_e32 v9, s23
	s_delay_alu instid0(VALU_DEP_3) | instskip(SKIP_2) | instid1(VALU_DEP_2)
	v_add_nc_u64_e32 v[4:5], v[12:13], v[4:5]
	v_cndmask_b32_e64 v6, 0, 1, vcc_lo
	v_cmp_gt_i64_e32 vcc_lo, v[2:3], v[10:11]
	v_add_nc_u64_e32 v[4:5], v[4:5], v[6:7]
	v_cndmask_b32_e64 v8, 0, 1, vcc_lo
	s_delay_alu instid0(VALU_DEP_1)
	v_add_nc_u64_e32 v[4:5], v[4:5], v[8:9]
	s_cbranch_scc0 .LBB157_86
; %bb.87:                               ;   in Loop: Header=BB157_84 Depth=1
	s_mov_b64 s[8:9], s[2:3]
.LBB157_88:                             ;   in Loop: Header=BB157_84 Depth=1
	s_and_not1_b32 vcc_lo, exec_lo, s11
	s_cbranch_vccnz .LBB157_83
; %bb.89:                               ;   in Loop: Header=BB157_84 Depth=1
	s_lshl_b32 s8, s8, 3
	s_delay_alu instid0(SALU_CYCLE_1)
	s_add_co_i32 s13, s8, 0
	s_mov_b64 s[8:9], s[6:7]
.LBB157_90:                             ;   Parent Loop BB157_84 Depth=1
                                        ; =>  This Inner Loop Header: Depth=2
	v_dual_mov_b32 v6, s13 :: v_dual_mov_b32 v9, s23
	s_add_nc_u64 s[8:9], s[8:9], -1
	s_add_co_i32 s13, s13, 8
	s_cmp_lg_u64 s[8:9], 0
	ds_load_b64 v[6:7], v6
	s_wait_dscnt 0x0
	v_cmp_gt_i64_e32 vcc_lo, v[2:3], v[6:7]
	v_cndmask_b32_e64 v8, 0, 1, vcc_lo
	s_delay_alu instid0(VALU_DEP_1)
	v_add_nc_u64_e32 v[4:5], v[4:5], v[8:9]
	s_cbranch_scc1 .LBB157_90
	s_branch .LBB157_83
.LBB157_91:
	s_endpgm
	.section	.rodata,"a",@progbits
	.p2align	6, 0x0
	.amdhsa_kernel _ZN9rocsparseL41csrgemm_numeric_fill_block_per_row_kernelILj1024ELj64ELj32768ELj137ELj64Ell21rocsparse_complex_numIdEEEvT5_PKS3_S5_NS_24const_host_device_scalarIT6_EEPKT4_S5_PKS7_SB_S5_SD_S8_SB_S5_SD_SB_S5_PS7_21rocsparse_index_base_SF_SF_SF_bbb
		.amdhsa_group_segment_fixed_size 0
		.amdhsa_private_segment_fixed_size 40
		.amdhsa_kernarg_size 172
		.amdhsa_user_sgpr_count 2
		.amdhsa_user_sgpr_dispatch_ptr 0
		.amdhsa_user_sgpr_queue_ptr 0
		.amdhsa_user_sgpr_kernarg_segment_ptr 1
		.amdhsa_user_sgpr_dispatch_id 0
		.amdhsa_user_sgpr_kernarg_preload_length 0
		.amdhsa_user_sgpr_kernarg_preload_offset 0
		.amdhsa_user_sgpr_private_segment_size 0
		.amdhsa_wavefront_size32 1
		.amdhsa_uses_dynamic_stack 0
		.amdhsa_enable_private_segment 1
		.amdhsa_system_sgpr_workgroup_id_x 1
		.amdhsa_system_sgpr_workgroup_id_y 0
		.amdhsa_system_sgpr_workgroup_id_z 0
		.amdhsa_system_sgpr_workgroup_info 0
		.amdhsa_system_vgpr_workitem_id 0
		.amdhsa_next_free_vgpr 40
		.amdhsa_next_free_sgpr 45
		.amdhsa_named_barrier_count 0
		.amdhsa_reserve_vcc 1
		.amdhsa_float_round_mode_32 0
		.amdhsa_float_round_mode_16_64 0
		.amdhsa_float_denorm_mode_32 3
		.amdhsa_float_denorm_mode_16_64 3
		.amdhsa_fp16_overflow 0
		.amdhsa_memory_ordered 1
		.amdhsa_forward_progress 1
		.amdhsa_inst_pref_size 31
		.amdhsa_round_robin_scheduling 0
		.amdhsa_exception_fp_ieee_invalid_op 0
		.amdhsa_exception_fp_denorm_src 0
		.amdhsa_exception_fp_ieee_div_zero 0
		.amdhsa_exception_fp_ieee_overflow 0
		.amdhsa_exception_fp_ieee_underflow 0
		.amdhsa_exception_fp_ieee_inexact 0
		.amdhsa_exception_int_div_zero 0
	.end_amdhsa_kernel
	.section	.text._ZN9rocsparseL41csrgemm_numeric_fill_block_per_row_kernelILj1024ELj64ELj32768ELj137ELj64Ell21rocsparse_complex_numIdEEEvT5_PKS3_S5_NS_24const_host_device_scalarIT6_EEPKT4_S5_PKS7_SB_S5_SD_S8_SB_S5_SD_SB_S5_PS7_21rocsparse_index_base_SF_SF_SF_bbb,"axG",@progbits,_ZN9rocsparseL41csrgemm_numeric_fill_block_per_row_kernelILj1024ELj64ELj32768ELj137ELj64Ell21rocsparse_complex_numIdEEEvT5_PKS3_S5_NS_24const_host_device_scalarIT6_EEPKT4_S5_PKS7_SB_S5_SD_S8_SB_S5_SD_SB_S5_PS7_21rocsparse_index_base_SF_SF_SF_bbb,comdat
.Lfunc_end157:
	.size	_ZN9rocsparseL41csrgemm_numeric_fill_block_per_row_kernelILj1024ELj64ELj32768ELj137ELj64Ell21rocsparse_complex_numIdEEEvT5_PKS3_S5_NS_24const_host_device_scalarIT6_EEPKT4_S5_PKS7_SB_S5_SD_S8_SB_S5_SD_SB_S5_PS7_21rocsparse_index_base_SF_SF_SF_bbb, .Lfunc_end157-_ZN9rocsparseL41csrgemm_numeric_fill_block_per_row_kernelILj1024ELj64ELj32768ELj137ELj64Ell21rocsparse_complex_numIdEEEvT5_PKS3_S5_NS_24const_host_device_scalarIT6_EEPKT4_S5_PKS7_SB_S5_SD_S8_SB_S5_SD_SB_S5_PS7_21rocsparse_index_base_SF_SF_SF_bbb
                                        ; -- End function
	.set _ZN9rocsparseL41csrgemm_numeric_fill_block_per_row_kernelILj1024ELj64ELj32768ELj137ELj64Ell21rocsparse_complex_numIdEEEvT5_PKS3_S5_NS_24const_host_device_scalarIT6_EEPKT4_S5_PKS7_SB_S5_SD_S8_SB_S5_SD_SB_S5_PS7_21rocsparse_index_base_SF_SF_SF_bbb.num_vgpr, 40
	.set _ZN9rocsparseL41csrgemm_numeric_fill_block_per_row_kernelILj1024ELj64ELj32768ELj137ELj64Ell21rocsparse_complex_numIdEEEvT5_PKS3_S5_NS_24const_host_device_scalarIT6_EEPKT4_S5_PKS7_SB_S5_SD_S8_SB_S5_SD_SB_S5_PS7_21rocsparse_index_base_SF_SF_SF_bbb.num_agpr, 0
	.set _ZN9rocsparseL41csrgemm_numeric_fill_block_per_row_kernelILj1024ELj64ELj32768ELj137ELj64Ell21rocsparse_complex_numIdEEEvT5_PKS3_S5_NS_24const_host_device_scalarIT6_EEPKT4_S5_PKS7_SB_S5_SD_S8_SB_S5_SD_SB_S5_PS7_21rocsparse_index_base_SF_SF_SF_bbb.numbered_sgpr, 45
	.set _ZN9rocsparseL41csrgemm_numeric_fill_block_per_row_kernelILj1024ELj64ELj32768ELj137ELj64Ell21rocsparse_complex_numIdEEEvT5_PKS3_S5_NS_24const_host_device_scalarIT6_EEPKT4_S5_PKS7_SB_S5_SD_S8_SB_S5_SD_SB_S5_PS7_21rocsparse_index_base_SF_SF_SF_bbb.num_named_barrier, 0
	.set _ZN9rocsparseL41csrgemm_numeric_fill_block_per_row_kernelILj1024ELj64ELj32768ELj137ELj64Ell21rocsparse_complex_numIdEEEvT5_PKS3_S5_NS_24const_host_device_scalarIT6_EEPKT4_S5_PKS7_SB_S5_SD_S8_SB_S5_SD_SB_S5_PS7_21rocsparse_index_base_SF_SF_SF_bbb.private_seg_size, 40
	.set _ZN9rocsparseL41csrgemm_numeric_fill_block_per_row_kernelILj1024ELj64ELj32768ELj137ELj64Ell21rocsparse_complex_numIdEEEvT5_PKS3_S5_NS_24const_host_device_scalarIT6_EEPKT4_S5_PKS7_SB_S5_SD_S8_SB_S5_SD_SB_S5_PS7_21rocsparse_index_base_SF_SF_SF_bbb.uses_vcc, 1
	.set _ZN9rocsparseL41csrgemm_numeric_fill_block_per_row_kernelILj1024ELj64ELj32768ELj137ELj64Ell21rocsparse_complex_numIdEEEvT5_PKS3_S5_NS_24const_host_device_scalarIT6_EEPKT4_S5_PKS7_SB_S5_SD_S8_SB_S5_SD_SB_S5_PS7_21rocsparse_index_base_SF_SF_SF_bbb.uses_flat_scratch, 1
	.set _ZN9rocsparseL41csrgemm_numeric_fill_block_per_row_kernelILj1024ELj64ELj32768ELj137ELj64Ell21rocsparse_complex_numIdEEEvT5_PKS3_S5_NS_24const_host_device_scalarIT6_EEPKT4_S5_PKS7_SB_S5_SD_S8_SB_S5_SD_SB_S5_PS7_21rocsparse_index_base_SF_SF_SF_bbb.has_dyn_sized_stack, 0
	.set _ZN9rocsparseL41csrgemm_numeric_fill_block_per_row_kernelILj1024ELj64ELj32768ELj137ELj64Ell21rocsparse_complex_numIdEEEvT5_PKS3_S5_NS_24const_host_device_scalarIT6_EEPKT4_S5_PKS7_SB_S5_SD_S8_SB_S5_SD_SB_S5_PS7_21rocsparse_index_base_SF_SF_SF_bbb.has_recursion, 0
	.set _ZN9rocsparseL41csrgemm_numeric_fill_block_per_row_kernelILj1024ELj64ELj32768ELj137ELj64Ell21rocsparse_complex_numIdEEEvT5_PKS3_S5_NS_24const_host_device_scalarIT6_EEPKT4_S5_PKS7_SB_S5_SD_S8_SB_S5_SD_SB_S5_PS7_21rocsparse_index_base_SF_SF_SF_bbb.has_indirect_call, 0
	.section	.AMDGPU.csdata,"",@progbits
; Kernel info:
; codeLenInByte = 3876
; TotalNumSgprs: 47
; NumVgprs: 40
; ScratchSize: 40
; MemoryBound: 0
; FloatMode: 240
; IeeeMode: 1
; LDSByteSize: 0 bytes/workgroup (compile time only)
; SGPRBlocks: 0
; VGPRBlocks: 2
; NumSGPRsForWavesPerEU: 47
; NumVGPRsForWavesPerEU: 40
; NamedBarCnt: 0
; Occupancy: 16
; WaveLimiterHint : 1
; COMPUTE_PGM_RSRC2:SCRATCH_EN: 1
; COMPUTE_PGM_RSRC2:USER_SGPR: 2
; COMPUTE_PGM_RSRC2:TRAP_HANDLER: 0
; COMPUTE_PGM_RSRC2:TGID_X_EN: 1
; COMPUTE_PGM_RSRC2:TGID_Y_EN: 0
; COMPUTE_PGM_RSRC2:TGID_Z_EN: 0
; COMPUTE_PGM_RSRC2:TIDIG_COMP_CNT: 0
	.section	.text._ZN9rocsparseL51csrgemm_numeric_fill_block_per_row_multipass_kernelILj512ELj16ELj2048ELj32Ell21rocsparse_complex_numIdEEEvT4_PKS3_S5_NS_24const_host_device_scalarIT5_EEPKT3_S5_PKS7_SB_S5_SD_S8_SB_S5_SD_SB_S5_PS7_PS9_21rocsparse_index_base_SG_SG_SG_bbb,"axG",@progbits,_ZN9rocsparseL51csrgemm_numeric_fill_block_per_row_multipass_kernelILj512ELj16ELj2048ELj32Ell21rocsparse_complex_numIdEEEvT4_PKS3_S5_NS_24const_host_device_scalarIT5_EEPKT3_S5_PKS7_SB_S5_SD_S8_SB_S5_SD_SB_S5_PS7_PS9_21rocsparse_index_base_SG_SG_SG_bbb,comdat
	.globl	_ZN9rocsparseL51csrgemm_numeric_fill_block_per_row_multipass_kernelILj512ELj16ELj2048ELj32Ell21rocsparse_complex_numIdEEEvT4_PKS3_S5_NS_24const_host_device_scalarIT5_EEPKT3_S5_PKS7_SB_S5_SD_S8_SB_S5_SD_SB_S5_PS7_PS9_21rocsparse_index_base_SG_SG_SG_bbb ; -- Begin function _ZN9rocsparseL51csrgemm_numeric_fill_block_per_row_multipass_kernelILj512ELj16ELj2048ELj32Ell21rocsparse_complex_numIdEEEvT4_PKS3_S5_NS_24const_host_device_scalarIT5_EEPKT3_S5_PKS7_SB_S5_SD_S8_SB_S5_SD_SB_S5_PS7_PS9_21rocsparse_index_base_SG_SG_SG_bbb
	.p2align	8
	.type	_ZN9rocsparseL51csrgemm_numeric_fill_block_per_row_multipass_kernelILj512ELj16ELj2048ELj32Ell21rocsparse_complex_numIdEEEvT4_PKS3_S5_NS_24const_host_device_scalarIT5_EEPKT3_S5_PKS7_SB_S5_SD_S8_SB_S5_SD_SB_S5_PS7_PS9_21rocsparse_index_base_SG_SG_SG_bbb,@function
_ZN9rocsparseL51csrgemm_numeric_fill_block_per_row_multipass_kernelILj512ELj16ELj2048ELj32Ell21rocsparse_complex_numIdEEEvT4_PKS3_S5_NS_24const_host_device_scalarIT5_EEPKT3_S5_PKS7_SB_S5_SD_S8_SB_S5_SD_SB_S5_PS7_PS9_21rocsparse_index_base_SG_SG_SG_bbb: ; @_ZN9rocsparseL51csrgemm_numeric_fill_block_per_row_multipass_kernelILj512ELj16ELj2048ELj32Ell21rocsparse_complex_numIdEEEvT4_PKS3_S5_NS_24const_host_device_scalarIT5_EEPKT3_S5_PKS7_SB_S5_SD_S8_SB_S5_SD_SB_S5_PS7_PS9_21rocsparse_index_base_SG_SG_SG_bbb
; %bb.0:
	s_clause 0x4
	s_load_b32 s5, s[2:3], 0xb0
	s_load_b128 s[12:15], s[2:3], 0x18
	s_load_b128 s[8:11], s[2:3], 0x58
	s_load_b64 s[6:7], s[2:3], 0x8
	s_load_b128 s[28:31], s[2:3], 0xa0
	v_mov_b64_e32 v[10:11], 0
	v_mov_b64_e32 v[8:9], 0
	;; [unrolled: 1-line block ×3, first 2 shown]
	v_mbcnt_lo_u32_b32 v1, -1, 0
	s_wait_kmcnt 0x0
	s_bitcmp1_b32 s5, 0
	v_mov_b64_e32 v[2:3], s[12:13]
	s_cselect_b32 s54, -1, 0
	s_bitcmp1_b32 s5, 16
	v_mov_b64_e32 v[4:5], s[8:9]
	s_cselect_b32 s4, -1, 0
	s_clause 0x1
	scratch_store_b64 off, v[2:3], off
	scratch_store_b64 off, v[4:5], off offset:8
	s_xor_b32 s16, s4, -1
	s_bitcmp0_b32 s5, 0
	s_cbranch_scc1 .LBB158_3
; %bb.1:
	s_wait_xcnt 0x1
	v_dual_mov_b32 v2, 0 :: v_dual_lshlrev_b32 v3, 20, v1
	v_mov_b64_e32 v[12:13], s[14:15]
	s_and_not1_b32 vcc_lo, exec_lo, s16
	s_delay_alu instid0(VALU_DEP_2) | instskip(NEXT) | instid1(VALU_DEP_1)
	v_add_nc_u64_e32 v[2:3], src_flat_scratch_base_lo, v[2:3]
	v_cndmask_b32_e64 v3, s13, v3, s4
	s_delay_alu instid0(VALU_DEP_2)
	v_cndmask_b32_e64 v2, s12, v2, s4
	flat_load_b64 v[8:9], v[2:3]
	s_cbranch_vccnz .LBB158_3
; %bb.2:
	s_wait_xcnt 0x0
	v_mov_b32_e32 v2, 0
	flat_load_b64 v[12:13], v2, s[12:13] offset:8
.LBB158_3:
	s_wait_xcnt 0x0
	s_load_b64 s[12:13], s[2:3], 0x10
	v_mov_b64_e32 v[14:15], 0
	s_bitcmp1_b32 s5, 8
	s_cselect_b32 s33, -1, 0
	s_bfe_u32 s5, s5, 0x10008
	s_delay_alu instid0(SALU_CYCLE_1)
	s_cmp_eq_u32 s5, 0
	s_cbranch_scc1 .LBB158_6
; %bb.4:
	v_dual_mov_b32 v2, 8 :: v_dual_lshlrev_b32 v3, 20, v1
	v_mov_b64_e32 v[10:11], s[10:11]
	s_and_not1_b32 vcc_lo, exec_lo, s16
	s_delay_alu instid0(VALU_DEP_2) | instskip(NEXT) | instid1(VALU_DEP_1)
	v_add_nc_u64_e32 v[2:3], src_flat_scratch_base_lo, v[2:3]
	v_cndmask_b32_e64 v3, s9, v3, s4
	s_delay_alu instid0(VALU_DEP_2)
	v_cndmask_b32_e64 v2, s8, v2, s4
	flat_load_b64 v[14:15], v[2:3]
	s_cbranch_vccnz .LBB158_6
; %bb.5:
	s_wait_xcnt 0x0
	v_mov_b32_e32 v2, 0
	flat_load_b64 v[10:11], v2, s[8:9] offset:8
.LBB158_6:
	s_load_b64 s[4:5], s[6:7], 0x0
	s_wait_xcnt 0x0
	s_bfe_u32 s6, ttmp6, 0x4000c
	s_and_b32 s7, ttmp6, 15
	s_add_co_i32 s6, s6, 1
	s_getreg_b32 s8, hwreg(HW_REG_IB_STS2, 6, 4)
	s_mul_i32 s6, ttmp9, s6
	s_mov_b32 s11, 0
	s_add_co_i32 s7, s7, s6
	s_mov_b64 s[34:35], 0
	s_wait_kmcnt 0x0
	s_lshl_b64 s[4:5], s[4:5], 3
	s_cmp_eq_u32 s8, 0
	s_add_nc_u64 s[4:5], s[12:13], s[4:5]
	s_cselect_b32 s10, ttmp9, s7
	s_load_b64 s[8:9], s[2:3], 0x28
	s_load_b64 s[6:7], s[4:5], s10 offset:0x0 scale_offset
	s_and_not1_b32 vcc_lo, exec_lo, s54
	s_wait_xcnt 0x0
	s_mov_b64 s[4:5], 0
	s_cbranch_vccz .LBB158_9
; %bb.7:
	s_and_not1_b32 vcc_lo, exec_lo, s54
	s_cbranch_vccz .LBB158_10
.LBB158_8:
	s_load_b64 s[48:49], s[2:3], 0x0
	s_wait_kmcnt 0x0
	v_cmp_lt_i64_e64 s8, s[48:49], 1
	s_and_b32 vcc_lo, exec_lo, s8
	s_cbranch_vccz .LBB158_11
	s_branch .LBB158_64
.LBB158_9:
	s_wait_kmcnt 0x0
	s_lshl_b64 s[4:5], s[6:7], 3
	s_mov_b32 s10, s28
	s_add_nc_u64 s[4:5], s[8:9], s[4:5]
	s_load_b64 s[4:5], s[4:5], 0x0
	s_wait_kmcnt 0x0
	s_sub_nc_u64 s[4:5], s[4:5], s[10:11]
	s_and_not1_b32 vcc_lo, exec_lo, s54
	s_cbranch_vccnz .LBB158_8
.LBB158_10:
	s_wait_kmcnt 0x0
	s_lshl_b64 s[10:11], s[6:7], 3
	s_delay_alu instid0(SALU_CYCLE_1)
	s_add_nc_u64 s[8:9], s[8:9], s[10:11]
	s_mov_b32 s11, 0
	s_load_b64 s[8:9], s[8:9], 0x8
	s_mov_b32 s10, s28
	s_wait_kmcnt 0x0
	s_sub_nc_u64 s[34:35], s[8:9], s[10:11]
	s_load_b64 s[48:49], s[2:3], 0x0
	s_wait_kmcnt 0x0
	v_cmp_lt_i64_e64 s8, s[48:49], 1
	s_and_b32 vcc_lo, exec_lo, s8
	s_cbranch_vccnz .LBB158_64
.LBB158_11:
	s_clause 0x1
	s_load_b256 s[20:27], s[2:3], 0x68
	s_load_b128 s[44:47], s[2:3], 0x90
	s_load_b64 s[8:9], s[0:1], 0x4
	s_clause 0x1
	s_load_b64 s[18:19], s[2:3], 0x50
	s_load_b256 s[36:43], s[2:3], 0x30
	s_wait_xcnt 0x0
	s_lshl_b64 s[2:3], s[6:7], 3
	v_and_b32_e32 v2, 0x3ff, v0
	v_dual_mov_b32 v17, 0 :: v_dual_bitop2_b32 v3, 15, v0 bitop3:0x40
	v_bfe_u32 v16, v0, 4, 6
	v_xor_b32_e32 v6, 8, v1
	v_bfe_u32 v4, v0, 10, 10
	v_xor_b32_e32 v22, 2, v1
	v_bfe_u32 v5, v0, 20, 10
	v_add_nc_u64_e32 v[18:19], s[4:5], v[16:17]
	v_mov_b32_e32 v16, v3
	v_cmp_gt_i32_e32 vcc_lo, 32, v6
	v_xor_b32_e32 v7, 4, v1
	s_mov_b32 s53, 0
	s_mov_b32 s52, s30
	s_wait_kmcnt 0x0
	s_add_nc_u64 s[0:1], s[26:27], s[2:3]
	v_cndmask_b32_e32 v6, v1, v6, vcc_lo
	s_load_b64 s[6:7], s[0:1], 0x0
	s_wait_xcnt 0x0
	s_lshr_b32 s0, s8, 16
	v_mul_u32_u24_e32 v4, s9, v4
	s_mul_i32 s1, s0, s9
	v_cmp_gt_i32_e32 vcc_lo, 32, v7
	v_mul_lo_u32 v20, s1, v2
	v_xor_b32_e32 v24, 1, v1
	v_cmp_eq_u32_e64 s1, 15, v3
	v_mov_b32_e32 v3, v17
	s_add_nc_u64 s[26:27], s[20:21], s[2:3]
	v_cmp_gt_i32_e64 s2, 32, v22
	v_dual_cndmask_b32 v7, v1, v7 :: v_dual_lshrrev_b32 v0, 3, v0
	v_cmp_gt_i64_e32 vcc_lo, s[34:35], v[18:19]
	v_mov_b64_e32 v[26:27], 0
	v_mov_b64_e32 v[28:29], 0x800
	v_add3_u32 v4, v20, v4, v5
	v_cmp_eq_u32_e64 s0, 0, v2
	v_dual_lshlrev_b32 v51, 2, v7 :: v_dual_bitop2_b32 v54, 60, v0 bitop3:0x40
	v_lshlrev_b32_e32 v56, 4, v2
	s_wait_kmcnt 0x0
	s_sub_nc_u64 s[20:21], s[6:7], s[52:53]
	s_mov_b32 s52, s31
	v_lshl_add_u32 v50, v4, 4, 0x8808
	v_sub_nc_u64_e64 v[20:21], v[2:3], s[52:53]
	v_cndmask_b32_e64 v3, v1, v22, s2
	v_cmp_gt_i32_e64 s2, 32, v24
	v_lshlrev_b32_e32 v23, 2, v6
	v_cmp_gt_u32_e64 s3, 32, v2
	v_cmp_gt_u32_e64 s4, 64, v2
	;; [unrolled: 1-line block ×3, first 2 shown]
	v_dual_cndmask_b32 v4, v1, v24, s2 :: v_dual_bitop2_b32 v1, 31, v1 bitop3:0x14
	v_mov_b64_e32 v[24:25], s[20:21]
	v_lshlrev_b32_e32 v52, 2, v3
	v_cmp_eq_u32_e64 s2, 0x1ff, v2
	s_delay_alu instid0(VALU_DEP_4)
	v_lshlrev_b32_e32 v53, 2, v4
	v_lshrrev_b32_e64 v22, v1, -1
	v_cmp_gt_u32_e64 s6, 0x80, v2
	v_cmp_gt_u32_e64 s7, 0xa0, v2
	;; [unrolled: 1-line block ×12, first 2 shown]
	v_or_b32_e32 v55, 0xfffffe00, v2
	v_dual_mov_b32 v0, v17 :: v_dual_mov_b32 v1, v17
	v_dual_mov_b32 v2, v17 :: v_dual_mov_b32 v3, v17
	v_mov_b32_e32 v57, 1
	s_mov_b32 s50, s29
	s_mov_b32 s29, s53
	;; [unrolled: 1-line block ×3, first 2 shown]
	s_and_b32 s54, s54, vcc_lo
	s_add_nc_u64 s[30:31], s[18:19], 8
	s_add_nc_u64 s[24:25], s[24:25], 8
	s_branch .LBB158_13
.LBB158_12:                             ;   in Loop: Header=BB158_13 Depth=1
	s_or_b32 exec_lo, exec_lo, s18
	ds_load_b64 v[26:27], v17 offset:34816
	s_wait_dscnt 0x0
	s_barrier_signal -1
	s_barrier_wait -1
	v_cmp_le_i64_e32 vcc_lo, s[48:49], v[26:27]
	v_add_nc_u64_e32 v[28:29], 0x800, v[26:27]
	s_cbranch_vccnz .LBB158_64
.LBB158_13:                             ; =>This Loop Header: Depth=1
                                        ;     Child Loop BB158_14 Depth 2
                                        ;     Child Loop BB158_20 Depth 2
                                        ;       Child Loop BB158_26 Depth 3
                                        ;     Child Loop BB158_43 Depth 2
                                        ;     Child Loop BB158_55 Depth 2
                                        ;     Child Loop BB158_60 Depth 2
	v_dual_mov_b32 v4, v56 :: v_dual_mov_b32 v5, v55
	s_mov_b32 s18, 0
.LBB158_14:                             ;   Parent Loop BB158_13 Depth=1
                                        ; =>  This Inner Loop Header: Depth=2
	ds_store_b8 v5, v17 offset:33280
	v_add_nc_u32_e32 v5, 0x200, v5
	ds_store_b128 v4, v[0:3]
	v_add_nc_u32_e32 v4, 0x2000, v4
	v_cmp_lt_u32_e32 vcc_lo, 0x5ff, v5
	s_or_b32 s18, vcc_lo, s18
	s_delay_alu instid0(SALU_CYCLE_1)
	s_and_not1_b32 exec_lo, exec_lo, s18
	s_cbranch_execnz .LBB158_14
; %bb.15:                               ;   in Loop: Header=BB158_13 Depth=1
	s_or_b32 exec_lo, exec_lo, s18
	s_and_saveexec_b32 s18, s0
; %bb.16:                               ;   in Loop: Header=BB158_13 Depth=1
	v_mov_b64_e32 v[4:5], s[48:49]
	ds_store_b64 v17, v[4:5] offset:34816
; %bb.17:                               ;   in Loop: Header=BB158_13 Depth=1
	s_or_b32 exec_lo, exec_lo, s18
	v_mov_b64_e32 v[30:31], s[48:49]
	s_wait_storecnt 0x0
	s_wait_loadcnt_dscnt 0x0
	s_barrier_signal -1
	s_barrier_wait -1
	s_and_saveexec_b32 s21, s54
	s_cbranch_execz .LBB158_39
; %bb.18:                               ;   in Loop: Header=BB158_13 Depth=1
	v_cmp_ne_u64_e64 s18, 0, v[26:27]
	v_mov_b64_e32 v[30:31], s[48:49]
	v_mov_b64_e32 v[32:33], v[18:19]
	s_mov_b32 s55, 0
	s_branch .LBB158_20
.LBB158_19:                             ;   in Loop: Header=BB158_20 Depth=2
	s_wait_xcnt 0x0
	s_or_b32 exec_lo, exec_lo, s19
	v_add_nc_u64_e32 v[32:33], 32, v[32:33]
	s_delay_alu instid0(VALU_DEP_1) | instskip(SKIP_1) | instid1(SALU_CYCLE_1)
	v_cmp_le_i64_e32 vcc_lo, s[34:35], v[32:33]
	s_or_b32 s55, vcc_lo, s55
	s_and_not1_b32 exec_lo, exec_lo, s55
	s_cbranch_execz .LBB158_38
.LBB158_20:                             ;   Parent Loop BB158_13 Depth=1
                                        ; =>  This Loop Header: Depth=2
                                        ;       Child Loop BB158_26 Depth 3
	s_delay_alu instid0(VALU_DEP_1)
	v_lshl_add_u64 v[4:5], v[32:33], 3, s[36:37]
	s_wait_dscnt 0x0
	v_lshl_add_u64 v[6:7], v[32:33], 4, s[38:39]
	v_lshl_add_u64 v[34:35], v[32:33], 3, s[46:47]
	s_and_b32 vcc_lo, exec_lo, s18
	global_load_b64 v[38:39], v[4:5], off
	global_load_b128 v[4:7], v[6:7], off
	s_cbranch_vccz .LBB158_37
; %bb.21:                               ;   in Loop: Header=BB158_20 Depth=2
	global_load_b64 v[36:37], v[34:35], off
	s_wait_loadcnt 0x2
	v_sub_nc_u64_e64 v[38:39], v[38:39], s[28:29]
	s_delay_alu instid0(VALU_DEP_1)
	v_lshl_add_u64 v[38:39], v[38:39], 3, s[40:41]
	s_cbranch_execnz .LBB158_23
.LBB158_22:                             ;   in Loop: Header=BB158_20 Depth=2
	s_wait_loadcnt 0x0
	global_load_b64 v[36:37], v[38:39], off
	s_wait_loadcnt 0x0
	v_sub_nc_u64_e64 v[36:37], v[36:37], s[50:51]
.LBB158_23:                             ;   in Loop: Header=BB158_20 Depth=2
	global_load_b64 v[38:39], v[38:39], off offset:8
	s_wait_loadcnt 0x1
	v_add_nc_u64_e32 v[36:37], v[36:37], v[16:17]
	s_mov_b32 s56, exec_lo
	s_wait_loadcnt 0x0
	s_wait_xcnt 0x0
	v_sub_nc_u64_e64 v[38:39], v[38:39], s[50:51]
	s_delay_alu instid0(VALU_DEP_1)
	v_cmpx_lt_i64_e64 v[36:37], v[38:39]
	s_cbranch_execz .LBB158_35
; %bb.24:                               ;   in Loop: Header=BB158_20 Depth=2
	v_mul_f64_e64 v[40:41], v[6:7], -v[12:13]
	v_mul_f64_e32 v[6:7], v[8:9], v[6:7]
	v_mov_b64_e32 v[48:49], v[36:37]
	v_lshl_add_u64 v[42:43], v[36:37], 4, s[30:31]
	s_mov_b32 s58, 0
                                        ; implicit-def: $sgpr57
                                        ; implicit-def: $sgpr59
	s_delay_alu instid0(VALU_DEP_4) | instskip(NEXT) | instid1(VALU_DEP_4)
	v_fmac_f64_e32 v[40:41], v[8:9], v[4:5]
	v_fmac_f64_e32 v[6:7], v[12:13], v[4:5]
	v_lshl_add_u64 v[4:5], v[36:37], 3, s[42:43]
	s_branch .LBB158_26
.LBB158_25:                             ;   in Loop: Header=BB158_26 Depth=3
	s_or_b32 exec_lo, exec_lo, s60
	s_delay_alu instid0(SALU_CYCLE_1) | instskip(NEXT) | instid1(SALU_CYCLE_1)
	s_and_b32 s19, exec_lo, s20
	s_or_b32 s58, s19, s58
	s_and_not1_b32 s19, s57, exec_lo
	s_and_b32 s20, s59, exec_lo
	s_delay_alu instid0(SALU_CYCLE_1)
	s_or_b32 s57, s19, s20
	s_and_not1_b32 exec_lo, exec_lo, s58
	s_cbranch_execz .LBB158_32
.LBB158_26:                             ;   Parent Loop BB158_13 Depth=1
                                        ;     Parent Loop BB158_20 Depth=2
                                        ; =>    This Inner Loop Header: Depth=3
	global_load_b64 v[44:45], v[4:5], off
	v_mov_b64_e32 v[46:47], v[48:49]
	s_wait_loadcnt 0x0
	v_sub_nc_u64_e64 v[44:45], v[44:45], s[50:51]
	s_delay_alu instid0(VALU_DEP_1)
	v_cmp_lt_i64_e64 s19, v[44:45], v[26:27]
	v_cmp_ge_i64_e64 s20, v[44:45], v[28:29]
	v_cmp_lt_i64_e32 vcc_lo, v[44:45], v[28:29]
	s_or_b32 s20, s19, s20
	s_mov_b32 s19, 0
	s_wait_xcnt 0x0
	s_and_saveexec_b32 s60, s20
	s_delay_alu instid0(SALU_CYCLE_1)
	s_xor_b32 s20, exec_lo, s60
; %bb.27:                               ;   in Loop: Header=BB158_26 Depth=3
	s_and_b32 s19, vcc_lo, exec_lo
; %bb.28:                               ;   in Loop: Header=BB158_26 Depth=3
	s_and_not1_saveexec_b32 s20, s20
	s_cbranch_execz .LBB158_30
; %bb.29:                               ;   in Loop: Header=BB158_26 Depth=3
	global_load_b128 v[58:61], v[42:43], off offset:-8
	s_or_b32 s19, s19, exec_lo
	s_wait_loadcnt 0x0
	v_mul_f64_e64 v[48:49], v[60:61], -v[6:7]
	v_mul_f64_e32 v[60:61], v[40:41], v[60:61]
	s_delay_alu instid0(VALU_DEP_2) | instskip(NEXT) | instid1(VALU_DEP_2)
	v_fmac_f64_e32 v[48:49], v[40:41], v[58:59]
	v_fmac_f64_e32 v[60:61], v[6:7], v[58:59]
	v_sub_nc_u32_e32 v58, v44, v26
	s_delay_alu instid0(VALU_DEP_1)
	v_lshlrev_b32_e32 v59, 4, v58
	ds_store_b8 v58, v57 offset:32768
	ds_add_f64 v59, v[48:49]
	ds_add_f64 v59, v[60:61] offset:8
.LBB158_30:                             ;   in Loop: Header=BB158_26 Depth=3
	s_wait_xcnt 0x0
	s_or_b32 exec_lo, exec_lo, s20
	s_mov_b32 s20, -1
	s_or_b32 s59, s59, exec_lo
                                        ; implicit-def: $vgpr48_vgpr49
	s_and_saveexec_b32 s60, s19
	s_cbranch_execz .LBB158_25
; %bb.31:                               ;   in Loop: Header=BB158_26 Depth=3
	v_add_nc_u64_e32 v[48:49], 16, v[46:47]
	v_add_nc_u64_e32 v[4:5], 0x80, v[4:5]
	;; [unrolled: 1-line block ×3, first 2 shown]
	s_and_not1_b32 s59, s59, exec_lo
	s_delay_alu instid0(VALU_DEP_3)
	v_cmp_ge_i64_e32 vcc_lo, v[48:49], v[38:39]
	s_or_not1_b32 s20, vcc_lo, exec_lo
	s_branch .LBB158_25
.LBB158_32:                             ;   in Loop: Header=BB158_20 Depth=2
	s_or_b32 exec_lo, exec_lo, s58
	s_and_saveexec_b32 s19, s57
	s_delay_alu instid0(SALU_CYCLE_1)
	s_xor_b32 s19, exec_lo, s19
	s_cbranch_execz .LBB158_34
; %bb.33:                               ;   in Loop: Header=BB158_20 Depth=2
	v_min_i64 v[30:31], v[44:45], v[30:31]
	v_mov_b64_e32 v[36:37], v[46:47]
.LBB158_34:                             ;   in Loop: Header=BB158_20 Depth=2
	s_or_b32 exec_lo, exec_lo, s19
.LBB158_35:                             ;   in Loop: Header=BB158_20 Depth=2
	s_delay_alu instid0(SALU_CYCLE_1)
	s_or_b32 exec_lo, exec_lo, s56
	ds_bpermute_b32 v4, v23, v36
	ds_bpermute_b32 v5, v23, v37
	s_wait_dscnt 0x0
	v_min_i64 v[4:5], v[4:5], v[36:37]
	ds_bpermute_b32 v6, v51, v4
	ds_bpermute_b32 v7, v51, v5
	s_wait_dscnt 0x0
	v_min_i64 v[4:5], v[6:7], v[4:5]
	;; [unrolled: 4-line block ×3, first 2 shown]
	ds_bpermute_b32 v6, v53, v4
	ds_bpermute_b32 v7, v53, v5
	s_and_saveexec_b32 s19, s1
	s_cbranch_execz .LBB158_19
; %bb.36:                               ;   in Loop: Header=BB158_20 Depth=2
	s_wait_dscnt 0x0
	v_min_i64 v[4:5], v[6:7], v[4:5]
	global_store_b64 v[34:35], v[4:5], off
	s_branch .LBB158_19
.LBB158_37:                             ;   in Loop: Header=BB158_20 Depth=2
                                        ; implicit-def: $vgpr36_vgpr37
	s_wait_loadcnt 0x1
	v_sub_nc_u64_e64 v[38:39], v[38:39], s[28:29]
	s_delay_alu instid0(VALU_DEP_1)
	v_lshl_add_u64 v[38:39], v[38:39], 3, s[40:41]
	s_branch .LBB158_22
.LBB158_38:                             ;   in Loop: Header=BB158_13 Depth=1
	s_or_b32 exec_lo, exec_lo, s55
.LBB158_39:                             ;   in Loop: Header=BB158_13 Depth=1
	s_delay_alu instid0(SALU_CYCLE_1) | instskip(NEXT) | instid1(SALU_CYCLE_1)
	s_or_b32 exec_lo, exec_lo, s21
	s_and_not1_b32 vcc_lo, exec_lo, s33
	s_cbranch_vccnz .LBB158_53
; %bb.40:                               ;   in Loop: Header=BB158_13 Depth=1
	s_load_b128 s[56:59], s[26:27], 0x0
	s_mov_b32 s55, exec_lo
	s_wait_kmcnt 0x0
	v_add_nc_u64_e32 v[4:5], s[56:57], v[20:21]
	s_sub_nc_u64 s[20:21], s[58:59], s[52:53]
	s_delay_alu instid0(VALU_DEP_1) | instid1(SALU_CYCLE_1)
	v_cmpx_gt_i64_e64 s[20:21], v[4:5]
	s_cbranch_execz .LBB158_52
; %bb.41:                               ;   in Loop: Header=BB158_13 Depth=1
	s_wait_dscnt 0x0
	v_lshl_add_u64 v[6:7], v[4:5], 3, s[22:23]
	v_lshl_add_u64 v[32:33], v[4:5], 4, s[24:25]
	s_mov_b32 s56, 0
                                        ; implicit-def: $sgpr57
                                        ; implicit-def: $sgpr58
	s_branch .LBB158_43
.LBB158_42:                             ;   in Loop: Header=BB158_43 Depth=2
	s_or_b32 exec_lo, exec_lo, s59
	s_delay_alu instid0(SALU_CYCLE_1) | instskip(NEXT) | instid1(SALU_CYCLE_1)
	s_and_b32 s18, exec_lo, s19
	s_or_b32 s56, s18, s56
	s_and_not1_b32 s18, s57, exec_lo
	s_and_b32 s19, s58, exec_lo
	s_delay_alu instid0(SALU_CYCLE_1)
	s_or_b32 s57, s18, s19
	s_and_not1_b32 exec_lo, exec_lo, s56
	s_cbranch_execz .LBB158_49
.LBB158_43:                             ;   Parent Loop BB158_13 Depth=1
                                        ; =>  This Inner Loop Header: Depth=2
	global_load_b64 v[34:35], v[6:7], off
	s_wait_loadcnt 0x0
	v_sub_nc_u64_e64 v[34:35], v[34:35], s[52:53]
	s_delay_alu instid0(VALU_DEP_1)
	v_cmp_lt_i64_e64 s18, v[34:35], v[26:27]
	v_cmp_ge_i64_e64 s19, v[34:35], v[28:29]
	v_cmp_lt_i64_e32 vcc_lo, v[34:35], v[28:29]
	s_or_b32 s19, s18, s19
	s_mov_b32 s18, 0
	s_wait_xcnt 0x0
	s_and_saveexec_b32 s59, s19
	s_delay_alu instid0(SALU_CYCLE_1)
	s_xor_b32 s19, exec_lo, s59
; %bb.44:                               ;   in Loop: Header=BB158_43 Depth=2
	s_and_b32 s18, vcc_lo, exec_lo
; %bb.45:                               ;   in Loop: Header=BB158_43 Depth=2
	s_and_not1_saveexec_b32 s19, s19
	s_cbranch_execz .LBB158_47
; %bb.46:                               ;   in Loop: Header=BB158_43 Depth=2
	global_load_b128 v[36:39], v[32:33], off offset:-8
	s_or_b32 s18, s18, exec_lo
	s_wait_loadcnt 0x0
	v_mul_f64_e64 v[40:41], v[38:39], -v[10:11]
	v_mul_f64_e32 v[38:39], v[14:15], v[38:39]
	s_delay_alu instid0(VALU_DEP_2) | instskip(NEXT) | instid1(VALU_DEP_2)
	v_fmac_f64_e32 v[40:41], v[14:15], v[36:37]
	v_fmac_f64_e32 v[38:39], v[10:11], v[36:37]
	v_sub_nc_u32_e32 v36, v34, v26
	s_delay_alu instid0(VALU_DEP_1)
	v_lshlrev_b32_e32 v37, 4, v36
	ds_store_b8 v36, v57 offset:32768
	ds_add_f64 v37, v[40:41]
	ds_add_f64 v37, v[38:39] offset:8
.LBB158_47:                             ;   in Loop: Header=BB158_43 Depth=2
	s_wait_xcnt 0x0
	s_or_b32 exec_lo, exec_lo, s19
	s_mov_b32 s19, -1
	s_or_b32 s58, s58, exec_lo
	s_and_saveexec_b32 s59, s18
	s_cbranch_execz .LBB158_42
; %bb.48:                               ;   in Loop: Header=BB158_43 Depth=2
	v_add_nc_u64_e32 v[4:5], 0x200, v[4:5]
	v_add_nc_u64_e32 v[6:7], 0x1000, v[6:7]
	;; [unrolled: 1-line block ×3, first 2 shown]
	s_and_not1_b32 s58, s58, exec_lo
	s_delay_alu instid0(VALU_DEP_3)
	v_cmp_le_i64_e32 vcc_lo, s[20:21], v[4:5]
	s_or_not1_b32 s19, vcc_lo, exec_lo
	s_branch .LBB158_42
.LBB158_49:                             ;   in Loop: Header=BB158_13 Depth=1
	s_or_b32 exec_lo, exec_lo, s56
	s_and_saveexec_b32 s18, s57
	s_delay_alu instid0(SALU_CYCLE_1)
	s_xor_b32 s18, exec_lo, s18
; %bb.50:                               ;   in Loop: Header=BB158_13 Depth=1
	v_min_i64 v[30:31], v[34:35], v[30:31]
; %bb.51:                               ;   in Loop: Header=BB158_13 Depth=1
	s_or_b32 exec_lo, exec_lo, s18
.LBB158_52:                             ;   in Loop: Header=BB158_13 Depth=1
	s_delay_alu instid0(SALU_CYCLE_1)
	s_or_b32 exec_lo, exec_lo, s55
.LBB158_53:                             ;   in Loop: Header=BB158_13 Depth=1
	ds_bpermute_b32 v4, v23, v30
	ds_bpermute_b32 v5, v23, v31
	s_wait_dscnt 0x0
	v_min_i64 v[4:5], v[4:5], v[30:31]
	ds_bpermute_b32 v6, v51, v4
	ds_bpermute_b32 v7, v51, v5
	s_wait_dscnt 0x0
	v_min_i64 v[4:5], v[6:7], v[4:5]
	ds_bpermute_b32 v6, v52, v4
	ds_bpermute_b32 v7, v52, v5
	s_wait_dscnt 0x0
	v_min_i64 v[4:5], v[6:7], v[4:5]
	ds_bpermute_b32 v6, v53, v4
	ds_bpermute_b32 v7, v53, v5
	s_and_saveexec_b32 s18, s1
	s_cbranch_execz .LBB158_58
; %bb.54:                               ;   in Loop: Header=BB158_13 Depth=1
	s_wait_dscnt 0x0
	v_min_i64 v[6:7], v[6:7], v[4:5]
	v_mov_b64_e32 v[4:5], -1
	s_mov_b32 s19, exec_lo
.LBB158_55:                             ;   Parent Loop BB158_13 Depth=1
                                        ; =>  This Inner Loop Header: Depth=2
	s_delay_alu instid0(SALU_CYCLE_1)
	s_ctz_i32_b32 s55, s19
	s_delay_alu instid0(VALU_DEP_2) | instid1(SALU_CYCLE_1)
	v_readlane_b32 s21, v7, s55
	s_delay_alu instid0(VALU_DEP_3) | instskip(NEXT) | instid1(VALU_DEP_1)
	v_readlane_b32 s20, v6, s55
	v_min_u64 v[4:5], v[4:5], s[20:21]
	s_lshl_b32 s20, 1, s55
	s_delay_alu instid0(SALU_CYCLE_1) | instskip(NEXT) | instid1(SALU_CYCLE_1)
	s_and_not1_b32 s19, s19, s20
	s_cmp_lg_u32 s19, 0
	s_cbranch_scc1 .LBB158_55
; %bb.56:                               ;   in Loop: Header=BB158_13 Depth=1
	v_mbcnt_lo_u32_b32 v6, exec_lo, 0
	s_mov_b32 s19, exec_lo
	s_delay_alu instid0(VALU_DEP_1)
	v_cmpx_eq_u32_e32 0, v6
	s_xor_b32 s19, exec_lo, s19
; %bb.57:                               ;   in Loop: Header=BB158_13 Depth=1
	ds_min_u64 v17, v[4:5] offset:34816
.LBB158_58:                             ;   in Loop: Header=BB158_13 Depth=1
	s_or_b32 exec_lo, exec_lo, s18
	s_wait_dscnt 0x0
	v_dual_mov_b32 v6, v56 :: v_dual_mov_b32 v7, v55
	s_mov_b32 s18, 0
	s_wait_storecnt 0x0
	s_barrier_signal -1
	s_barrier_wait -1
	s_branch .LBB158_60
.LBB158_59:                             ;   in Loop: Header=BB158_60 Depth=2
	s_or_b32 exec_lo, exec_lo, s19
	s_wait_storecnt_dscnt 0x0
	s_barrier_signal -1
	s_barrier_wait -1
	ds_load_b32 v4, v17 offset:60
	v_add_nc_u32_e32 v7, 0x200, v7
	v_add_nc_u32_e32 v6, 0x2000, v6
	s_delay_alu instid0(VALU_DEP_2) | instskip(SKIP_3) | instid1(VALU_DEP_1)
	v_cmp_lt_u32_e32 vcc_lo, 0x5ff, v7
	s_or_b32 s18, vcc_lo, s18
	s_wait_dscnt 0x0
	v_ashrrev_i32_e32 v5, 31, v4
	v_add_nc_u64_e32 v[24:25], v[24:25], v[4:5]
	s_and_not1_b32 exec_lo, exec_lo, s18
	s_cbranch_execz .LBB158_12
.LBB158_60:                             ;   Parent Loop BB158_13 Depth=1
                                        ; =>  This Inner Loop Header: Depth=2
	ds_load_u8 v4, v7 offset:33280
	ds_load_2addr_b64 v[26:29], v6 offset1:1
	s_wait_dscnt 0x1
	v_cmp_ne_u16_e32 vcc_lo, 0, v4
	s_wait_dscnt 0x0
	ds_store_2addr_b64 v50, v[26:27], v[28:29] offset1:1
	s_wait_dscnt 0x0
	s_barrier_signal -1
	s_barrier_wait -1
	s_bcnt1_i32_b32 s19, vcc_lo
	s_delay_alu instid0(SALU_CYCLE_1)
	v_mov_b32_e32 v5, s19
	s_mov_b32 s19, exec_lo
	ds_store_b32 v54, v5
	s_wait_dscnt 0x0
	s_barrier_signal -1
	s_barrier_wait -1
	ds_load_b128 v[26:29], v17
	ds_load_b128 v[30:33], v17 offset:16
	v_and_b32_e32 v5, vcc_lo, v22
	ds_load_b128 v[34:37], v17 offset:32
	s_wait_dscnt 0x2
	v_cndmask_b32_e64 v26, v26, 0, s3
	v_cndmask_b32_e64 v38, v27, 0, s4
	v_cndmask_b32_e64 v39, v28, 0, s5
	v_cndmask_b32_e64 v29, v29, 0, s6
	s_wait_dscnt 0x1
	v_cndmask_b32_e64 v30, v30, 0, s7
	v_bcnt_u32_b32 v5, v5, v26
	ds_load_b96 v[26:28], v17 offset:48
	v_cndmask_b32_e64 v31, v31, 0, s8
	v_cndmask_b32_e64 v32, v32, 0, s9
	v_add3_u32 v5, v5, v38, v39
	s_delay_alu instid0(VALU_DEP_1) | instskip(SKIP_3) | instid1(VALU_DEP_3)
	v_add3_u32 v5, v5, v29, v30
	v_cndmask_b32_e64 v29, v33, 0, s10
	s_wait_dscnt 0x1
	v_cndmask_b32_e64 v30, v34, 0, s11
	v_add3_u32 v5, v5, v31, v32
	v_cndmask_b32_e64 v31, v35, 0, s12
	v_cndmask_b32_e64 v32, v36, 0, s13
	s_delay_alu instid0(VALU_DEP_3)
	v_add3_u32 v5, v5, v29, v30
	v_cndmask_b32_e64 v29, v37, 0, s14
	s_wait_dscnt 0x0
	v_cndmask_b32_e64 v26, v26, 0, s15
	v_cndmask_b32_e64 v27, v27, 0, s16
	v_cndmask_b32_e64 v28, v28, 0, s17
	v_add3_u32 v5, v5, v31, v32
	s_delay_alu instid0(VALU_DEP_1) | instskip(SKIP_1) | instid1(VALU_DEP_2)
	v_add3_u32 v5, v5, v29, v26
	v_and_b32_e32 v26, 1, v4
	v_add3_u32 v4, v5, v27, v28
	s_delay_alu instid0(VALU_DEP_2)
	v_cmpx_eq_u32_e32 1, v26
	s_cbranch_execz .LBB158_62
; %bb.61:                               ;   in Loop: Header=BB158_60 Depth=2
	ds_load_2addr_b64 v[26:29], v50 offset1:1
	v_lshl_add_u64 v[30:31], v[24:25], 4, s[44:45]
	v_ashrrev_i32_e32 v5, 31, v4
	s_delay_alu instid0(VALU_DEP_1)
	v_lshl_add_u64 v[30:31], v[4:5], 4, v[30:31]
	s_wait_dscnt 0x0
	global_store_b128 v[30:31], v[26:29], off offset:-16
.LBB158_62:                             ;   in Loop: Header=BB158_60 Depth=2
	s_wait_xcnt 0x0
	s_or_b32 exec_lo, exec_lo, s19
	s_and_saveexec_b32 s19, s2
	s_cbranch_execz .LBB158_59
; %bb.63:                               ;   in Loop: Header=BB158_60 Depth=2
	ds_store_b32 v17, v4 offset:60
	s_branch .LBB158_59
.LBB158_64:
	s_endpgm
	.section	.rodata,"a",@progbits
	.p2align	6, 0x0
	.amdhsa_kernel _ZN9rocsparseL51csrgemm_numeric_fill_block_per_row_multipass_kernelILj512ELj16ELj2048ELj32Ell21rocsparse_complex_numIdEEEvT4_PKS3_S5_NS_24const_host_device_scalarIT5_EEPKT3_S5_PKS7_SB_S5_SD_S8_SB_S5_SD_SB_S5_PS7_PS9_21rocsparse_index_base_SG_SG_SG_bbb
		.amdhsa_group_segment_fixed_size 43016
		.amdhsa_private_segment_fixed_size 24
		.amdhsa_kernarg_size 180
		.amdhsa_user_sgpr_count 4
		.amdhsa_user_sgpr_dispatch_ptr 1
		.amdhsa_user_sgpr_queue_ptr 0
		.amdhsa_user_sgpr_kernarg_segment_ptr 1
		.amdhsa_user_sgpr_dispatch_id 0
		.amdhsa_user_sgpr_kernarg_preload_length 0
		.amdhsa_user_sgpr_kernarg_preload_offset 0
		.amdhsa_user_sgpr_private_segment_size 0
		.amdhsa_wavefront_size32 1
		.amdhsa_uses_dynamic_stack 0
		.amdhsa_enable_private_segment 1
		.amdhsa_system_sgpr_workgroup_id_x 1
		.amdhsa_system_sgpr_workgroup_id_y 0
		.amdhsa_system_sgpr_workgroup_id_z 0
		.amdhsa_system_sgpr_workgroup_info 0
		.amdhsa_system_vgpr_workitem_id 2
		.amdhsa_next_free_vgpr 62
		.amdhsa_next_free_sgpr 61
		.amdhsa_named_barrier_count 0
		.amdhsa_reserve_vcc 1
		.amdhsa_float_round_mode_32 0
		.amdhsa_float_round_mode_16_64 0
		.amdhsa_float_denorm_mode_32 3
		.amdhsa_float_denorm_mode_16_64 3
		.amdhsa_fp16_overflow 0
		.amdhsa_memory_ordered 1
		.amdhsa_forward_progress 1
		.amdhsa_inst_pref_size 26
		.amdhsa_round_robin_scheduling 0
		.amdhsa_exception_fp_ieee_invalid_op 0
		.amdhsa_exception_fp_denorm_src 0
		.amdhsa_exception_fp_ieee_div_zero 0
		.amdhsa_exception_fp_ieee_overflow 0
		.amdhsa_exception_fp_ieee_underflow 0
		.amdhsa_exception_fp_ieee_inexact 0
		.amdhsa_exception_int_div_zero 0
	.end_amdhsa_kernel
	.section	.text._ZN9rocsparseL51csrgemm_numeric_fill_block_per_row_multipass_kernelILj512ELj16ELj2048ELj32Ell21rocsparse_complex_numIdEEEvT4_PKS3_S5_NS_24const_host_device_scalarIT5_EEPKT3_S5_PKS7_SB_S5_SD_S8_SB_S5_SD_SB_S5_PS7_PS9_21rocsparse_index_base_SG_SG_SG_bbb,"axG",@progbits,_ZN9rocsparseL51csrgemm_numeric_fill_block_per_row_multipass_kernelILj512ELj16ELj2048ELj32Ell21rocsparse_complex_numIdEEEvT4_PKS3_S5_NS_24const_host_device_scalarIT5_EEPKT3_S5_PKS7_SB_S5_SD_S8_SB_S5_SD_SB_S5_PS7_PS9_21rocsparse_index_base_SG_SG_SG_bbb,comdat
.Lfunc_end158:
	.size	_ZN9rocsparseL51csrgemm_numeric_fill_block_per_row_multipass_kernelILj512ELj16ELj2048ELj32Ell21rocsparse_complex_numIdEEEvT4_PKS3_S5_NS_24const_host_device_scalarIT5_EEPKT3_S5_PKS7_SB_S5_SD_S8_SB_S5_SD_SB_S5_PS7_PS9_21rocsparse_index_base_SG_SG_SG_bbb, .Lfunc_end158-_ZN9rocsparseL51csrgemm_numeric_fill_block_per_row_multipass_kernelILj512ELj16ELj2048ELj32Ell21rocsparse_complex_numIdEEEvT4_PKS3_S5_NS_24const_host_device_scalarIT5_EEPKT3_S5_PKS7_SB_S5_SD_S8_SB_S5_SD_SB_S5_PS7_PS9_21rocsparse_index_base_SG_SG_SG_bbb
                                        ; -- End function
	.set _ZN9rocsparseL51csrgemm_numeric_fill_block_per_row_multipass_kernelILj512ELj16ELj2048ELj32Ell21rocsparse_complex_numIdEEEvT4_PKS3_S5_NS_24const_host_device_scalarIT5_EEPKT3_S5_PKS7_SB_S5_SD_S8_SB_S5_SD_SB_S5_PS7_PS9_21rocsparse_index_base_SG_SG_SG_bbb.num_vgpr, 62
	.set _ZN9rocsparseL51csrgemm_numeric_fill_block_per_row_multipass_kernelILj512ELj16ELj2048ELj32Ell21rocsparse_complex_numIdEEEvT4_PKS3_S5_NS_24const_host_device_scalarIT5_EEPKT3_S5_PKS7_SB_S5_SD_S8_SB_S5_SD_SB_S5_PS7_PS9_21rocsparse_index_base_SG_SG_SG_bbb.num_agpr, 0
	.set _ZN9rocsparseL51csrgemm_numeric_fill_block_per_row_multipass_kernelILj512ELj16ELj2048ELj32Ell21rocsparse_complex_numIdEEEvT4_PKS3_S5_NS_24const_host_device_scalarIT5_EEPKT3_S5_PKS7_SB_S5_SD_S8_SB_S5_SD_SB_S5_PS7_PS9_21rocsparse_index_base_SG_SG_SG_bbb.numbered_sgpr, 61
	.set _ZN9rocsparseL51csrgemm_numeric_fill_block_per_row_multipass_kernelILj512ELj16ELj2048ELj32Ell21rocsparse_complex_numIdEEEvT4_PKS3_S5_NS_24const_host_device_scalarIT5_EEPKT3_S5_PKS7_SB_S5_SD_S8_SB_S5_SD_SB_S5_PS7_PS9_21rocsparse_index_base_SG_SG_SG_bbb.num_named_barrier, 0
	.set _ZN9rocsparseL51csrgemm_numeric_fill_block_per_row_multipass_kernelILj512ELj16ELj2048ELj32Ell21rocsparse_complex_numIdEEEvT4_PKS3_S5_NS_24const_host_device_scalarIT5_EEPKT3_S5_PKS7_SB_S5_SD_S8_SB_S5_SD_SB_S5_PS7_PS9_21rocsparse_index_base_SG_SG_SG_bbb.private_seg_size, 24
	.set _ZN9rocsparseL51csrgemm_numeric_fill_block_per_row_multipass_kernelILj512ELj16ELj2048ELj32Ell21rocsparse_complex_numIdEEEvT4_PKS3_S5_NS_24const_host_device_scalarIT5_EEPKT3_S5_PKS7_SB_S5_SD_S8_SB_S5_SD_SB_S5_PS7_PS9_21rocsparse_index_base_SG_SG_SG_bbb.uses_vcc, 1
	.set _ZN9rocsparseL51csrgemm_numeric_fill_block_per_row_multipass_kernelILj512ELj16ELj2048ELj32Ell21rocsparse_complex_numIdEEEvT4_PKS3_S5_NS_24const_host_device_scalarIT5_EEPKT3_S5_PKS7_SB_S5_SD_S8_SB_S5_SD_SB_S5_PS7_PS9_21rocsparse_index_base_SG_SG_SG_bbb.uses_flat_scratch, 1
	.set _ZN9rocsparseL51csrgemm_numeric_fill_block_per_row_multipass_kernelILj512ELj16ELj2048ELj32Ell21rocsparse_complex_numIdEEEvT4_PKS3_S5_NS_24const_host_device_scalarIT5_EEPKT3_S5_PKS7_SB_S5_SD_S8_SB_S5_SD_SB_S5_PS7_PS9_21rocsparse_index_base_SG_SG_SG_bbb.has_dyn_sized_stack, 0
	.set _ZN9rocsparseL51csrgemm_numeric_fill_block_per_row_multipass_kernelILj512ELj16ELj2048ELj32Ell21rocsparse_complex_numIdEEEvT4_PKS3_S5_NS_24const_host_device_scalarIT5_EEPKT3_S5_PKS7_SB_S5_SD_S8_SB_S5_SD_SB_S5_PS7_PS9_21rocsparse_index_base_SG_SG_SG_bbb.has_recursion, 0
	.set _ZN9rocsparseL51csrgemm_numeric_fill_block_per_row_multipass_kernelILj512ELj16ELj2048ELj32Ell21rocsparse_complex_numIdEEEvT4_PKS3_S5_NS_24const_host_device_scalarIT5_EEPKT3_S5_PKS7_SB_S5_SD_S8_SB_S5_SD_SB_S5_PS7_PS9_21rocsparse_index_base_SG_SG_SG_bbb.has_indirect_call, 0
	.section	.AMDGPU.csdata,"",@progbits
; Kernel info:
; codeLenInByte = 3272
; TotalNumSgprs: 63
; NumVgprs: 62
; ScratchSize: 24
; MemoryBound: 0
; FloatMode: 240
; IeeeMode: 1
; LDSByteSize: 43016 bytes/workgroup (compile time only)
; SGPRBlocks: 0
; VGPRBlocks: 3
; NumSGPRsForWavesPerEU: 63
; NumVGPRsForWavesPerEU: 62
; NamedBarCnt: 0
; Occupancy: 16
; WaveLimiterHint : 1
; COMPUTE_PGM_RSRC2:SCRATCH_EN: 1
; COMPUTE_PGM_RSRC2:USER_SGPR: 4
; COMPUTE_PGM_RSRC2:TRAP_HANDLER: 0
; COMPUTE_PGM_RSRC2:TGID_X_EN: 1
; COMPUTE_PGM_RSRC2:TGID_Y_EN: 0
; COMPUTE_PGM_RSRC2:TGID_Z_EN: 0
; COMPUTE_PGM_RSRC2:TIDIG_COMP_CNT: 2
	.section	.text._ZN9rocsparseL51csrgemm_numeric_fill_block_per_row_multipass_kernelILj512ELj16ELj2048ELj64Ell21rocsparse_complex_numIdEEEvT4_PKS3_S5_NS_24const_host_device_scalarIT5_EEPKT3_S5_PKS7_SB_S5_SD_S8_SB_S5_SD_SB_S5_PS7_PS9_21rocsparse_index_base_SG_SG_SG_bbb,"axG",@progbits,_ZN9rocsparseL51csrgemm_numeric_fill_block_per_row_multipass_kernelILj512ELj16ELj2048ELj64Ell21rocsparse_complex_numIdEEEvT4_PKS3_S5_NS_24const_host_device_scalarIT5_EEPKT3_S5_PKS7_SB_S5_SD_S8_SB_S5_SD_SB_S5_PS7_PS9_21rocsparse_index_base_SG_SG_SG_bbb,comdat
	.globl	_ZN9rocsparseL51csrgemm_numeric_fill_block_per_row_multipass_kernelILj512ELj16ELj2048ELj64Ell21rocsparse_complex_numIdEEEvT4_PKS3_S5_NS_24const_host_device_scalarIT5_EEPKT3_S5_PKS7_SB_S5_SD_S8_SB_S5_SD_SB_S5_PS7_PS9_21rocsparse_index_base_SG_SG_SG_bbb ; -- Begin function _ZN9rocsparseL51csrgemm_numeric_fill_block_per_row_multipass_kernelILj512ELj16ELj2048ELj64Ell21rocsparse_complex_numIdEEEvT4_PKS3_S5_NS_24const_host_device_scalarIT5_EEPKT3_S5_PKS7_SB_S5_SD_S8_SB_S5_SD_SB_S5_PS7_PS9_21rocsparse_index_base_SG_SG_SG_bbb
	.p2align	8
	.type	_ZN9rocsparseL51csrgemm_numeric_fill_block_per_row_multipass_kernelILj512ELj16ELj2048ELj64Ell21rocsparse_complex_numIdEEEvT4_PKS3_S5_NS_24const_host_device_scalarIT5_EEPKT3_S5_PKS7_SB_S5_SD_S8_SB_S5_SD_SB_S5_PS7_PS9_21rocsparse_index_base_SG_SG_SG_bbb,@function
_ZN9rocsparseL51csrgemm_numeric_fill_block_per_row_multipass_kernelILj512ELj16ELj2048ELj64Ell21rocsparse_complex_numIdEEEvT4_PKS3_S5_NS_24const_host_device_scalarIT5_EEPKT3_S5_PKS7_SB_S5_SD_S8_SB_S5_SD_SB_S5_PS7_PS9_21rocsparse_index_base_SG_SG_SG_bbb: ; @_ZN9rocsparseL51csrgemm_numeric_fill_block_per_row_multipass_kernelILj512ELj16ELj2048ELj64Ell21rocsparse_complex_numIdEEEvT4_PKS3_S5_NS_24const_host_device_scalarIT5_EEPKT3_S5_PKS7_SB_S5_SD_S8_SB_S5_SD_SB_S5_PS7_PS9_21rocsparse_index_base_SG_SG_SG_bbb
; %bb.0:
	s_clause 0x4
	s_load_b32 s5, s[2:3], 0xb0
	s_load_b128 s[12:15], s[2:3], 0x18
	s_load_b128 s[8:11], s[2:3], 0x58
	s_load_b64 s[6:7], s[2:3], 0x8
	s_load_b128 s[28:31], s[2:3], 0xa0
	v_mov_b64_e32 v[10:11], 0
	v_mov_b64_e32 v[8:9], 0
	;; [unrolled: 1-line block ×3, first 2 shown]
	v_mbcnt_lo_u32_b32 v1, -1, 0
	s_wait_kmcnt 0x0
	s_bitcmp1_b32 s5, 0
	v_mov_b64_e32 v[2:3], s[12:13]
	s_cselect_b32 s46, -1, 0
	s_bitcmp1_b32 s5, 16
	v_mov_b64_e32 v[4:5], s[8:9]
	s_cselect_b32 s4, -1, 0
	s_clause 0x1
	scratch_store_b64 off, v[2:3], off
	scratch_store_b64 off, v[4:5], off offset:8
	s_xor_b32 s16, s4, -1
	s_bitcmp0_b32 s5, 0
	s_cbranch_scc1 .LBB159_3
; %bb.1:
	s_wait_xcnt 0x1
	v_dual_mov_b32 v2, 0 :: v_dual_lshlrev_b32 v3, 20, v1
	v_mov_b64_e32 v[12:13], s[14:15]
	s_and_not1_b32 vcc_lo, exec_lo, s16
	s_delay_alu instid0(VALU_DEP_2) | instskip(NEXT) | instid1(VALU_DEP_1)
	v_add_nc_u64_e32 v[2:3], src_flat_scratch_base_lo, v[2:3]
	v_cndmask_b32_e64 v3, s13, v3, s4
	s_delay_alu instid0(VALU_DEP_2)
	v_cndmask_b32_e64 v2, s12, v2, s4
	flat_load_b64 v[8:9], v[2:3]
	s_cbranch_vccnz .LBB159_3
; %bb.2:
	s_wait_xcnt 0x0
	v_mov_b32_e32 v2, 0
	flat_load_b64 v[12:13], v2, s[12:13] offset:8
.LBB159_3:
	s_wait_xcnt 0x0
	s_load_b64 s[12:13], s[2:3], 0x10
	v_mov_b64_e32 v[14:15], 0
	s_bitcmp1_b32 s5, 8
	s_cselect_b32 s33, -1, 0
	s_bfe_u32 s5, s5, 0x10008
	s_delay_alu instid0(SALU_CYCLE_1)
	s_cmp_eq_u32 s5, 0
	s_cbranch_scc1 .LBB159_6
; %bb.4:
	v_dual_mov_b32 v2, 8 :: v_dual_lshlrev_b32 v3, 20, v1
	v_mov_b64_e32 v[10:11], s[10:11]
	s_and_not1_b32 vcc_lo, exec_lo, s16
	s_delay_alu instid0(VALU_DEP_2) | instskip(NEXT) | instid1(VALU_DEP_1)
	v_add_nc_u64_e32 v[2:3], src_flat_scratch_base_lo, v[2:3]
	v_cndmask_b32_e64 v3, s9, v3, s4
	s_delay_alu instid0(VALU_DEP_2)
	v_cndmask_b32_e64 v2, s8, v2, s4
	flat_load_b64 v[14:15], v[2:3]
	s_cbranch_vccnz .LBB159_6
; %bb.5:
	s_wait_xcnt 0x0
	v_mov_b32_e32 v2, 0
	flat_load_b64 v[10:11], v2, s[8:9] offset:8
.LBB159_6:
	s_load_b64 s[4:5], s[6:7], 0x0
	s_wait_xcnt 0x0
	s_bfe_u32 s6, ttmp6, 0x4000c
	s_and_b32 s7, ttmp6, 15
	s_add_co_i32 s6, s6, 1
	s_getreg_b32 s8, hwreg(HW_REG_IB_STS2, 6, 4)
	s_mul_i32 s6, ttmp9, s6
	s_mov_b32 s11, 0
	s_add_co_i32 s7, s7, s6
	s_mov_b64 s[34:35], 0
	s_wait_kmcnt 0x0
	s_lshl_b64 s[4:5], s[4:5], 3
	s_cmp_eq_u32 s8, 0
	s_add_nc_u64 s[4:5], s[12:13], s[4:5]
	s_cselect_b32 s10, ttmp9, s7
	s_load_b64 s[8:9], s[2:3], 0x28
	s_load_b64 s[6:7], s[4:5], s10 offset:0x0 scale_offset
	s_and_not1_b32 vcc_lo, exec_lo, s46
	s_wait_xcnt 0x0
	s_mov_b64 s[4:5], 0
	s_cbranch_vccz .LBB159_9
; %bb.7:
	s_and_not1_b32 vcc_lo, exec_lo, s46
	s_cbranch_vccz .LBB159_10
.LBB159_8:
	s_load_b64 s[40:41], s[2:3], 0x0
	s_wait_kmcnt 0x0
	v_cmp_lt_i64_e64 s8, s[40:41], 1
	s_and_b32 vcc_lo, exec_lo, s8
	s_cbranch_vccz .LBB159_11
	s_branch .LBB159_64
.LBB159_9:
	s_wait_kmcnt 0x0
	s_lshl_b64 s[4:5], s[6:7], 3
	s_mov_b32 s10, s28
	s_add_nc_u64 s[4:5], s[8:9], s[4:5]
	s_load_b64 s[4:5], s[4:5], 0x0
	s_wait_kmcnt 0x0
	s_sub_nc_u64 s[4:5], s[4:5], s[10:11]
	s_and_not1_b32 vcc_lo, exec_lo, s46
	s_cbranch_vccnz .LBB159_8
.LBB159_10:
	s_wait_kmcnt 0x0
	s_lshl_b64 s[10:11], s[6:7], 3
	s_delay_alu instid0(SALU_CYCLE_1)
	s_add_nc_u64 s[8:9], s[8:9], s[10:11]
	s_mov_b32 s11, 0
	s_load_b64 s[8:9], s[8:9], 0x8
	s_mov_b32 s10, s28
	s_wait_kmcnt 0x0
	s_sub_nc_u64 s[34:35], s[8:9], s[10:11]
	s_load_b64 s[40:41], s[2:3], 0x0
	s_wait_kmcnt 0x0
	v_cmp_lt_i64_e64 s8, s[40:41], 1
	s_and_b32 vcc_lo, exec_lo, s8
	s_cbranch_vccnz .LBB159_64
.LBB159_11:
	s_clause 0x2
	s_load_b256 s[12:19], s[2:3], 0x68
	s_load_b128 s[36:39], s[2:3], 0x90
	s_load_b64 s[10:11], s[2:3], 0x50
	s_load_b64 s[8:9], s[0:1], 0x4
	s_load_b256 s[20:27], s[2:3], 0x30
	s_wait_xcnt 0x0
	s_lshl_b64 s[2:3], s[6:7], 3
	v_dual_mov_b32 v17, 0 :: v_dual_bitop2_b32 v16, 15, v0 bitop3:0x40
	v_xor_b32_e32 v7, 8, v1
	v_and_b32_e32 v4, 0x3ff, v0
	v_xor_b32_e32 v20, 4, v1
	v_bfe_u32 v2, v0, 4, 6
	v_mov_b32_e32 v3, v17
	v_cmp_gt_i32_e32 vcc_lo, 32, v7
	v_bfe_u32 v6, v0, 10, 10
	v_dual_mov_b32 v5, v17 :: v_dual_bitop2_b32 v21, 2, v1 bitop3:0x14
	v_bfe_u32 v0, v0, 20, 10
	v_cndmask_b32_e32 v7, v1, v7, vcc_lo
	v_cmp_gt_i32_e32 vcc_lo, 32, v20
	s_wait_kmcnt 0x0
	s_add_nc_u64 s[0:1], s[18:19], s[2:3]
	v_xor_b32_e32 v22, 1, v1
	s_load_b64 s[6:7], s[0:1], 0x0
	s_wait_xcnt 0x0
	s_lshr_b32 s1, s8, 16
	v_add_nc_u64_e32 v[18:19], s[4:5], v[2:3]
	s_mul_i32 s1, s1, s9
	v_mul_u32_u24_e32 v3, s9, v6
	v_mul_lo_u32 v23, s1, v4
	v_cndmask_b32_e32 v6, v1, v20, vcc_lo
	v_cmp_gt_i32_e32 vcc_lo, 32, v21
	s_add_nc_u64 s[18:19], s[12:13], s[2:3]
	v_cmp_gt_i32_e64 s2, 32, v22
	s_mov_b32 s45, 0
	s_mov_b32 s44, s30
	v_cndmask_b32_e32 v24, v1, v21, vcc_lo
	v_cmp_gt_i64_e32 vcc_lo, s[34:35], v[18:19]
	v_mov_b64_e32 v[26:27], 0
	v_mov_b64_e32 v[28:29], 0x800
	v_add3_u32 v0, v23, v3, v0
	v_cmp_eq_u32_e64 s0, 0, v4
	v_cmp_eq_u32_e64 s1, 15, v16
	v_cmp_gt_u32_e64 s3, 64, v4
	s_wait_kmcnt 0x0
	s_sub_nc_u64 s[12:13], s[6:7], s[44:45]
	v_lshl_add_u32 v23, v0, 4, 0x8808
	v_dual_cndmask_b32 v0, v1, v22, s2 :: v_dual_bitop2_b32 v1, 31, v1 bitop3:0x14
	v_lshlrev_b32_e32 v50, 2, v7
	s_mov_b32 s44, s31
	v_dual_lshlrev_b32 v51, 2, v6 :: v_dual_lshlrev_b32 v52, 2, v24
	v_sub_nc_u64_e64 v[20:21], v[4:5], s[44:45]
	v_mov_b64_e32 v[24:25], s[12:13]
	v_dual_lshlrev_b32 v53, 2, v0 :: v_dual_bitop2_b32 v54, 28, v2 bitop3:0x40
	v_lshrrev_b32_e64 v22, v1, -1
	v_cmp_eq_u32_e64 s2, 0x1ff, v4
	v_cmp_gt_u32_e64 s4, 0x80, v4
	v_cmp_gt_u32_e64 s5, 0xc0, v4
	;; [unrolled: 1-line block ×6, first 2 shown]
	v_or_b32_e32 v55, 0xfffffe00, v4
	v_dual_lshlrev_b32 v56, 4, v4 :: v_dual_mov_b32 v0, v17
	v_dual_mov_b32 v1, v17 :: v_dual_mov_b32 v2, v17
	v_dual_mov_b32 v3, v17 :: v_dual_mov_b32 v57, 1
	s_mov_b32 s42, s29
	s_mov_b32 s29, s45
	;; [unrolled: 1-line block ×3, first 2 shown]
	s_and_b32 s46, s46, vcc_lo
	s_add_nc_u64 s[30:31], s[10:11], 8
	s_add_nc_u64 s[16:17], s[16:17], 8
	s_branch .LBB159_13
.LBB159_12:                             ;   in Loop: Header=BB159_13 Depth=1
	s_or_b32 exec_lo, exec_lo, s10
	ds_load_b64 v[26:27], v17 offset:34816
	s_wait_dscnt 0x0
	s_barrier_signal -1
	s_barrier_wait -1
	v_cmp_le_i64_e32 vcc_lo, s[40:41], v[26:27]
	v_add_nc_u64_e32 v[28:29], 0x800, v[26:27]
	s_cbranch_vccnz .LBB159_64
.LBB159_13:                             ; =>This Loop Header: Depth=1
                                        ;     Child Loop BB159_14 Depth 2
                                        ;     Child Loop BB159_20 Depth 2
                                        ;       Child Loop BB159_26 Depth 3
                                        ;     Child Loop BB159_43 Depth 2
                                        ;     Child Loop BB159_55 Depth 2
	;; [unrolled: 1-line block ×3, first 2 shown]
	v_dual_mov_b32 v4, v56 :: v_dual_mov_b32 v5, v55
	s_mov_b32 s10, 0
.LBB159_14:                             ;   Parent Loop BB159_13 Depth=1
                                        ; =>  This Inner Loop Header: Depth=2
	ds_store_b8 v5, v17 offset:33280
	v_add_nc_u32_e32 v5, 0x200, v5
	ds_store_b128 v4, v[0:3]
	v_add_nc_u32_e32 v4, 0x2000, v4
	v_cmp_lt_u32_e32 vcc_lo, 0x5ff, v5
	s_or_b32 s10, vcc_lo, s10
	s_delay_alu instid0(SALU_CYCLE_1)
	s_and_not1_b32 exec_lo, exec_lo, s10
	s_cbranch_execnz .LBB159_14
; %bb.15:                               ;   in Loop: Header=BB159_13 Depth=1
	s_or_b32 exec_lo, exec_lo, s10
	s_and_saveexec_b32 s10, s0
; %bb.16:                               ;   in Loop: Header=BB159_13 Depth=1
	v_mov_b64_e32 v[4:5], s[40:41]
	ds_store_b64 v17, v[4:5] offset:34816
; %bb.17:                               ;   in Loop: Header=BB159_13 Depth=1
	s_or_b32 exec_lo, exec_lo, s10
	v_mov_b64_e32 v[30:31], s[40:41]
	s_wait_storecnt 0x0
	s_wait_loadcnt_dscnt 0x0
	s_barrier_signal -1
	s_barrier_wait -1
	s_and_saveexec_b32 s13, s46
	s_cbranch_execz .LBB159_39
; %bb.18:                               ;   in Loop: Header=BB159_13 Depth=1
	v_cmp_ne_u64_e64 s10, 0, v[26:27]
	v_mov_b64_e32 v[30:31], s[40:41]
	v_mov_b64_e32 v[32:33], v[18:19]
	s_mov_b32 s47, 0
	s_branch .LBB159_20
.LBB159_19:                             ;   in Loop: Header=BB159_20 Depth=2
	s_wait_xcnt 0x0
	s_or_b32 exec_lo, exec_lo, s11
	v_add_nc_u64_e32 v[32:33], 32, v[32:33]
	s_delay_alu instid0(VALU_DEP_1) | instskip(SKIP_1) | instid1(SALU_CYCLE_1)
	v_cmp_le_i64_e32 vcc_lo, s[34:35], v[32:33]
	s_or_b32 s47, vcc_lo, s47
	s_and_not1_b32 exec_lo, exec_lo, s47
	s_cbranch_execz .LBB159_38
.LBB159_20:                             ;   Parent Loop BB159_13 Depth=1
                                        ; =>  This Loop Header: Depth=2
                                        ;       Child Loop BB159_26 Depth 3
	s_delay_alu instid0(VALU_DEP_1)
	v_lshl_add_u64 v[34:35], v[32:33], 3, s[20:21]
	v_lshl_add_u64 v[36:37], v[32:33], 4, s[22:23]
	s_and_b32 vcc_lo, exec_lo, s10
	global_load_b64 v[38:39], v[34:35], off
	s_wait_dscnt 0x0
	global_load_b128 v[4:7], v[36:37], off
	s_wait_xcnt 0x1
	v_lshl_add_u64 v[34:35], v[32:33], 3, s[38:39]
	s_cbranch_vccz .LBB159_37
; %bb.21:                               ;   in Loop: Header=BB159_20 Depth=2
	global_load_b64 v[36:37], v[34:35], off
	s_wait_loadcnt 0x2
	v_sub_nc_u64_e64 v[38:39], v[38:39], s[28:29]
	s_delay_alu instid0(VALU_DEP_1)
	v_lshl_add_u64 v[38:39], v[38:39], 3, s[24:25]
	s_cbranch_execnz .LBB159_23
.LBB159_22:                             ;   in Loop: Header=BB159_20 Depth=2
	s_wait_loadcnt 0x0
	global_load_b64 v[36:37], v[38:39], off
	s_wait_loadcnt 0x0
	v_sub_nc_u64_e64 v[36:37], v[36:37], s[42:43]
.LBB159_23:                             ;   in Loop: Header=BB159_20 Depth=2
	global_load_b64 v[38:39], v[38:39], off offset:8
	s_wait_loadcnt 0x1
	s_wait_xcnt 0x1
	v_add_nc_u64_e32 v[36:37], v[36:37], v[16:17]
	s_mov_b32 s48, exec_lo
	s_wait_loadcnt 0x0
	s_wait_xcnt 0x0
	v_sub_nc_u64_e64 v[38:39], v[38:39], s[42:43]
	s_delay_alu instid0(VALU_DEP_1)
	v_cmpx_lt_i64_e64 v[36:37], v[38:39]
	s_cbranch_execz .LBB159_35
; %bb.24:                               ;   in Loop: Header=BB159_20 Depth=2
	v_mul_f64_e64 v[40:41], v[6:7], -v[12:13]
	v_mul_f64_e32 v[6:7], v[8:9], v[6:7]
	v_mov_b64_e32 v[48:49], v[36:37]
	v_lshl_add_u64 v[42:43], v[36:37], 4, s[30:31]
	s_mov_b32 s50, 0
                                        ; implicit-def: $sgpr49
                                        ; implicit-def: $sgpr51
	s_delay_alu instid0(VALU_DEP_4) | instskip(NEXT) | instid1(VALU_DEP_4)
	v_fmac_f64_e32 v[40:41], v[8:9], v[4:5]
	v_fmac_f64_e32 v[6:7], v[12:13], v[4:5]
	v_lshl_add_u64 v[4:5], v[36:37], 3, s[26:27]
	s_branch .LBB159_26
.LBB159_25:                             ;   in Loop: Header=BB159_26 Depth=3
	s_or_b32 exec_lo, exec_lo, s52
	s_delay_alu instid0(SALU_CYCLE_1) | instskip(NEXT) | instid1(SALU_CYCLE_1)
	s_and_b32 s11, exec_lo, s12
	s_or_b32 s50, s11, s50
	s_and_not1_b32 s11, s49, exec_lo
	s_and_b32 s12, s51, exec_lo
	s_delay_alu instid0(SALU_CYCLE_1)
	s_or_b32 s49, s11, s12
	s_and_not1_b32 exec_lo, exec_lo, s50
	s_cbranch_execz .LBB159_32
.LBB159_26:                             ;   Parent Loop BB159_13 Depth=1
                                        ;     Parent Loop BB159_20 Depth=2
                                        ; =>    This Inner Loop Header: Depth=3
	global_load_b64 v[44:45], v[4:5], off
	v_mov_b64_e32 v[46:47], v[48:49]
	s_wait_loadcnt 0x0
	v_sub_nc_u64_e64 v[44:45], v[44:45], s[42:43]
	s_delay_alu instid0(VALU_DEP_1)
	v_cmp_lt_i64_e64 s11, v[44:45], v[26:27]
	v_cmp_ge_i64_e64 s12, v[44:45], v[28:29]
	v_cmp_lt_i64_e32 vcc_lo, v[44:45], v[28:29]
	s_or_b32 s12, s11, s12
	s_mov_b32 s11, 0
	s_wait_xcnt 0x0
	s_and_saveexec_b32 s52, s12
	s_delay_alu instid0(SALU_CYCLE_1)
	s_xor_b32 s12, exec_lo, s52
; %bb.27:                               ;   in Loop: Header=BB159_26 Depth=3
	s_and_b32 s11, vcc_lo, exec_lo
; %bb.28:                               ;   in Loop: Header=BB159_26 Depth=3
	s_and_not1_saveexec_b32 s12, s12
	s_cbranch_execz .LBB159_30
; %bb.29:                               ;   in Loop: Header=BB159_26 Depth=3
	global_load_b128 v[58:61], v[42:43], off offset:-8
	s_or_b32 s11, s11, exec_lo
	s_wait_loadcnt 0x0
	v_mul_f64_e64 v[48:49], v[60:61], -v[6:7]
	v_mul_f64_e32 v[60:61], v[40:41], v[60:61]
	s_delay_alu instid0(VALU_DEP_2) | instskip(NEXT) | instid1(VALU_DEP_2)
	v_fmac_f64_e32 v[48:49], v[40:41], v[58:59]
	v_fmac_f64_e32 v[60:61], v[6:7], v[58:59]
	v_sub_nc_u32_e32 v58, v44, v26
	s_delay_alu instid0(VALU_DEP_1)
	v_lshlrev_b32_e32 v59, 4, v58
	ds_store_b8 v58, v57 offset:32768
	ds_add_f64 v59, v[48:49]
	ds_add_f64 v59, v[60:61] offset:8
.LBB159_30:                             ;   in Loop: Header=BB159_26 Depth=3
	s_wait_xcnt 0x0
	s_or_b32 exec_lo, exec_lo, s12
	s_mov_b32 s12, -1
	s_or_b32 s51, s51, exec_lo
                                        ; implicit-def: $vgpr48_vgpr49
	s_and_saveexec_b32 s52, s11
	s_cbranch_execz .LBB159_25
; %bb.31:                               ;   in Loop: Header=BB159_26 Depth=3
	v_add_nc_u64_e32 v[48:49], 16, v[46:47]
	v_add_nc_u64_e32 v[4:5], 0x80, v[4:5]
	;; [unrolled: 1-line block ×3, first 2 shown]
	s_and_not1_b32 s51, s51, exec_lo
	s_delay_alu instid0(VALU_DEP_3)
	v_cmp_ge_i64_e32 vcc_lo, v[48:49], v[38:39]
	s_or_not1_b32 s12, vcc_lo, exec_lo
	s_branch .LBB159_25
.LBB159_32:                             ;   in Loop: Header=BB159_20 Depth=2
	s_or_b32 exec_lo, exec_lo, s50
	s_and_saveexec_b32 s11, s49
	s_delay_alu instid0(SALU_CYCLE_1)
	s_xor_b32 s11, exec_lo, s11
	s_cbranch_execz .LBB159_34
; %bb.33:                               ;   in Loop: Header=BB159_20 Depth=2
	v_min_i64 v[30:31], v[44:45], v[30:31]
	v_mov_b64_e32 v[36:37], v[46:47]
.LBB159_34:                             ;   in Loop: Header=BB159_20 Depth=2
	s_or_b32 exec_lo, exec_lo, s11
.LBB159_35:                             ;   in Loop: Header=BB159_20 Depth=2
	s_delay_alu instid0(SALU_CYCLE_1)
	s_or_b32 exec_lo, exec_lo, s48
	ds_bpermute_b32 v4, v50, v36
	ds_bpermute_b32 v5, v50, v37
	s_wait_dscnt 0x0
	v_min_i64 v[4:5], v[4:5], v[36:37]
	ds_bpermute_b32 v6, v51, v4
	ds_bpermute_b32 v7, v51, v5
	s_wait_dscnt 0x0
	v_min_i64 v[4:5], v[6:7], v[4:5]
	;; [unrolled: 4-line block ×3, first 2 shown]
	ds_bpermute_b32 v6, v53, v4
	ds_bpermute_b32 v7, v53, v5
	s_and_saveexec_b32 s11, s1
	s_cbranch_execz .LBB159_19
; %bb.36:                               ;   in Loop: Header=BB159_20 Depth=2
	s_wait_dscnt 0x0
	v_min_i64 v[4:5], v[6:7], v[4:5]
	global_store_b64 v[34:35], v[4:5], off
	s_branch .LBB159_19
.LBB159_37:                             ;   in Loop: Header=BB159_20 Depth=2
                                        ; implicit-def: $vgpr36_vgpr37
	s_wait_loadcnt 0x1
	v_sub_nc_u64_e64 v[38:39], v[38:39], s[28:29]
	s_delay_alu instid0(VALU_DEP_1)
	v_lshl_add_u64 v[38:39], v[38:39], 3, s[24:25]
	s_branch .LBB159_22
.LBB159_38:                             ;   in Loop: Header=BB159_13 Depth=1
	s_or_b32 exec_lo, exec_lo, s47
.LBB159_39:                             ;   in Loop: Header=BB159_13 Depth=1
	s_delay_alu instid0(SALU_CYCLE_1) | instskip(NEXT) | instid1(SALU_CYCLE_1)
	s_or_b32 exec_lo, exec_lo, s13
	s_and_not1_b32 vcc_lo, exec_lo, s33
	s_cbranch_vccnz .LBB159_53
; %bb.40:                               ;   in Loop: Header=BB159_13 Depth=1
	s_load_b128 s[48:51], s[18:19], 0x0
	s_mov_b32 s47, exec_lo
	s_wait_kmcnt 0x0
	v_add_nc_u64_e32 v[4:5], s[48:49], v[20:21]
	s_sub_nc_u64 s[12:13], s[50:51], s[44:45]
	s_delay_alu instid0(VALU_DEP_1) | instid1(SALU_CYCLE_1)
	v_cmpx_gt_i64_e64 s[12:13], v[4:5]
	s_cbranch_execz .LBB159_52
; %bb.41:                               ;   in Loop: Header=BB159_13 Depth=1
	s_wait_dscnt 0x0
	v_lshl_add_u64 v[6:7], v[4:5], 3, s[14:15]
	v_lshl_add_u64 v[32:33], v[4:5], 4, s[16:17]
	s_mov_b32 s48, 0
                                        ; implicit-def: $sgpr49
                                        ; implicit-def: $sgpr50
	s_branch .LBB159_43
.LBB159_42:                             ;   in Loop: Header=BB159_43 Depth=2
	s_or_b32 exec_lo, exec_lo, s51
	s_delay_alu instid0(SALU_CYCLE_1) | instskip(NEXT) | instid1(SALU_CYCLE_1)
	s_and_b32 s10, exec_lo, s11
	s_or_b32 s48, s10, s48
	s_and_not1_b32 s10, s49, exec_lo
	s_and_b32 s11, s50, exec_lo
	s_delay_alu instid0(SALU_CYCLE_1)
	s_or_b32 s49, s10, s11
	s_and_not1_b32 exec_lo, exec_lo, s48
	s_cbranch_execz .LBB159_49
.LBB159_43:                             ;   Parent Loop BB159_13 Depth=1
                                        ; =>  This Inner Loop Header: Depth=2
	global_load_b64 v[34:35], v[6:7], off
	s_wait_loadcnt 0x0
	v_sub_nc_u64_e64 v[34:35], v[34:35], s[44:45]
	s_delay_alu instid0(VALU_DEP_1)
	v_cmp_lt_i64_e64 s10, v[34:35], v[26:27]
	v_cmp_ge_i64_e64 s11, v[34:35], v[28:29]
	v_cmp_lt_i64_e32 vcc_lo, v[34:35], v[28:29]
	s_or_b32 s11, s10, s11
	s_mov_b32 s10, 0
	s_wait_xcnt 0x0
	s_and_saveexec_b32 s51, s11
	s_delay_alu instid0(SALU_CYCLE_1)
	s_xor_b32 s11, exec_lo, s51
; %bb.44:                               ;   in Loop: Header=BB159_43 Depth=2
	s_and_b32 s10, vcc_lo, exec_lo
; %bb.45:                               ;   in Loop: Header=BB159_43 Depth=2
	s_and_not1_saveexec_b32 s11, s11
	s_cbranch_execz .LBB159_47
; %bb.46:                               ;   in Loop: Header=BB159_43 Depth=2
	global_load_b128 v[36:39], v[32:33], off offset:-8
	s_or_b32 s10, s10, exec_lo
	s_wait_loadcnt 0x0
	v_mul_f64_e64 v[40:41], v[38:39], -v[10:11]
	v_mul_f64_e32 v[38:39], v[14:15], v[38:39]
	s_delay_alu instid0(VALU_DEP_2) | instskip(NEXT) | instid1(VALU_DEP_2)
	v_fmac_f64_e32 v[40:41], v[14:15], v[36:37]
	v_fmac_f64_e32 v[38:39], v[10:11], v[36:37]
	v_sub_nc_u32_e32 v36, v34, v26
	s_delay_alu instid0(VALU_DEP_1)
	v_lshlrev_b32_e32 v37, 4, v36
	ds_store_b8 v36, v57 offset:32768
	ds_add_f64 v37, v[40:41]
	ds_add_f64 v37, v[38:39] offset:8
.LBB159_47:                             ;   in Loop: Header=BB159_43 Depth=2
	s_wait_xcnt 0x0
	s_or_b32 exec_lo, exec_lo, s11
	s_mov_b32 s11, -1
	s_or_b32 s50, s50, exec_lo
	s_and_saveexec_b32 s51, s10
	s_cbranch_execz .LBB159_42
; %bb.48:                               ;   in Loop: Header=BB159_43 Depth=2
	v_add_nc_u64_e32 v[4:5], 0x200, v[4:5]
	v_add_nc_u64_e32 v[6:7], 0x1000, v[6:7]
	;; [unrolled: 1-line block ×3, first 2 shown]
	s_and_not1_b32 s50, s50, exec_lo
	s_delay_alu instid0(VALU_DEP_3)
	v_cmp_le_i64_e32 vcc_lo, s[12:13], v[4:5]
	s_or_not1_b32 s11, vcc_lo, exec_lo
	s_branch .LBB159_42
.LBB159_49:                             ;   in Loop: Header=BB159_13 Depth=1
	s_or_b32 exec_lo, exec_lo, s48
	s_and_saveexec_b32 s10, s49
	s_delay_alu instid0(SALU_CYCLE_1)
	s_xor_b32 s10, exec_lo, s10
; %bb.50:                               ;   in Loop: Header=BB159_13 Depth=1
	v_min_i64 v[30:31], v[34:35], v[30:31]
; %bb.51:                               ;   in Loop: Header=BB159_13 Depth=1
	s_or_b32 exec_lo, exec_lo, s10
.LBB159_52:                             ;   in Loop: Header=BB159_13 Depth=1
	s_delay_alu instid0(SALU_CYCLE_1)
	s_or_b32 exec_lo, exec_lo, s47
.LBB159_53:                             ;   in Loop: Header=BB159_13 Depth=1
	ds_bpermute_b32 v4, v50, v30
	ds_bpermute_b32 v5, v50, v31
	s_wait_dscnt 0x0
	v_min_i64 v[4:5], v[4:5], v[30:31]
	ds_bpermute_b32 v6, v51, v4
	ds_bpermute_b32 v7, v51, v5
	s_wait_dscnt 0x0
	v_min_i64 v[4:5], v[6:7], v[4:5]
	;; [unrolled: 4-line block ×3, first 2 shown]
	ds_bpermute_b32 v6, v53, v4
	ds_bpermute_b32 v7, v53, v5
	s_and_saveexec_b32 s10, s1
	s_cbranch_execz .LBB159_58
; %bb.54:                               ;   in Loop: Header=BB159_13 Depth=1
	s_wait_dscnt 0x0
	v_min_i64 v[6:7], v[6:7], v[4:5]
	v_mov_b64_e32 v[4:5], -1
	s_mov_b32 s11, exec_lo
.LBB159_55:                             ;   Parent Loop BB159_13 Depth=1
                                        ; =>  This Inner Loop Header: Depth=2
	s_delay_alu instid0(SALU_CYCLE_1)
	s_ctz_i32_b32 s47, s11
	s_delay_alu instid0(VALU_DEP_2) | instid1(SALU_CYCLE_1)
	v_readlane_b32 s13, v7, s47
	s_delay_alu instid0(VALU_DEP_3) | instskip(NEXT) | instid1(VALU_DEP_1)
	v_readlane_b32 s12, v6, s47
	v_min_u64 v[4:5], v[4:5], s[12:13]
	s_lshl_b32 s12, 1, s47
	s_delay_alu instid0(SALU_CYCLE_1) | instskip(NEXT) | instid1(SALU_CYCLE_1)
	s_and_not1_b32 s11, s11, s12
	s_cmp_lg_u32 s11, 0
	s_cbranch_scc1 .LBB159_55
; %bb.56:                               ;   in Loop: Header=BB159_13 Depth=1
	v_mbcnt_lo_u32_b32 v6, exec_lo, 0
	s_mov_b32 s11, exec_lo
	s_delay_alu instid0(VALU_DEP_1)
	v_cmpx_eq_u32_e32 0, v6
	s_xor_b32 s11, exec_lo, s11
; %bb.57:                               ;   in Loop: Header=BB159_13 Depth=1
	ds_min_u64 v17, v[4:5] offset:34816
.LBB159_58:                             ;   in Loop: Header=BB159_13 Depth=1
	s_or_b32 exec_lo, exec_lo, s10
	s_wait_dscnt 0x0
	v_dual_mov_b32 v6, v56 :: v_dual_mov_b32 v7, v55
	s_mov_b32 s10, 0
	s_wait_storecnt 0x0
	s_barrier_signal -1
	s_barrier_wait -1
	s_branch .LBB159_60
.LBB159_59:                             ;   in Loop: Header=BB159_60 Depth=2
	s_or_b32 exec_lo, exec_lo, s11
	s_wait_storecnt_dscnt 0x0
	s_barrier_signal -1
	s_barrier_wait -1
	ds_load_b32 v4, v17 offset:28
	v_add_nc_u32_e32 v7, 0x200, v7
	v_add_nc_u32_e32 v6, 0x2000, v6
	s_delay_alu instid0(VALU_DEP_2) | instskip(SKIP_3) | instid1(VALU_DEP_1)
	v_cmp_lt_u32_e32 vcc_lo, 0x5ff, v7
	s_or_b32 s10, vcc_lo, s10
	s_wait_dscnt 0x0
	v_ashrrev_i32_e32 v5, 31, v4
	v_add_nc_u64_e32 v[24:25], v[24:25], v[4:5]
	s_and_not1_b32 exec_lo, exec_lo, s10
	s_cbranch_execz .LBB159_12
.LBB159_60:                             ;   Parent Loop BB159_13 Depth=1
                                        ; =>  This Inner Loop Header: Depth=2
	ds_load_u8 v4, v7 offset:33280
	ds_load_2addr_b64 v[26:29], v6 offset1:1
	s_wait_dscnt 0x1
	v_cmp_ne_u16_e32 vcc_lo, 0, v4
	s_wait_dscnt 0x0
	ds_store_2addr_b64 v23, v[26:27], v[28:29] offset1:1
	s_wait_dscnt 0x0
	s_barrier_signal -1
	s_barrier_wait -1
	s_bcnt1_i32_b32 s11, vcc_lo
	s_delay_alu instid0(SALU_CYCLE_1)
	v_mov_b32_e32 v5, s11
	s_mov_b32 s11, exec_lo
	ds_store_b32 v54, v5
	s_wait_dscnt 0x0
	s_barrier_signal -1
	s_barrier_wait -1
	ds_load_b128 v[26:29], v17
	ds_load_b96 v[30:32], v17 offset:16
	v_and_b32_e32 v5, vcc_lo, v22
	s_wait_dscnt 0x1
	v_cndmask_b32_e64 v26, v26, 0, s3
	v_cndmask_b32_e64 v27, v27, 0, s4
	;; [unrolled: 1-line block ×3, first 2 shown]
	s_delay_alu instid0(VALU_DEP_3) | instskip(SKIP_3) | instid1(VALU_DEP_3)
	v_bcnt_u32_b32 v5, v5, v26
	v_cndmask_b32_e64 v26, v29, 0, s6
	s_wait_dscnt 0x0
	v_cndmask_b32_e64 v29, v30, 0, s7
	v_add3_u32 v5, v5, v27, v28
	v_cndmask_b32_e64 v27, v31, 0, s8
	v_cndmask_b32_e64 v28, v32, 0, s9
	s_delay_alu instid0(VALU_DEP_3) | instskip(SKIP_1) | instid1(VALU_DEP_2)
	v_add3_u32 v5, v5, v26, v29
	v_and_b32_e32 v26, 1, v4
	v_add3_u32 v4, v5, v27, v28
	s_delay_alu instid0(VALU_DEP_2)
	v_cmpx_eq_u32_e32 1, v26
	s_cbranch_execz .LBB159_62
; %bb.61:                               ;   in Loop: Header=BB159_60 Depth=2
	ds_load_2addr_b64 v[26:29], v23 offset1:1
	v_lshl_add_u64 v[30:31], v[24:25], 4, s[36:37]
	v_ashrrev_i32_e32 v5, 31, v4
	s_delay_alu instid0(VALU_DEP_1)
	v_lshl_add_u64 v[30:31], v[4:5], 4, v[30:31]
	s_wait_dscnt 0x0
	global_store_b128 v[30:31], v[26:29], off offset:-16
.LBB159_62:                             ;   in Loop: Header=BB159_60 Depth=2
	s_wait_xcnt 0x0
	s_or_b32 exec_lo, exec_lo, s11
	s_and_saveexec_b32 s11, s2
	s_cbranch_execz .LBB159_59
; %bb.63:                               ;   in Loop: Header=BB159_60 Depth=2
	ds_store_b32 v17, v4 offset:28
	s_branch .LBB159_59
.LBB159_64:
	s_endpgm
	.section	.rodata,"a",@progbits
	.p2align	6, 0x0
	.amdhsa_kernel _ZN9rocsparseL51csrgemm_numeric_fill_block_per_row_multipass_kernelILj512ELj16ELj2048ELj64Ell21rocsparse_complex_numIdEEEvT4_PKS3_S5_NS_24const_host_device_scalarIT5_EEPKT3_S5_PKS7_SB_S5_SD_S8_SB_S5_SD_SB_S5_PS7_PS9_21rocsparse_index_base_SG_SG_SG_bbb
		.amdhsa_group_segment_fixed_size 43016
		.amdhsa_private_segment_fixed_size 24
		.amdhsa_kernarg_size 180
		.amdhsa_user_sgpr_count 4
		.amdhsa_user_sgpr_dispatch_ptr 1
		.amdhsa_user_sgpr_queue_ptr 0
		.amdhsa_user_sgpr_kernarg_segment_ptr 1
		.amdhsa_user_sgpr_dispatch_id 0
		.amdhsa_user_sgpr_kernarg_preload_length 0
		.amdhsa_user_sgpr_kernarg_preload_offset 0
		.amdhsa_user_sgpr_private_segment_size 0
		.amdhsa_wavefront_size32 1
		.amdhsa_uses_dynamic_stack 0
		.amdhsa_enable_private_segment 1
		.amdhsa_system_sgpr_workgroup_id_x 1
		.amdhsa_system_sgpr_workgroup_id_y 0
		.amdhsa_system_sgpr_workgroup_id_z 0
		.amdhsa_system_sgpr_workgroup_info 0
		.amdhsa_system_vgpr_workitem_id 2
		.amdhsa_next_free_vgpr 62
		.amdhsa_next_free_sgpr 53
		.amdhsa_named_barrier_count 0
		.amdhsa_reserve_vcc 1
		.amdhsa_float_round_mode_32 0
		.amdhsa_float_round_mode_16_64 0
		.amdhsa_float_denorm_mode_32 3
		.amdhsa_float_denorm_mode_16_64 3
		.amdhsa_fp16_overflow 0
		.amdhsa_memory_ordered 1
		.amdhsa_forward_progress 1
		.amdhsa_inst_pref_size 24
		.amdhsa_round_robin_scheduling 0
		.amdhsa_exception_fp_ieee_invalid_op 0
		.amdhsa_exception_fp_denorm_src 0
		.amdhsa_exception_fp_ieee_div_zero 0
		.amdhsa_exception_fp_ieee_overflow 0
		.amdhsa_exception_fp_ieee_underflow 0
		.amdhsa_exception_fp_ieee_inexact 0
		.amdhsa_exception_int_div_zero 0
	.end_amdhsa_kernel
	.section	.text._ZN9rocsparseL51csrgemm_numeric_fill_block_per_row_multipass_kernelILj512ELj16ELj2048ELj64Ell21rocsparse_complex_numIdEEEvT4_PKS3_S5_NS_24const_host_device_scalarIT5_EEPKT3_S5_PKS7_SB_S5_SD_S8_SB_S5_SD_SB_S5_PS7_PS9_21rocsparse_index_base_SG_SG_SG_bbb,"axG",@progbits,_ZN9rocsparseL51csrgemm_numeric_fill_block_per_row_multipass_kernelILj512ELj16ELj2048ELj64Ell21rocsparse_complex_numIdEEEvT4_PKS3_S5_NS_24const_host_device_scalarIT5_EEPKT3_S5_PKS7_SB_S5_SD_S8_SB_S5_SD_SB_S5_PS7_PS9_21rocsparse_index_base_SG_SG_SG_bbb,comdat
.Lfunc_end159:
	.size	_ZN9rocsparseL51csrgemm_numeric_fill_block_per_row_multipass_kernelILj512ELj16ELj2048ELj64Ell21rocsparse_complex_numIdEEEvT4_PKS3_S5_NS_24const_host_device_scalarIT5_EEPKT3_S5_PKS7_SB_S5_SD_S8_SB_S5_SD_SB_S5_PS7_PS9_21rocsparse_index_base_SG_SG_SG_bbb, .Lfunc_end159-_ZN9rocsparseL51csrgemm_numeric_fill_block_per_row_multipass_kernelILj512ELj16ELj2048ELj64Ell21rocsparse_complex_numIdEEEvT4_PKS3_S5_NS_24const_host_device_scalarIT5_EEPKT3_S5_PKS7_SB_S5_SD_S8_SB_S5_SD_SB_S5_PS7_PS9_21rocsparse_index_base_SG_SG_SG_bbb
                                        ; -- End function
	.set _ZN9rocsparseL51csrgemm_numeric_fill_block_per_row_multipass_kernelILj512ELj16ELj2048ELj64Ell21rocsparse_complex_numIdEEEvT4_PKS3_S5_NS_24const_host_device_scalarIT5_EEPKT3_S5_PKS7_SB_S5_SD_S8_SB_S5_SD_SB_S5_PS7_PS9_21rocsparse_index_base_SG_SG_SG_bbb.num_vgpr, 62
	.set _ZN9rocsparseL51csrgemm_numeric_fill_block_per_row_multipass_kernelILj512ELj16ELj2048ELj64Ell21rocsparse_complex_numIdEEEvT4_PKS3_S5_NS_24const_host_device_scalarIT5_EEPKT3_S5_PKS7_SB_S5_SD_S8_SB_S5_SD_SB_S5_PS7_PS9_21rocsparse_index_base_SG_SG_SG_bbb.num_agpr, 0
	.set _ZN9rocsparseL51csrgemm_numeric_fill_block_per_row_multipass_kernelILj512ELj16ELj2048ELj64Ell21rocsparse_complex_numIdEEEvT4_PKS3_S5_NS_24const_host_device_scalarIT5_EEPKT3_S5_PKS7_SB_S5_SD_S8_SB_S5_SD_SB_S5_PS7_PS9_21rocsparse_index_base_SG_SG_SG_bbb.numbered_sgpr, 53
	.set _ZN9rocsparseL51csrgemm_numeric_fill_block_per_row_multipass_kernelILj512ELj16ELj2048ELj64Ell21rocsparse_complex_numIdEEEvT4_PKS3_S5_NS_24const_host_device_scalarIT5_EEPKT3_S5_PKS7_SB_S5_SD_S8_SB_S5_SD_SB_S5_PS7_PS9_21rocsparse_index_base_SG_SG_SG_bbb.num_named_barrier, 0
	.set _ZN9rocsparseL51csrgemm_numeric_fill_block_per_row_multipass_kernelILj512ELj16ELj2048ELj64Ell21rocsparse_complex_numIdEEEvT4_PKS3_S5_NS_24const_host_device_scalarIT5_EEPKT3_S5_PKS7_SB_S5_SD_S8_SB_S5_SD_SB_S5_PS7_PS9_21rocsparse_index_base_SG_SG_SG_bbb.private_seg_size, 24
	.set _ZN9rocsparseL51csrgemm_numeric_fill_block_per_row_multipass_kernelILj512ELj16ELj2048ELj64Ell21rocsparse_complex_numIdEEEvT4_PKS3_S5_NS_24const_host_device_scalarIT5_EEPKT3_S5_PKS7_SB_S5_SD_S8_SB_S5_SD_SB_S5_PS7_PS9_21rocsparse_index_base_SG_SG_SG_bbb.uses_vcc, 1
	.set _ZN9rocsparseL51csrgemm_numeric_fill_block_per_row_multipass_kernelILj512ELj16ELj2048ELj64Ell21rocsparse_complex_numIdEEEvT4_PKS3_S5_NS_24const_host_device_scalarIT5_EEPKT3_S5_PKS7_SB_S5_SD_S8_SB_S5_SD_SB_S5_PS7_PS9_21rocsparse_index_base_SG_SG_SG_bbb.uses_flat_scratch, 1
	.set _ZN9rocsparseL51csrgemm_numeric_fill_block_per_row_multipass_kernelILj512ELj16ELj2048ELj64Ell21rocsparse_complex_numIdEEEvT4_PKS3_S5_NS_24const_host_device_scalarIT5_EEPKT3_S5_PKS7_SB_S5_SD_S8_SB_S5_SD_SB_S5_PS7_PS9_21rocsparse_index_base_SG_SG_SG_bbb.has_dyn_sized_stack, 0
	.set _ZN9rocsparseL51csrgemm_numeric_fill_block_per_row_multipass_kernelILj512ELj16ELj2048ELj64Ell21rocsparse_complex_numIdEEEvT4_PKS3_S5_NS_24const_host_device_scalarIT5_EEPKT3_S5_PKS7_SB_S5_SD_S8_SB_S5_SD_SB_S5_PS7_PS9_21rocsparse_index_base_SG_SG_SG_bbb.has_recursion, 0
	.set _ZN9rocsparseL51csrgemm_numeric_fill_block_per_row_multipass_kernelILj512ELj16ELj2048ELj64Ell21rocsparse_complex_numIdEEEvT4_PKS3_S5_NS_24const_host_device_scalarIT5_EEPKT3_S5_PKS7_SB_S5_SD_S8_SB_S5_SD_SB_S5_PS7_PS9_21rocsparse_index_base_SG_SG_SG_bbb.has_indirect_call, 0
	.section	.AMDGPU.csdata,"",@progbits
; Kernel info:
; codeLenInByte = 3060
; TotalNumSgprs: 55
; NumVgprs: 62
; ScratchSize: 24
; MemoryBound: 0
; FloatMode: 240
; IeeeMode: 1
; LDSByteSize: 43016 bytes/workgroup (compile time only)
; SGPRBlocks: 0
; VGPRBlocks: 3
; NumSGPRsForWavesPerEU: 55
; NumVGPRsForWavesPerEU: 62
; NamedBarCnt: 0
; Occupancy: 16
; WaveLimiterHint : 1
; COMPUTE_PGM_RSRC2:SCRATCH_EN: 1
; COMPUTE_PGM_RSRC2:USER_SGPR: 4
; COMPUTE_PGM_RSRC2:TRAP_HANDLER: 0
; COMPUTE_PGM_RSRC2:TGID_X_EN: 1
; COMPUTE_PGM_RSRC2:TGID_Y_EN: 0
; COMPUTE_PGM_RSRC2:TGID_Z_EN: 0
; COMPUTE_PGM_RSRC2:TIDIG_COMP_CNT: 2
	.section	.text._ZN9rocsparseL38csrgemm_numeric_fill_wf_per_row_kernelILj256ELj8ELj16ELj137ElifEEvT4_S1_PKS1_S3_NS_24const_host_device_scalarIT5_EEPKT3_S3_PKS5_S9_S3_SB_S6_S9_S3_SB_S9_S3_PS5_21rocsparse_index_base_SD_SD_SD_bbb,"axG",@progbits,_ZN9rocsparseL38csrgemm_numeric_fill_wf_per_row_kernelILj256ELj8ELj16ELj137ElifEEvT4_S1_PKS1_S3_NS_24const_host_device_scalarIT5_EEPKT3_S3_PKS5_S9_S3_SB_S6_S9_S3_SB_S9_S3_PS5_21rocsparse_index_base_SD_SD_SD_bbb,comdat
	.globl	_ZN9rocsparseL38csrgemm_numeric_fill_wf_per_row_kernelILj256ELj8ELj16ELj137ElifEEvT4_S1_PKS1_S3_NS_24const_host_device_scalarIT5_EEPKT3_S3_PKS5_S9_S3_SB_S6_S9_S3_SB_S9_S3_PS5_21rocsparse_index_base_SD_SD_SD_bbb ; -- Begin function _ZN9rocsparseL38csrgemm_numeric_fill_wf_per_row_kernelILj256ELj8ELj16ELj137ElifEEvT4_S1_PKS1_S3_NS_24const_host_device_scalarIT5_EEPKT3_S3_PKS5_S9_S3_SB_S6_S9_S3_SB_S9_S3_PS5_21rocsparse_index_base_SD_SD_SD_bbb
	.p2align	8
	.type	_ZN9rocsparseL38csrgemm_numeric_fill_wf_per_row_kernelILj256ELj8ELj16ELj137ElifEEvT4_S1_PKS1_S3_NS_24const_host_device_scalarIT5_EEPKT3_S3_PKS5_S9_S3_SB_S6_S9_S3_SB_S9_S3_PS5_21rocsparse_index_base_SD_SD_SD_bbb,@function
_ZN9rocsparseL38csrgemm_numeric_fill_wf_per_row_kernelILj256ELj8ELj16ELj137ElifEEvT4_S1_PKS1_S3_NS_24const_host_device_scalarIT5_EEPKT3_S3_PKS5_S9_S3_SB_S6_S9_S3_SB_S9_S3_PS5_21rocsparse_index_base_SD_SD_SD_bbb: ; @_ZN9rocsparseL38csrgemm_numeric_fill_wf_per_row_kernelILj256ELj8ELj16ELj137ElifEEvT4_S1_PKS1_S3_NS_24const_host_device_scalarIT5_EEPKT3_S3_PKS5_S9_S3_SB_S6_S9_S3_SB_S9_S3_PS5_21rocsparse_index_base_SD_SD_SD_bbb
; %bb.0:
	s_clause 0x3
	s_load_b32 s6, s[0:1], 0x98
	s_load_b64 s[4:5], s[0:1], 0x18
	s_load_b128 s[20:23], s[0:1], 0x88
	s_load_b64 s[2:3], s[0:1], 0x50
	s_wait_kmcnt 0x0
	s_and_b32 s8, 1, s6
	s_bitcmp1_b32 s6, 16
	s_cselect_b32 s7, -1, 0
	s_cmp_eq_u32 s8, 1
	s_cselect_b32 s38, -1, 0
	s_delay_alu instid0(SALU_CYCLE_1) | instskip(SKIP_2) | instid1(SALU_CYCLE_1)
	s_and_b32 s8, s38, exec_lo
	s_cselect_b32 s36, s4, 0
	s_xor_b32 s8, s38, -1
	s_or_b32 s8, s7, s8
	s_delay_alu instid0(SALU_CYCLE_1)
	s_and_b32 vcc_lo, exec_lo, s8
	s_cbranch_vccnz .LBB160_2
; %bb.1:
	s_load_b32 s36, s[4:5], 0x0
.LBB160_2:
	s_load_b128 s[28:31], s[0:1], 0x8
	s_bitcmp1_b32 s6, 8
	s_cselect_b32 s37, -1, 0
	s_wait_xcnt 0x0
	s_and_b32 s4, s37, exec_lo
	s_cselect_b32 s33, s2, 0
	s_xor_b32 s4, s37, -1
	s_delay_alu instid0(SALU_CYCLE_1) | instskip(NEXT) | instid1(SALU_CYCLE_1)
	s_or_b32 s4, s7, s4
	s_and_b32 vcc_lo, exec_lo, s4
	s_cbranch_vccnz .LBB160_4
; %bb.3:
	s_load_b32 s33, s[2:3], 0x0
.LBB160_4:
	s_wait_xcnt 0x0
	s_clause 0x2
	s_load_b64 s[2:3], s[0:1], 0x0
	s_load_b64 s[34:35], s[0:1], 0x80
	s_load_b256 s[4:11], s[0:1], 0x58
	v_dual_lshrrev_b32 v0, 3, v0 :: v_dual_bitop2_b32 v6, 7, v0 bitop3:0x40
	s_clause 0x1
	s_load_b128 s[24:27], s[0:1], 0x40
	s_load_b256 s[12:19], s[0:1], 0x20
	s_wait_xcnt 0x0
	s_mov_b32 s0, 0
	v_dual_lshlrev_b32 v1, 2, v6 :: v_dual_bitop2_b32 v13, -8, v6 bitop3:0x54
	s_delay_alu instid0(VALU_DEP_1) | instskip(NEXT) | instid1(VALU_DEP_2)
	v_lshl_or_b32 v12, v0, 6, v1
	v_dual_mov_b32 v1, 0 :: v_dual_mov_b32 v4, v13
	s_wait_kmcnt 0x0
	s_delay_alu instid0(VALU_DEP_2)
	v_dual_mov_b32 v2, v12 :: v_dual_mov_b32 v3, s3
.LBB160_5:                              ; =>This Inner Loop Header: Depth=1
	s_delay_alu instid0(VALU_DEP_2) | instskip(SKIP_4) | instid1(SALU_CYCLE_1)
	v_add_co_u32 v4, s1, v4, 8
	s_xor_b32 s1, s1, -1
	ds_store_2addr_stride64_b32 v2, v1, v3 offset1:8
	v_add_nc_u32_e32 v2, 32, v2
	s_and_b32 s1, exec_lo, s1
	s_or_b32 s0, s1, s0
	s_delay_alu instid0(SALU_CYCLE_1)
	s_and_not1_b32 exec_lo, exec_lo, s0
	s_cbranch_execnz .LBB160_5
; %bb.6:
	s_or_b32 exec_lo, exec_lo, s0
	s_bfe_u32 s0, ttmp6, 0x4000c
	s_and_b32 s1, ttmp6, 15
	s_add_co_i32 s0, s0, 1
	s_getreg_b32 s39, hwreg(HW_REG_IB_STS2, 6, 4)
	s_mul_i32 s0, ttmp9, s0
	s_wait_dscnt 0x0
	s_add_co_i32 s1, s1, s0
	s_cmp_eq_u32 s39, 0
	s_cselect_b32 s0, ttmp9, s1
	s_delay_alu instid0(SALU_CYCLE_1) | instskip(NEXT) | instid1(SALU_CYCLE_1)
	s_lshl_b32 s0, s0, 5
	v_and_or_b32 v4, 0x1fffffe0, s0, v0
	s_mov_b32 s0, exec_lo
	s_delay_alu instid0(VALU_DEP_1)
	v_cmpx_gt_i32_e64 s2, v4
	s_cbranch_execz .LBB160_45
; %bb.7:
	s_cmp_eq_u64 s[30:31], 0
	s_cbranch_scc1 .LBB160_9
; %bb.8:
	s_load_b32 s0, s[28:29], 0x0
	s_wait_kmcnt 0x0
	v_add_nc_u32_e32 v1, s0, v4
	global_load_b32 v4, v1, s[30:31] scale_offset
.LBB160_9:
	v_lshlrev_b32_e32 v15, 6, v0
	s_wait_loadcnt 0x0
	v_ashrrev_i32_e32 v5, 31, v4
	s_and_not1_b32 vcc_lo, exec_lo, s38
	s_delay_alu instid0(VALU_DEP_2)
	v_or_b32_e32 v14, 0x800, v15
	s_cbranch_vccnz .LBB160_27
; %bb.10:
	s_delay_alu instid0(VALU_DEP_2)
	v_lshl_add_u64 v[0:1], v[4:5], 3, s[12:13]
	v_mov_b32_e32 v7, 0
	s_mov_b32 s1, 0
	s_mov_b32 s0, s20
	s_mov_b32 s2, exec_lo
	global_load_b128 v[0:3], v[0:1], off
	v_sub_nc_u64_e64 v[10:11], v[6:7], s[0:1]
	s_wait_loadcnt 0x0
	v_sub_nc_u64_e64 v[8:9], v[2:3], s[0:1]
	s_delay_alu instid0(VALU_DEP_2) | instskip(NEXT) | instid1(VALU_DEP_1)
	v_add_nc_u64_e32 v[10:11], v[0:1], v[10:11]
	v_cmpx_lt_i64_e64 v[10:11], v[8:9]
	s_cbranch_execz .LBB160_26
; %bb.11:
	s_mov_b32 s0, s21
	s_mov_b32 s12, s1
	s_branch .LBB160_13
.LBB160_12:                             ;   in Loop: Header=BB160_13 Depth=1
	s_or_b32 exec_lo, exec_lo, s13
	v_add_nc_u64_e32 v[10:11], 8, v[10:11]
	s_delay_alu instid0(VALU_DEP_1) | instskip(SKIP_1) | instid1(SALU_CYCLE_1)
	v_cmp_ge_i64_e32 vcc_lo, v[10:11], v[8:9]
	s_or_b32 s12, vcc_lo, s12
	s_and_not1_b32 exec_lo, exec_lo, s12
	s_cbranch_execz .LBB160_26
.LBB160_13:                             ; =>This Loop Header: Depth=1
                                        ;     Child Loop BB160_17 Depth 2
                                        ;       Child Loop BB160_20 Depth 3
	v_lshl_add_u64 v[0:1], v[10:11], 2, s[14:15]
	s_mov_b32 s13, exec_lo
	global_load_b32 v0, v[0:1], off
	s_wait_loadcnt 0x0
	s_wait_xcnt 0x0
	v_subrev_nc_u32_e32 v0, s20, v0
	s_delay_alu instid0(VALU_DEP_1) | instskip(NEXT) | instid1(VALU_DEP_1)
	v_ashrrev_i32_e32 v1, 31, v0
	v_lshl_add_u64 v[0:1], v[0:1], 3, s[18:19]
	global_load_b128 v[0:3], v[0:1], off
	s_wait_loadcnt 0x0
	s_wait_xcnt 0x0
	v_cmpx_lt_i64_e64 v[0:1], v[2:3]
	s_cbranch_execz .LBB160_12
; %bb.14:                               ;   in Loop: Header=BB160_13 Depth=1
	v_lshl_add_u64 v[16:17], v[10:11], 2, s[16:17]
	v_sub_nc_u64_e64 v[2:3], v[2:3], s[0:1]
	v_sub_nc_u64_e64 v[0:1], v[0:1], s[0:1]
	s_mov_b32 s28, 0
	global_load_b32 v7, v[16:17], off
	s_wait_loadcnt 0x0
	v_mul_f32_e32 v7, s36, v7
	s_branch .LBB160_17
.LBB160_15:                             ;   in Loop: Header=BB160_17 Depth=2
	s_or_b32 exec_lo, exec_lo, s30
.LBB160_16:                             ;   in Loop: Header=BB160_17 Depth=2
	s_delay_alu instid0(SALU_CYCLE_1)
	s_or_b32 exec_lo, exec_lo, s29
	s_wait_loadcnt 0x0
	v_mul_f32_e32 v16, v7, v16
	v_lshl_add_u32 v17, v17, 2, v15
	v_add_nc_u64_e32 v[0:1], 1, v[0:1]
	ds_add_f32 v17, v16
	v_cmp_ge_i64_e32 vcc_lo, v[0:1], v[2:3]
	s_or_b32 s28, vcc_lo, s28
	s_delay_alu instid0(SALU_CYCLE_1)
	s_and_not1_b32 exec_lo, exec_lo, s28
	s_cbranch_execz .LBB160_12
.LBB160_17:                             ;   Parent Loop BB160_13 Depth=1
                                        ; =>  This Loop Header: Depth=2
                                        ;       Child Loop BB160_20 Depth 3
	s_wait_xcnt 0x0
	v_lshlrev_b64_e32 v[16:17], 2, v[0:1]
	s_mov_b32 s29, exec_lo
	s_delay_alu instid0(VALU_DEP_1)
	v_add_nc_u64_e32 v[18:19], s[24:25], v[16:17]
	v_add_nc_u64_e32 v[16:17], s[26:27], v[16:17]
	global_load_b32 v18, v[18:19], off
	global_load_b32 v16, v[16:17], off
	s_wait_loadcnt 0x1
	s_wait_xcnt 0x1
	v_subrev_nc_u32_e32 v18, s21, v18
	s_wait_xcnt 0x0
	s_delay_alu instid0(VALU_DEP_1) | instskip(NEXT) | instid1(VALU_DEP_1)
	v_lshl_add_u32 v17, v18, 3, v18
	v_and_b32_e32 v17, 15, v17
	s_delay_alu instid0(VALU_DEP_1)
	v_lshl_add_u32 v19, v17, 2, v14
	ds_load_b32 v20, v19
	s_wait_dscnt 0x0
	v_cmpx_ne_u32_e64 v20, v18
	s_cbranch_execz .LBB160_16
; %bb.18:                               ;   in Loop: Header=BB160_17 Depth=2
	s_mov_b32 s30, 0
	s_branch .LBB160_20
.LBB160_19:                             ;   in Loop: Header=BB160_20 Depth=3
	s_or_b32 exec_lo, exec_lo, s39
	s_delay_alu instid0(SALU_CYCLE_1) | instskip(NEXT) | instid1(SALU_CYCLE_1)
	s_and_b32 s31, exec_lo, s38
	s_or_b32 s30, s31, s30
	s_delay_alu instid0(SALU_CYCLE_1)
	s_and_not1_b32 exec_lo, exec_lo, s30
	s_cbranch_execz .LBB160_15
.LBB160_20:                             ;   Parent Loop BB160_13 Depth=1
                                        ;     Parent Loop BB160_17 Depth=2
                                        ; =>    This Inner Loop Header: Depth=3
	s_mov_b32 s31, 0
	s_mov_b32 s38, exec_lo
	v_cmpx_ne_u32_e64 s3, v20
	s_xor_b32 s38, exec_lo, s38
	s_cbranch_execz .LBB160_22
; %bb.21:                               ;   in Loop: Header=BB160_20 Depth=3
	v_add_nc_u32_e32 v17, 1, v17
	s_mov_b32 s31, exec_lo
                                        ; implicit-def: $vgpr19
	s_delay_alu instid0(VALU_DEP_1)
	v_and_b32_e32 v17, 15, v17
	s_and_not1_saveexec_b32 s38, s38
	s_cbranch_execz .LBB160_24
	s_branch .LBB160_23
.LBB160_22:                             ;   in Loop: Header=BB160_20 Depth=3
	s_and_not1_saveexec_b32 s38, s38
	s_cbranch_execz .LBB160_24
.LBB160_23:                             ;   in Loop: Header=BB160_20 Depth=3
	v_mov_b32_e32 v20, s3
	s_and_not1_b32 s31, s31, exec_lo
	ds_cmpstore_rtn_b32 v19, v19, v18, v20
	s_wait_dscnt 0x0
	v_cmp_ne_u32_e32 vcc_lo, s3, v19
	s_and_b32 s39, vcc_lo, exec_lo
	s_delay_alu instid0(SALU_CYCLE_1)
	s_or_b32 s31, s31, s39
.LBB160_24:                             ;   in Loop: Header=BB160_20 Depth=3
	s_or_b32 exec_lo, exec_lo, s38
	s_mov_b32 s38, -1
                                        ; implicit-def: $vgpr19
                                        ; implicit-def: $vgpr20
	s_and_saveexec_b32 s39, s31
	s_cbranch_execz .LBB160_19
; %bb.25:                               ;   in Loop: Header=BB160_20 Depth=3
	v_lshl_add_u32 v19, v17, 2, v14
	ds_load_b32 v20, v19
	s_wait_dscnt 0x0
	v_cmp_eq_u32_e32 vcc_lo, v20, v18
	s_or_not1_b32 s38, vcc_lo, exec_lo
	s_branch .LBB160_19
.LBB160_26:
	s_or_b32 exec_lo, exec_lo, s2
.LBB160_27:
	s_delay_alu instid0(SALU_CYCLE_1)
	s_and_not1_b32 vcc_lo, exec_lo, s37
	s_cbranch_vccnz .LBB160_30
; %bb.28:
	v_lshl_add_u64 v[0:1], v[4:5], 3, s[4:5]
	v_mov_b32_e32 v7, 0
	s_mov_b32 s1, 0
	s_mov_b32 s0, s23
	global_load_b128 v[8:11], v[0:1], off
	v_sub_nc_u64_e64 v[2:3], v[6:7], s[0:1]
	s_wait_loadcnt 0x0
	v_sub_nc_u64_e64 v[0:1], v[10:11], s[0:1]
	s_delay_alu instid0(VALU_DEP_2) | instskip(SKIP_1) | instid1(VALU_DEP_1)
	v_add_nc_u64_e32 v[2:3], v[8:9], v[2:3]
	s_mov_b32 s0, exec_lo
	v_cmpx_lt_i64_e64 v[2:3], v[0:1]
	s_cbranch_execnz .LBB160_36
.LBB160_29:
	s_or_b32 exec_lo, exec_lo, s0
.LBB160_30:
	v_lshl_add_u64 v[0:1], v[4:5], 3, s[10:11]
	s_wait_dscnt 0x0
	s_mov_b32 s23, 0
	v_mov_b32_e32 v3, 0
	global_load_b64 v[0:1], v[0:1], off
	s_wait_loadcnt 0x0
	v_sub_nc_u64_e64 v[0:1], v[0:1], s[22:23]
	s_delay_alu instid0(VALU_DEP_1)
	v_lshl_add_u64 v[0:1], v[0:1], 2, s[34:35]
	s_branch .LBB160_32
.LBB160_31:                             ;   in Loop: Header=BB160_32 Depth=1
	s_wait_xcnt 0x0
	s_or_b32 exec_lo, exec_lo, s0
	v_add_co_u32 v13, s0, v13, 8
	s_xor_b32 s0, s0, -1
	v_add_nc_u32_e32 v12, 32, v12
	s_and_b32 s0, exec_lo, s0
	s_delay_alu instid0(SALU_CYCLE_1) | instskip(NEXT) | instid1(SALU_CYCLE_1)
	s_or_b32 s23, s0, s23
	s_and_not1_b32 exec_lo, exec_lo, s23
	s_cbranch_execz .LBB160_45
.LBB160_32:                             ; =>This Inner Loop Header: Depth=1
	ds_load_b32 v4, v12 offset:2048
	s_mov_b32 s0, exec_lo
	s_wait_dscnt 0x0
	v_cmpx_gt_i32_e64 s3, v4
	s_cbranch_execz .LBB160_31
; %bb.33:                               ;   in Loop: Header=BB160_32 Depth=1
	ds_load_b128 v[6:9], v14
	ds_load_b128 v[16:19], v14 offset:16
	s_wait_dscnt 0x1
	v_cmp_gt_i32_e32 vcc_lo, v4, v6
	v_cndmask_b32_e64 v2, 0, 1, vcc_lo
	v_cmp_gt_i32_e32 vcc_lo, v4, v7
	s_delay_alu instid0(VALU_DEP_2) | instskip(SKIP_2) | instid1(VALU_DEP_3)
	v_lshlrev_b32_e32 v2, 2, v2
	v_cndmask_b32_e64 v5, 0, 1, vcc_lo
	v_cmp_gt_i32_e32 vcc_lo, v4, v8
	v_add_nc_u64_e32 v[6:7], v[0:1], v[2:3]
	s_delay_alu instid0(VALU_DEP_3) | instskip(SKIP_2) | instid1(VALU_DEP_3)
	v_lshlrev_b32_e32 v2, 2, v5
	v_cndmask_b32_e64 v5, 0, 1, vcc_lo
	v_cmp_gt_i32_e32 vcc_lo, v4, v9
	v_add_nc_u64_e32 v[6:7], v[6:7], v[2:3]
	s_delay_alu instid0(VALU_DEP_3) | instskip(SKIP_3) | instid1(VALU_DEP_3)
	v_lshlrev_b32_e32 v2, 2, v5
	v_cndmask_b32_e64 v5, 0, 1, vcc_lo
	s_wait_dscnt 0x0
	v_cmp_gt_i32_e32 vcc_lo, v4, v16
	v_add_nc_u64_e32 v[6:7], v[6:7], v[2:3]
	s_delay_alu instid0(VALU_DEP_3) | instskip(SKIP_2) | instid1(VALU_DEP_3)
	v_lshlrev_b32_e32 v2, 2, v5
	v_cndmask_b32_e64 v5, 0, 1, vcc_lo
	v_cmp_gt_i32_e32 vcc_lo, v4, v17
	v_add_nc_u64_e32 v[10:11], v[6:7], v[2:3]
	ds_load_b128 v[6:9], v14 offset:32
	v_lshlrev_b32_e32 v2, 2, v5
	v_cndmask_b32_e64 v5, 0, 1, vcc_lo
	v_cmp_gt_i32_e32 vcc_lo, v4, v18
	s_delay_alu instid0(VALU_DEP_3) | instskip(NEXT) | instid1(VALU_DEP_3)
	v_add_nc_u64_e32 v[10:11], v[10:11], v[2:3]
	v_lshlrev_b32_e32 v2, 2, v5
	v_cndmask_b32_e64 v5, 0, 1, vcc_lo
	v_cmp_gt_i32_e32 vcc_lo, v4, v19
	ds_load_b128 v[16:19], v14 offset:48
	v_add_nc_u64_e32 v[10:11], v[10:11], v[2:3]
	v_lshlrev_b32_e32 v2, 2, v5
	v_cndmask_b32_e64 v5, 0, 1, vcc_lo
	s_wait_dscnt 0x1
	v_cmp_gt_i32_e32 vcc_lo, v4, v6
	s_delay_alu instid0(VALU_DEP_3) | instskip(NEXT) | instid1(VALU_DEP_3)
	v_add_nc_u64_e32 v[10:11], v[10:11], v[2:3]
	v_lshlrev_b32_e32 v2, 2, v5
	v_cndmask_b32_e64 v5, 0, 1, vcc_lo
	v_cmp_gt_i32_e32 vcc_lo, v4, v7
	s_delay_alu instid0(VALU_DEP_3) | instskip(NEXT) | instid1(VALU_DEP_3)
	v_add_nc_u64_e32 v[10:11], v[10:11], v[2:3]
	v_lshlrev_b32_e32 v2, 2, v5
	v_cndmask_b32_e64 v5, 0, 1, vcc_lo
	v_cmp_gt_i32_e32 vcc_lo, v4, v8
	ds_load_b32 v8, v12
	v_add_nc_u64_e32 v[6:7], v[10:11], v[2:3]
	v_lshlrev_b32_e32 v2, 2, v5
	v_cndmask_b32_e64 v5, 0, 1, vcc_lo
	v_cmp_gt_i32_e32 vcc_lo, v4, v9
	s_delay_alu instid0(VALU_DEP_3) | instskip(NEXT) | instid1(VALU_DEP_3)
	v_add_nc_u64_e32 v[6:7], v[6:7], v[2:3]
	v_lshlrev_b32_e32 v2, 2, v5
	v_cndmask_b32_e64 v5, 0, 1, vcc_lo
	s_wait_dscnt 0x1
	v_cmp_gt_i32_e32 vcc_lo, v4, v16
	s_delay_alu instid0(VALU_DEP_3) | instskip(NEXT) | instid1(VALU_DEP_3)
	v_add_nc_u64_e32 v[6:7], v[6:7], v[2:3]
	v_lshlrev_b32_e32 v2, 2, v5
	v_cndmask_b32_e64 v5, 0, 1, vcc_lo
	v_cmp_gt_i32_e32 vcc_lo, v4, v17
	s_delay_alu instid0(VALU_DEP_3) | instskip(NEXT) | instid1(VALU_DEP_3)
	v_add_nc_u64_e32 v[6:7], v[6:7], v[2:3]
	v_lshlrev_b32_e32 v2, 2, v5
	v_cndmask_b32_e64 v5, 0, 1, vcc_lo
	;; [unrolled: 5-line block ×4, first 2 shown]
	s_delay_alu instid0(VALU_DEP_2) | instskip(NEXT) | instid1(VALU_DEP_2)
	v_add_nc_u64_e32 v[4:5], v[6:7], v[2:3]
	v_lshlrev_b32_e32 v2, 2, v9
	s_delay_alu instid0(VALU_DEP_1)
	v_add_nc_u64_e32 v[4:5], v[4:5], v[2:3]
	s_wait_dscnt 0x0
	global_store_b32 v[4:5], v8, off
	s_branch .LBB160_31
.LBB160_34:                             ;   in Loop: Header=BB160_36 Depth=1
	s_or_b32 exec_lo, exec_lo, s4
.LBB160_35:                             ;   in Loop: Header=BB160_36 Depth=1
	s_delay_alu instid0(SALU_CYCLE_1)
	s_or_b32 exec_lo, exec_lo, s2
	s_wait_loadcnt 0x0
	v_mul_f32_e32 v6, s33, v6
	v_lshl_add_u32 v7, v7, 2, v15
	v_add_nc_u64_e32 v[2:3], 8, v[2:3]
	ds_add_f32 v7, v6
	v_cmp_ge_i64_e32 vcc_lo, v[2:3], v[0:1]
	s_or_b32 s1, vcc_lo, s1
	s_delay_alu instid0(SALU_CYCLE_1)
	s_and_not1_b32 exec_lo, exec_lo, s1
	s_cbranch_execz .LBB160_29
.LBB160_36:                             ; =>This Loop Header: Depth=1
                                        ;     Child Loop BB160_39 Depth 2
	v_lshlrev_b64_e32 v[6:7], 2, v[2:3]
	s_mov_b32 s2, exec_lo
	s_delay_alu instid0(VALU_DEP_1)
	v_add_nc_u64_e32 v[8:9], s[6:7], v[6:7]
	v_add_nc_u64_e32 v[6:7], s[8:9], v[6:7]
	global_load_b32 v8, v[8:9], off
	global_load_b32 v6, v[6:7], off
	s_wait_loadcnt 0x1
	s_wait_xcnt 0x1
	v_subrev_nc_u32_e32 v8, s23, v8
	s_wait_xcnt 0x0
	s_delay_alu instid0(VALU_DEP_1) | instskip(NEXT) | instid1(VALU_DEP_1)
	v_lshl_add_u32 v7, v8, 3, v8
	v_and_b32_e32 v7, 15, v7
	s_delay_alu instid0(VALU_DEP_1)
	v_lshl_add_u32 v9, v7, 2, v14
	ds_load_b32 v10, v9
	s_wait_dscnt 0x0
	v_cmpx_ne_u32_e64 v10, v8
	s_cbranch_execz .LBB160_35
; %bb.37:                               ;   in Loop: Header=BB160_36 Depth=1
	s_mov_b32 s4, 0
	s_branch .LBB160_39
.LBB160_38:                             ;   in Loop: Header=BB160_39 Depth=2
	s_or_b32 exec_lo, exec_lo, s13
	s_delay_alu instid0(SALU_CYCLE_1) | instskip(NEXT) | instid1(SALU_CYCLE_1)
	s_and_b32 s5, exec_lo, s12
	s_or_b32 s4, s5, s4
	s_delay_alu instid0(SALU_CYCLE_1)
	s_and_not1_b32 exec_lo, exec_lo, s4
	s_cbranch_execz .LBB160_34
.LBB160_39:                             ;   Parent Loop BB160_36 Depth=1
                                        ; =>  This Inner Loop Header: Depth=2
	s_mov_b32 s5, 0
	s_mov_b32 s12, exec_lo
	v_cmpx_ne_u32_e64 s3, v10
	s_xor_b32 s12, exec_lo, s12
	s_cbranch_execz .LBB160_41
; %bb.40:                               ;   in Loop: Header=BB160_39 Depth=2
	v_add_nc_u32_e32 v7, 1, v7
	s_mov_b32 s5, exec_lo
                                        ; implicit-def: $vgpr9
	s_delay_alu instid0(VALU_DEP_1)
	v_and_b32_e32 v7, 15, v7
	s_and_not1_saveexec_b32 s12, s12
	s_cbranch_execz .LBB160_43
	s_branch .LBB160_42
.LBB160_41:                             ;   in Loop: Header=BB160_39 Depth=2
	s_and_not1_saveexec_b32 s12, s12
	s_cbranch_execz .LBB160_43
.LBB160_42:                             ;   in Loop: Header=BB160_39 Depth=2
	v_mov_b32_e32 v10, s3
	s_and_not1_b32 s5, s5, exec_lo
	ds_cmpstore_rtn_b32 v9, v9, v8, v10
	s_wait_dscnt 0x0
	v_cmp_ne_u32_e32 vcc_lo, s3, v9
	s_and_b32 s13, vcc_lo, exec_lo
	s_delay_alu instid0(SALU_CYCLE_1)
	s_or_b32 s5, s5, s13
.LBB160_43:                             ;   in Loop: Header=BB160_39 Depth=2
	s_or_b32 exec_lo, exec_lo, s12
	s_mov_b32 s12, -1
                                        ; implicit-def: $vgpr9
                                        ; implicit-def: $vgpr10
	s_and_saveexec_b32 s13, s5
	s_cbranch_execz .LBB160_38
; %bb.44:                               ;   in Loop: Header=BB160_39 Depth=2
	v_lshl_add_u32 v9, v7, 2, v14
	ds_load_b32 v10, v9
	s_wait_dscnt 0x0
	v_cmp_eq_u32_e32 vcc_lo, v10, v8
	s_or_not1_b32 s12, vcc_lo, exec_lo
	s_branch .LBB160_38
.LBB160_45:
	s_endpgm
	.section	.rodata,"a",@progbits
	.p2align	6, 0x0
	.amdhsa_kernel _ZN9rocsparseL38csrgemm_numeric_fill_wf_per_row_kernelILj256ELj8ELj16ELj137ElifEEvT4_S1_PKS1_S3_NS_24const_host_device_scalarIT5_EEPKT3_S3_PKS5_S9_S3_SB_S6_S9_S3_SB_S9_S3_PS5_21rocsparse_index_base_SD_SD_SD_bbb
		.amdhsa_group_segment_fixed_size 4096
		.amdhsa_private_segment_fixed_size 0
		.amdhsa_kernarg_size 156
		.amdhsa_user_sgpr_count 2
		.amdhsa_user_sgpr_dispatch_ptr 0
		.amdhsa_user_sgpr_queue_ptr 0
		.amdhsa_user_sgpr_kernarg_segment_ptr 1
		.amdhsa_user_sgpr_dispatch_id 0
		.amdhsa_user_sgpr_kernarg_preload_length 0
		.amdhsa_user_sgpr_kernarg_preload_offset 0
		.amdhsa_user_sgpr_private_segment_size 0
		.amdhsa_wavefront_size32 1
		.amdhsa_uses_dynamic_stack 0
		.amdhsa_enable_private_segment 0
		.amdhsa_system_sgpr_workgroup_id_x 1
		.amdhsa_system_sgpr_workgroup_id_y 0
		.amdhsa_system_sgpr_workgroup_id_z 0
		.amdhsa_system_sgpr_workgroup_info 0
		.amdhsa_system_vgpr_workitem_id 0
		.amdhsa_next_free_vgpr 21
		.amdhsa_next_free_sgpr 40
		.amdhsa_named_barrier_count 0
		.amdhsa_reserve_vcc 1
		.amdhsa_float_round_mode_32 0
		.amdhsa_float_round_mode_16_64 0
		.amdhsa_float_denorm_mode_32 3
		.amdhsa_float_denorm_mode_16_64 3
		.amdhsa_fp16_overflow 0
		.amdhsa_memory_ordered 1
		.amdhsa_forward_progress 1
		.amdhsa_inst_pref_size 17
		.amdhsa_round_robin_scheduling 0
		.amdhsa_exception_fp_ieee_invalid_op 0
		.amdhsa_exception_fp_denorm_src 0
		.amdhsa_exception_fp_ieee_div_zero 0
		.amdhsa_exception_fp_ieee_overflow 0
		.amdhsa_exception_fp_ieee_underflow 0
		.amdhsa_exception_fp_ieee_inexact 0
		.amdhsa_exception_int_div_zero 0
	.end_amdhsa_kernel
	.section	.text._ZN9rocsparseL38csrgemm_numeric_fill_wf_per_row_kernelILj256ELj8ELj16ELj137ElifEEvT4_S1_PKS1_S3_NS_24const_host_device_scalarIT5_EEPKT3_S3_PKS5_S9_S3_SB_S6_S9_S3_SB_S9_S3_PS5_21rocsparse_index_base_SD_SD_SD_bbb,"axG",@progbits,_ZN9rocsparseL38csrgemm_numeric_fill_wf_per_row_kernelILj256ELj8ELj16ELj137ElifEEvT4_S1_PKS1_S3_NS_24const_host_device_scalarIT5_EEPKT3_S3_PKS5_S9_S3_SB_S6_S9_S3_SB_S9_S3_PS5_21rocsparse_index_base_SD_SD_SD_bbb,comdat
.Lfunc_end160:
	.size	_ZN9rocsparseL38csrgemm_numeric_fill_wf_per_row_kernelILj256ELj8ELj16ELj137ElifEEvT4_S1_PKS1_S3_NS_24const_host_device_scalarIT5_EEPKT3_S3_PKS5_S9_S3_SB_S6_S9_S3_SB_S9_S3_PS5_21rocsparse_index_base_SD_SD_SD_bbb, .Lfunc_end160-_ZN9rocsparseL38csrgemm_numeric_fill_wf_per_row_kernelILj256ELj8ELj16ELj137ElifEEvT4_S1_PKS1_S3_NS_24const_host_device_scalarIT5_EEPKT3_S3_PKS5_S9_S3_SB_S6_S9_S3_SB_S9_S3_PS5_21rocsparse_index_base_SD_SD_SD_bbb
                                        ; -- End function
	.set _ZN9rocsparseL38csrgemm_numeric_fill_wf_per_row_kernelILj256ELj8ELj16ELj137ElifEEvT4_S1_PKS1_S3_NS_24const_host_device_scalarIT5_EEPKT3_S3_PKS5_S9_S3_SB_S6_S9_S3_SB_S9_S3_PS5_21rocsparse_index_base_SD_SD_SD_bbb.num_vgpr, 21
	.set _ZN9rocsparseL38csrgemm_numeric_fill_wf_per_row_kernelILj256ELj8ELj16ELj137ElifEEvT4_S1_PKS1_S3_NS_24const_host_device_scalarIT5_EEPKT3_S3_PKS5_S9_S3_SB_S6_S9_S3_SB_S9_S3_PS5_21rocsparse_index_base_SD_SD_SD_bbb.num_agpr, 0
	.set _ZN9rocsparseL38csrgemm_numeric_fill_wf_per_row_kernelILj256ELj8ELj16ELj137ElifEEvT4_S1_PKS1_S3_NS_24const_host_device_scalarIT5_EEPKT3_S3_PKS5_S9_S3_SB_S6_S9_S3_SB_S9_S3_PS5_21rocsparse_index_base_SD_SD_SD_bbb.numbered_sgpr, 40
	.set _ZN9rocsparseL38csrgemm_numeric_fill_wf_per_row_kernelILj256ELj8ELj16ELj137ElifEEvT4_S1_PKS1_S3_NS_24const_host_device_scalarIT5_EEPKT3_S3_PKS5_S9_S3_SB_S6_S9_S3_SB_S9_S3_PS5_21rocsparse_index_base_SD_SD_SD_bbb.num_named_barrier, 0
	.set _ZN9rocsparseL38csrgemm_numeric_fill_wf_per_row_kernelILj256ELj8ELj16ELj137ElifEEvT4_S1_PKS1_S3_NS_24const_host_device_scalarIT5_EEPKT3_S3_PKS5_S9_S3_SB_S6_S9_S3_SB_S9_S3_PS5_21rocsparse_index_base_SD_SD_SD_bbb.private_seg_size, 0
	.set _ZN9rocsparseL38csrgemm_numeric_fill_wf_per_row_kernelILj256ELj8ELj16ELj137ElifEEvT4_S1_PKS1_S3_NS_24const_host_device_scalarIT5_EEPKT3_S3_PKS5_S9_S3_SB_S6_S9_S3_SB_S9_S3_PS5_21rocsparse_index_base_SD_SD_SD_bbb.uses_vcc, 1
	.set _ZN9rocsparseL38csrgemm_numeric_fill_wf_per_row_kernelILj256ELj8ELj16ELj137ElifEEvT4_S1_PKS1_S3_NS_24const_host_device_scalarIT5_EEPKT3_S3_PKS5_S9_S3_SB_S6_S9_S3_SB_S9_S3_PS5_21rocsparse_index_base_SD_SD_SD_bbb.uses_flat_scratch, 0
	.set _ZN9rocsparseL38csrgemm_numeric_fill_wf_per_row_kernelILj256ELj8ELj16ELj137ElifEEvT4_S1_PKS1_S3_NS_24const_host_device_scalarIT5_EEPKT3_S3_PKS5_S9_S3_SB_S6_S9_S3_SB_S9_S3_PS5_21rocsparse_index_base_SD_SD_SD_bbb.has_dyn_sized_stack, 0
	.set _ZN9rocsparseL38csrgemm_numeric_fill_wf_per_row_kernelILj256ELj8ELj16ELj137ElifEEvT4_S1_PKS1_S3_NS_24const_host_device_scalarIT5_EEPKT3_S3_PKS5_S9_S3_SB_S6_S9_S3_SB_S9_S3_PS5_21rocsparse_index_base_SD_SD_SD_bbb.has_recursion, 0
	.set _ZN9rocsparseL38csrgemm_numeric_fill_wf_per_row_kernelILj256ELj8ELj16ELj137ElifEEvT4_S1_PKS1_S3_NS_24const_host_device_scalarIT5_EEPKT3_S3_PKS5_S9_S3_SB_S6_S9_S3_SB_S9_S3_PS5_21rocsparse_index_base_SD_SD_SD_bbb.has_indirect_call, 0
	.section	.AMDGPU.csdata,"",@progbits
; Kernel info:
; codeLenInByte = 2124
; TotalNumSgprs: 42
; NumVgprs: 21
; ScratchSize: 0
; MemoryBound: 0
; FloatMode: 240
; IeeeMode: 1
; LDSByteSize: 4096 bytes/workgroup (compile time only)
; SGPRBlocks: 0
; VGPRBlocks: 1
; NumSGPRsForWavesPerEU: 42
; NumVGPRsForWavesPerEU: 21
; NamedBarCnt: 0
; Occupancy: 16
; WaveLimiterHint : 1
; COMPUTE_PGM_RSRC2:SCRATCH_EN: 0
; COMPUTE_PGM_RSRC2:USER_SGPR: 2
; COMPUTE_PGM_RSRC2:TRAP_HANDLER: 0
; COMPUTE_PGM_RSRC2:TGID_X_EN: 1
; COMPUTE_PGM_RSRC2:TGID_Y_EN: 0
; COMPUTE_PGM_RSRC2:TGID_Z_EN: 0
; COMPUTE_PGM_RSRC2:TIDIG_COMP_CNT: 0
	.section	.text._ZN9rocsparseL38csrgemm_numeric_fill_wf_per_row_kernelILj256ELj16ELj32ELj137ElifEEvT4_S1_PKS1_S3_NS_24const_host_device_scalarIT5_EEPKT3_S3_PKS5_S9_S3_SB_S6_S9_S3_SB_S9_S3_PS5_21rocsparse_index_base_SD_SD_SD_bbb,"axG",@progbits,_ZN9rocsparseL38csrgemm_numeric_fill_wf_per_row_kernelILj256ELj16ELj32ELj137ElifEEvT4_S1_PKS1_S3_NS_24const_host_device_scalarIT5_EEPKT3_S3_PKS5_S9_S3_SB_S6_S9_S3_SB_S9_S3_PS5_21rocsparse_index_base_SD_SD_SD_bbb,comdat
	.globl	_ZN9rocsparseL38csrgemm_numeric_fill_wf_per_row_kernelILj256ELj16ELj32ELj137ElifEEvT4_S1_PKS1_S3_NS_24const_host_device_scalarIT5_EEPKT3_S3_PKS5_S9_S3_SB_S6_S9_S3_SB_S9_S3_PS5_21rocsparse_index_base_SD_SD_SD_bbb ; -- Begin function _ZN9rocsparseL38csrgemm_numeric_fill_wf_per_row_kernelILj256ELj16ELj32ELj137ElifEEvT4_S1_PKS1_S3_NS_24const_host_device_scalarIT5_EEPKT3_S3_PKS5_S9_S3_SB_S6_S9_S3_SB_S9_S3_PS5_21rocsparse_index_base_SD_SD_SD_bbb
	.p2align	8
	.type	_ZN9rocsparseL38csrgemm_numeric_fill_wf_per_row_kernelILj256ELj16ELj32ELj137ElifEEvT4_S1_PKS1_S3_NS_24const_host_device_scalarIT5_EEPKT3_S3_PKS5_S9_S3_SB_S6_S9_S3_SB_S9_S3_PS5_21rocsparse_index_base_SD_SD_SD_bbb,@function
_ZN9rocsparseL38csrgemm_numeric_fill_wf_per_row_kernelILj256ELj16ELj32ELj137ElifEEvT4_S1_PKS1_S3_NS_24const_host_device_scalarIT5_EEPKT3_S3_PKS5_S9_S3_SB_S6_S9_S3_SB_S9_S3_PS5_21rocsparse_index_base_SD_SD_SD_bbb: ; @_ZN9rocsparseL38csrgemm_numeric_fill_wf_per_row_kernelILj256ELj16ELj32ELj137ElifEEvT4_S1_PKS1_S3_NS_24const_host_device_scalarIT5_EEPKT3_S3_PKS5_S9_S3_SB_S6_S9_S3_SB_S9_S3_PS5_21rocsparse_index_base_SD_SD_SD_bbb
; %bb.0:
	s_clause 0x3
	s_load_b32 s6, s[0:1], 0x98
	s_load_b64 s[4:5], s[0:1], 0x18
	s_load_b128 s[20:23], s[0:1], 0x88
	s_load_b64 s[2:3], s[0:1], 0x50
	s_wait_kmcnt 0x0
	s_and_b32 s8, 1, s6
	s_bitcmp1_b32 s6, 16
	s_cselect_b32 s7, -1, 0
	s_cmp_eq_u32 s8, 1
	s_cselect_b32 s38, -1, 0
	s_delay_alu instid0(SALU_CYCLE_1) | instskip(SKIP_2) | instid1(SALU_CYCLE_1)
	s_and_b32 s8, s38, exec_lo
	s_cselect_b32 s36, s4, 0
	s_xor_b32 s8, s38, -1
	s_or_b32 s8, s7, s8
	s_delay_alu instid0(SALU_CYCLE_1)
	s_and_b32 vcc_lo, exec_lo, s8
	s_cbranch_vccnz .LBB161_2
; %bb.1:
	s_load_b32 s36, s[4:5], 0x0
.LBB161_2:
	s_load_b128 s[28:31], s[0:1], 0x8
	s_bitcmp1_b32 s6, 8
	s_cselect_b32 s37, -1, 0
	s_wait_xcnt 0x0
	s_and_b32 s4, s37, exec_lo
	s_cselect_b32 s33, s2, 0
	s_xor_b32 s4, s37, -1
	s_delay_alu instid0(SALU_CYCLE_1) | instskip(NEXT) | instid1(SALU_CYCLE_1)
	s_or_b32 s4, s7, s4
	s_and_b32 vcc_lo, exec_lo, s4
	s_cbranch_vccnz .LBB161_4
; %bb.3:
	s_load_b32 s33, s[2:3], 0x0
.LBB161_4:
	s_wait_xcnt 0x0
	s_clause 0x2
	s_load_b64 s[2:3], s[0:1], 0x0
	s_load_b64 s[34:35], s[0:1], 0x80
	s_load_b256 s[4:11], s[0:1], 0x58
	v_dual_lshrrev_b32 v0, 4, v0 :: v_dual_bitop2_b32 v6, 15, v0 bitop3:0x40
	s_clause 0x1
	s_load_b128 s[24:27], s[0:1], 0x40
	s_load_b256 s[12:19], s[0:1], 0x20
	s_wait_xcnt 0x0
	s_mov_b32 s0, 0
	v_dual_lshlrev_b32 v1, 2, v6 :: v_dual_bitop2_b32 v13, -16, v6 bitop3:0x54
	s_delay_alu instid0(VALU_DEP_1) | instskip(NEXT) | instid1(VALU_DEP_2)
	v_lshl_or_b32 v12, v0, 7, v1
	v_dual_mov_b32 v1, 0 :: v_dual_mov_b32 v4, v13
	s_wait_kmcnt 0x0
	s_delay_alu instid0(VALU_DEP_2)
	v_dual_mov_b32 v2, v12 :: v_dual_mov_b32 v3, s3
.LBB161_5:                              ; =>This Inner Loop Header: Depth=1
	s_delay_alu instid0(VALU_DEP_2) | instskip(SKIP_4) | instid1(SALU_CYCLE_1)
	v_add_co_u32 v4, s1, v4, 16
	s_xor_b32 s1, s1, -1
	ds_store_2addr_stride64_b32 v2, v1, v3 offset1:8
	v_add_nc_u32_e32 v2, 64, v2
	s_and_b32 s1, exec_lo, s1
	s_or_b32 s0, s1, s0
	s_delay_alu instid0(SALU_CYCLE_1)
	s_and_not1_b32 exec_lo, exec_lo, s0
	s_cbranch_execnz .LBB161_5
; %bb.6:
	s_or_b32 exec_lo, exec_lo, s0
	s_bfe_u32 s0, ttmp6, 0x4000c
	s_and_b32 s1, ttmp6, 15
	s_add_co_i32 s0, s0, 1
	s_getreg_b32 s39, hwreg(HW_REG_IB_STS2, 6, 4)
	s_mul_i32 s0, ttmp9, s0
	s_wait_dscnt 0x0
	s_add_co_i32 s1, s1, s0
	s_cmp_eq_u32 s39, 0
	s_cselect_b32 s0, ttmp9, s1
	s_delay_alu instid0(SALU_CYCLE_1) | instskip(NEXT) | instid1(SALU_CYCLE_1)
	s_lshl_b32 s0, s0, 4
	v_and_or_b32 v4, 0xffffff0, s0, v0
	s_mov_b32 s0, exec_lo
	s_delay_alu instid0(VALU_DEP_1)
	v_cmpx_gt_i32_e64 s2, v4
	s_cbranch_execz .LBB161_45
; %bb.7:
	s_cmp_eq_u64 s[30:31], 0
	s_cbranch_scc1 .LBB161_9
; %bb.8:
	s_load_b32 s0, s[28:29], 0x0
	s_wait_kmcnt 0x0
	v_add_nc_u32_e32 v1, s0, v4
	global_load_b32 v4, v1, s[30:31] scale_offset
.LBB161_9:
	v_lshlrev_b32_e32 v15, 7, v0
	s_wait_loadcnt 0x0
	v_ashrrev_i32_e32 v5, 31, v4
	s_and_not1_b32 vcc_lo, exec_lo, s38
	s_delay_alu instid0(VALU_DEP_2)
	v_or_b32_e32 v14, 0x800, v15
	s_cbranch_vccnz .LBB161_27
; %bb.10:
	s_delay_alu instid0(VALU_DEP_2)
	v_lshl_add_u64 v[0:1], v[4:5], 3, s[12:13]
	v_mov_b32_e32 v7, 0
	s_mov_b32 s1, 0
	s_mov_b32 s0, s20
	s_mov_b32 s2, exec_lo
	global_load_b128 v[0:3], v[0:1], off
	v_sub_nc_u64_e64 v[10:11], v[6:7], s[0:1]
	s_wait_loadcnt 0x0
	v_sub_nc_u64_e64 v[8:9], v[2:3], s[0:1]
	s_delay_alu instid0(VALU_DEP_2) | instskip(NEXT) | instid1(VALU_DEP_1)
	v_add_nc_u64_e32 v[10:11], v[0:1], v[10:11]
	v_cmpx_lt_i64_e64 v[10:11], v[8:9]
	s_cbranch_execz .LBB161_26
; %bb.11:
	s_mov_b32 s0, s21
	s_mov_b32 s12, s1
	s_branch .LBB161_13
.LBB161_12:                             ;   in Loop: Header=BB161_13 Depth=1
	s_or_b32 exec_lo, exec_lo, s13
	v_add_nc_u64_e32 v[10:11], 16, v[10:11]
	s_delay_alu instid0(VALU_DEP_1) | instskip(SKIP_1) | instid1(SALU_CYCLE_1)
	v_cmp_ge_i64_e32 vcc_lo, v[10:11], v[8:9]
	s_or_b32 s12, vcc_lo, s12
	s_and_not1_b32 exec_lo, exec_lo, s12
	s_cbranch_execz .LBB161_26
.LBB161_13:                             ; =>This Loop Header: Depth=1
                                        ;     Child Loop BB161_17 Depth 2
                                        ;       Child Loop BB161_20 Depth 3
	v_lshl_add_u64 v[0:1], v[10:11], 2, s[14:15]
	s_mov_b32 s13, exec_lo
	global_load_b32 v0, v[0:1], off
	s_wait_loadcnt 0x0
	s_wait_xcnt 0x0
	v_subrev_nc_u32_e32 v0, s20, v0
	s_delay_alu instid0(VALU_DEP_1) | instskip(NEXT) | instid1(VALU_DEP_1)
	v_ashrrev_i32_e32 v1, 31, v0
	v_lshl_add_u64 v[0:1], v[0:1], 3, s[18:19]
	global_load_b128 v[0:3], v[0:1], off
	s_wait_loadcnt 0x0
	s_wait_xcnt 0x0
	v_cmpx_lt_i64_e64 v[0:1], v[2:3]
	s_cbranch_execz .LBB161_12
; %bb.14:                               ;   in Loop: Header=BB161_13 Depth=1
	v_lshl_add_u64 v[16:17], v[10:11], 2, s[16:17]
	v_sub_nc_u64_e64 v[2:3], v[2:3], s[0:1]
	v_sub_nc_u64_e64 v[0:1], v[0:1], s[0:1]
	s_mov_b32 s28, 0
	global_load_b32 v7, v[16:17], off
	s_wait_loadcnt 0x0
	v_mul_f32_e32 v7, s36, v7
	s_branch .LBB161_17
.LBB161_15:                             ;   in Loop: Header=BB161_17 Depth=2
	s_or_b32 exec_lo, exec_lo, s30
.LBB161_16:                             ;   in Loop: Header=BB161_17 Depth=2
	s_delay_alu instid0(SALU_CYCLE_1)
	s_or_b32 exec_lo, exec_lo, s29
	s_wait_loadcnt 0x0
	v_mul_f32_e32 v16, v7, v16
	v_lshl_add_u32 v17, v17, 2, v15
	v_add_nc_u64_e32 v[0:1], 1, v[0:1]
	ds_add_f32 v17, v16
	v_cmp_ge_i64_e32 vcc_lo, v[0:1], v[2:3]
	s_or_b32 s28, vcc_lo, s28
	s_delay_alu instid0(SALU_CYCLE_1)
	s_and_not1_b32 exec_lo, exec_lo, s28
	s_cbranch_execz .LBB161_12
.LBB161_17:                             ;   Parent Loop BB161_13 Depth=1
                                        ; =>  This Loop Header: Depth=2
                                        ;       Child Loop BB161_20 Depth 3
	s_wait_xcnt 0x0
	v_lshlrev_b64_e32 v[16:17], 2, v[0:1]
	s_mov_b32 s29, exec_lo
	s_delay_alu instid0(VALU_DEP_1)
	v_add_nc_u64_e32 v[18:19], s[24:25], v[16:17]
	v_add_nc_u64_e32 v[16:17], s[26:27], v[16:17]
	global_load_b32 v18, v[18:19], off
	global_load_b32 v16, v[16:17], off
	s_wait_loadcnt 0x1
	s_wait_xcnt 0x1
	v_subrev_nc_u32_e32 v18, s21, v18
	s_wait_xcnt 0x0
	s_delay_alu instid0(VALU_DEP_1) | instskip(NEXT) | instid1(VALU_DEP_1)
	v_lshl_add_u32 v17, v18, 3, v18
	v_and_b32_e32 v17, 31, v17
	s_delay_alu instid0(VALU_DEP_1)
	v_lshl_add_u32 v19, v17, 2, v14
	ds_load_b32 v20, v19
	s_wait_dscnt 0x0
	v_cmpx_ne_u32_e64 v20, v18
	s_cbranch_execz .LBB161_16
; %bb.18:                               ;   in Loop: Header=BB161_17 Depth=2
	s_mov_b32 s30, 0
	s_branch .LBB161_20
.LBB161_19:                             ;   in Loop: Header=BB161_20 Depth=3
	s_or_b32 exec_lo, exec_lo, s39
	s_delay_alu instid0(SALU_CYCLE_1) | instskip(NEXT) | instid1(SALU_CYCLE_1)
	s_and_b32 s31, exec_lo, s38
	s_or_b32 s30, s31, s30
	s_delay_alu instid0(SALU_CYCLE_1)
	s_and_not1_b32 exec_lo, exec_lo, s30
	s_cbranch_execz .LBB161_15
.LBB161_20:                             ;   Parent Loop BB161_13 Depth=1
                                        ;     Parent Loop BB161_17 Depth=2
                                        ; =>    This Inner Loop Header: Depth=3
	s_mov_b32 s31, 0
	s_mov_b32 s38, exec_lo
	v_cmpx_ne_u32_e64 s3, v20
	s_xor_b32 s38, exec_lo, s38
	s_cbranch_execz .LBB161_22
; %bb.21:                               ;   in Loop: Header=BB161_20 Depth=3
	v_add_nc_u32_e32 v17, 1, v17
	s_mov_b32 s31, exec_lo
                                        ; implicit-def: $vgpr19
	s_delay_alu instid0(VALU_DEP_1)
	v_and_b32_e32 v17, 31, v17
	s_and_not1_saveexec_b32 s38, s38
	s_cbranch_execz .LBB161_24
	s_branch .LBB161_23
.LBB161_22:                             ;   in Loop: Header=BB161_20 Depth=3
	s_and_not1_saveexec_b32 s38, s38
	s_cbranch_execz .LBB161_24
.LBB161_23:                             ;   in Loop: Header=BB161_20 Depth=3
	v_mov_b32_e32 v20, s3
	s_and_not1_b32 s31, s31, exec_lo
	ds_cmpstore_rtn_b32 v19, v19, v18, v20
	s_wait_dscnt 0x0
	v_cmp_ne_u32_e32 vcc_lo, s3, v19
	s_and_b32 s39, vcc_lo, exec_lo
	s_delay_alu instid0(SALU_CYCLE_1)
	s_or_b32 s31, s31, s39
.LBB161_24:                             ;   in Loop: Header=BB161_20 Depth=3
	s_or_b32 exec_lo, exec_lo, s38
	s_mov_b32 s38, -1
                                        ; implicit-def: $vgpr19
                                        ; implicit-def: $vgpr20
	s_and_saveexec_b32 s39, s31
	s_cbranch_execz .LBB161_19
; %bb.25:                               ;   in Loop: Header=BB161_20 Depth=3
	v_lshl_add_u32 v19, v17, 2, v14
	ds_load_b32 v20, v19
	s_wait_dscnt 0x0
	v_cmp_eq_u32_e32 vcc_lo, v20, v18
	s_or_not1_b32 s38, vcc_lo, exec_lo
	s_branch .LBB161_19
.LBB161_26:
	s_or_b32 exec_lo, exec_lo, s2
.LBB161_27:
	s_delay_alu instid0(SALU_CYCLE_1)
	s_and_not1_b32 vcc_lo, exec_lo, s37
	s_cbranch_vccnz .LBB161_30
; %bb.28:
	v_lshl_add_u64 v[0:1], v[4:5], 3, s[4:5]
	v_mov_b32_e32 v7, 0
	s_mov_b32 s1, 0
	s_mov_b32 s0, s23
	global_load_b128 v[8:11], v[0:1], off
	v_sub_nc_u64_e64 v[2:3], v[6:7], s[0:1]
	s_wait_loadcnt 0x0
	v_sub_nc_u64_e64 v[0:1], v[10:11], s[0:1]
	s_delay_alu instid0(VALU_DEP_2) | instskip(SKIP_1) | instid1(VALU_DEP_1)
	v_add_nc_u64_e32 v[2:3], v[8:9], v[2:3]
	s_mov_b32 s0, exec_lo
	v_cmpx_lt_i64_e64 v[2:3], v[0:1]
	s_cbranch_execnz .LBB161_36
.LBB161_29:
	s_or_b32 exec_lo, exec_lo, s0
.LBB161_30:
	v_lshl_add_u64 v[0:1], v[4:5], 3, s[10:11]
	s_wait_dscnt 0x0
	s_mov_b32 s23, 0
	v_mov_b32_e32 v3, 0
	global_load_b64 v[0:1], v[0:1], off
	s_wait_loadcnt 0x0
	v_sub_nc_u64_e64 v[0:1], v[0:1], s[22:23]
	s_delay_alu instid0(VALU_DEP_1)
	v_lshl_add_u64 v[0:1], v[0:1], 2, s[34:35]
	s_branch .LBB161_32
.LBB161_31:                             ;   in Loop: Header=BB161_32 Depth=1
	s_wait_xcnt 0x0
	s_or_b32 exec_lo, exec_lo, s0
	v_add_co_u32 v13, s0, v13, 16
	s_xor_b32 s0, s0, -1
	v_add_nc_u32_e32 v12, 64, v12
	s_and_b32 s0, exec_lo, s0
	s_delay_alu instid0(SALU_CYCLE_1) | instskip(NEXT) | instid1(SALU_CYCLE_1)
	s_or_b32 s23, s0, s23
	s_and_not1_b32 exec_lo, exec_lo, s23
	s_cbranch_execz .LBB161_45
.LBB161_32:                             ; =>This Inner Loop Header: Depth=1
	ds_load_b32 v4, v12 offset:2048
	s_mov_b32 s0, exec_lo
	s_wait_dscnt 0x0
	v_cmpx_gt_i32_e64 s3, v4
	s_cbranch_execz .LBB161_31
; %bb.33:                               ;   in Loop: Header=BB161_32 Depth=1
	ds_load_b128 v[6:9], v14
	ds_load_b128 v[16:19], v14 offset:16
	s_wait_dscnt 0x1
	v_cmp_gt_i32_e32 vcc_lo, v4, v6
	v_cndmask_b32_e64 v2, 0, 1, vcc_lo
	v_cmp_gt_i32_e32 vcc_lo, v4, v7
	s_delay_alu instid0(VALU_DEP_2) | instskip(SKIP_2) | instid1(VALU_DEP_3)
	v_lshlrev_b32_e32 v2, 2, v2
	v_cndmask_b32_e64 v5, 0, 1, vcc_lo
	v_cmp_gt_i32_e32 vcc_lo, v4, v8
	v_add_nc_u64_e32 v[6:7], v[0:1], v[2:3]
	s_delay_alu instid0(VALU_DEP_3) | instskip(SKIP_2) | instid1(VALU_DEP_3)
	v_lshlrev_b32_e32 v2, 2, v5
	v_cndmask_b32_e64 v5, 0, 1, vcc_lo
	v_cmp_gt_i32_e32 vcc_lo, v4, v9
	v_add_nc_u64_e32 v[6:7], v[6:7], v[2:3]
	s_delay_alu instid0(VALU_DEP_3) | instskip(SKIP_3) | instid1(VALU_DEP_3)
	v_lshlrev_b32_e32 v2, 2, v5
	v_cndmask_b32_e64 v5, 0, 1, vcc_lo
	s_wait_dscnt 0x0
	v_cmp_gt_i32_e32 vcc_lo, v4, v16
	v_add_nc_u64_e32 v[6:7], v[6:7], v[2:3]
	s_delay_alu instid0(VALU_DEP_3) | instskip(SKIP_2) | instid1(VALU_DEP_3)
	v_lshlrev_b32_e32 v2, 2, v5
	v_cndmask_b32_e64 v5, 0, 1, vcc_lo
	v_cmp_gt_i32_e32 vcc_lo, v4, v17
	v_add_nc_u64_e32 v[10:11], v[6:7], v[2:3]
	ds_load_b128 v[6:9], v14 offset:32
	v_lshlrev_b32_e32 v2, 2, v5
	v_cndmask_b32_e64 v5, 0, 1, vcc_lo
	v_cmp_gt_i32_e32 vcc_lo, v4, v18
	s_delay_alu instid0(VALU_DEP_3) | instskip(NEXT) | instid1(VALU_DEP_3)
	v_add_nc_u64_e32 v[10:11], v[10:11], v[2:3]
	v_lshlrev_b32_e32 v2, 2, v5
	v_cndmask_b32_e64 v5, 0, 1, vcc_lo
	v_cmp_gt_i32_e32 vcc_lo, v4, v19
	ds_load_b128 v[16:19], v14 offset:48
	v_add_nc_u64_e32 v[10:11], v[10:11], v[2:3]
	v_lshlrev_b32_e32 v2, 2, v5
	v_cndmask_b32_e64 v5, 0, 1, vcc_lo
	s_wait_dscnt 0x1
	v_cmp_gt_i32_e32 vcc_lo, v4, v6
	s_delay_alu instid0(VALU_DEP_3) | instskip(NEXT) | instid1(VALU_DEP_3)
	v_add_nc_u64_e32 v[10:11], v[10:11], v[2:3]
	v_lshlrev_b32_e32 v2, 2, v5
	v_cndmask_b32_e64 v5, 0, 1, vcc_lo
	v_cmp_gt_i32_e32 vcc_lo, v4, v7
	s_delay_alu instid0(VALU_DEP_3) | instskip(NEXT) | instid1(VALU_DEP_3)
	v_add_nc_u64_e32 v[10:11], v[10:11], v[2:3]
	v_lshlrev_b32_e32 v2, 2, v5
	v_cndmask_b32_e64 v5, 0, 1, vcc_lo
	;; [unrolled: 5-line block ×4, first 2 shown]
	s_wait_dscnt 0x0
	v_cmp_gt_i32_e32 vcc_lo, v4, v16
	s_delay_alu instid0(VALU_DEP_3) | instskip(NEXT) | instid1(VALU_DEP_3)
	v_add_nc_u64_e32 v[6:7], v[6:7], v[2:3]
	v_lshlrev_b32_e32 v2, 2, v5
	v_cndmask_b32_e64 v5, 0, 1, vcc_lo
	v_cmp_gt_i32_e32 vcc_lo, v4, v17
	s_delay_alu instid0(VALU_DEP_3) | instskip(SKIP_4) | instid1(VALU_DEP_3)
	v_add_nc_u64_e32 v[10:11], v[6:7], v[2:3]
	ds_load_b128 v[6:9], v14 offset:64
	v_lshlrev_b32_e32 v2, 2, v5
	v_cndmask_b32_e64 v5, 0, 1, vcc_lo
	v_cmp_gt_i32_e32 vcc_lo, v4, v18
	v_add_nc_u64_e32 v[10:11], v[10:11], v[2:3]
	s_delay_alu instid0(VALU_DEP_3)
	v_lshlrev_b32_e32 v2, 2, v5
	v_cndmask_b32_e64 v5, 0, 1, vcc_lo
	v_cmp_gt_i32_e32 vcc_lo, v4, v19
	ds_load_b128 v[16:19], v14 offset:80
	v_add_nc_u64_e32 v[10:11], v[10:11], v[2:3]
	v_lshlrev_b32_e32 v2, 2, v5
	v_cndmask_b32_e64 v5, 0, 1, vcc_lo
	s_wait_dscnt 0x1
	v_cmp_gt_i32_e32 vcc_lo, v4, v6
	s_delay_alu instid0(VALU_DEP_3) | instskip(NEXT) | instid1(VALU_DEP_3)
	v_add_nc_u64_e32 v[10:11], v[10:11], v[2:3]
	v_lshlrev_b32_e32 v2, 2, v5
	v_cndmask_b32_e64 v5, 0, 1, vcc_lo
	v_cmp_gt_i32_e32 vcc_lo, v4, v7
	s_delay_alu instid0(VALU_DEP_3) | instskip(NEXT) | instid1(VALU_DEP_3)
	v_add_nc_u64_e32 v[10:11], v[10:11], v[2:3]
	v_lshlrev_b32_e32 v2, 2, v5
	v_cndmask_b32_e64 v5, 0, 1, vcc_lo
	;; [unrolled: 5-line block ×4, first 2 shown]
	s_wait_dscnt 0x0
	v_cmp_gt_i32_e32 vcc_lo, v4, v16
	s_delay_alu instid0(VALU_DEP_3) | instskip(NEXT) | instid1(VALU_DEP_3)
	v_add_nc_u64_e32 v[6:7], v[6:7], v[2:3]
	v_lshlrev_b32_e32 v2, 2, v5
	v_cndmask_b32_e64 v5, 0, 1, vcc_lo
	v_cmp_gt_i32_e32 vcc_lo, v4, v17
	s_delay_alu instid0(VALU_DEP_3) | instskip(SKIP_4) | instid1(VALU_DEP_3)
	v_add_nc_u64_e32 v[10:11], v[6:7], v[2:3]
	ds_load_b128 v[6:9], v14 offset:96
	v_lshlrev_b32_e32 v2, 2, v5
	v_cndmask_b32_e64 v5, 0, 1, vcc_lo
	v_cmp_gt_i32_e32 vcc_lo, v4, v18
	v_add_nc_u64_e32 v[10:11], v[10:11], v[2:3]
	s_delay_alu instid0(VALU_DEP_3)
	v_lshlrev_b32_e32 v2, 2, v5
	v_cndmask_b32_e64 v5, 0, 1, vcc_lo
	v_cmp_gt_i32_e32 vcc_lo, v4, v19
	ds_load_b128 v[16:19], v14 offset:112
	v_add_nc_u64_e32 v[10:11], v[10:11], v[2:3]
	v_lshlrev_b32_e32 v2, 2, v5
	v_cndmask_b32_e64 v5, 0, 1, vcc_lo
	s_wait_dscnt 0x1
	v_cmp_gt_i32_e32 vcc_lo, v4, v6
	s_delay_alu instid0(VALU_DEP_3) | instskip(NEXT) | instid1(VALU_DEP_3)
	v_add_nc_u64_e32 v[10:11], v[10:11], v[2:3]
	v_lshlrev_b32_e32 v2, 2, v5
	v_cndmask_b32_e64 v5, 0, 1, vcc_lo
	v_cmp_gt_i32_e32 vcc_lo, v4, v7
	s_delay_alu instid0(VALU_DEP_3) | instskip(NEXT) | instid1(VALU_DEP_3)
	v_add_nc_u64_e32 v[10:11], v[10:11], v[2:3]
	v_lshlrev_b32_e32 v2, 2, v5
	v_cndmask_b32_e64 v5, 0, 1, vcc_lo
	v_cmp_gt_i32_e32 vcc_lo, v4, v8
	ds_load_b32 v8, v12
	v_add_nc_u64_e32 v[6:7], v[10:11], v[2:3]
	v_lshlrev_b32_e32 v2, 2, v5
	v_cndmask_b32_e64 v5, 0, 1, vcc_lo
	v_cmp_gt_i32_e32 vcc_lo, v4, v9
	s_delay_alu instid0(VALU_DEP_3) | instskip(NEXT) | instid1(VALU_DEP_3)
	v_add_nc_u64_e32 v[6:7], v[6:7], v[2:3]
	v_lshlrev_b32_e32 v2, 2, v5
	v_cndmask_b32_e64 v5, 0, 1, vcc_lo
	s_wait_dscnt 0x1
	v_cmp_gt_i32_e32 vcc_lo, v4, v16
	s_delay_alu instid0(VALU_DEP_3) | instskip(NEXT) | instid1(VALU_DEP_3)
	v_add_nc_u64_e32 v[6:7], v[6:7], v[2:3]
	v_lshlrev_b32_e32 v2, 2, v5
	v_cndmask_b32_e64 v5, 0, 1, vcc_lo
	v_cmp_gt_i32_e32 vcc_lo, v4, v17
	s_delay_alu instid0(VALU_DEP_3) | instskip(NEXT) | instid1(VALU_DEP_3)
	v_add_nc_u64_e32 v[6:7], v[6:7], v[2:3]
	v_lshlrev_b32_e32 v2, 2, v5
	v_cndmask_b32_e64 v5, 0, 1, vcc_lo
	v_cmp_gt_i32_e32 vcc_lo, v4, v18
	s_delay_alu instid0(VALU_DEP_3) | instskip(NEXT) | instid1(VALU_DEP_3)
	v_add_nc_u64_e32 v[6:7], v[6:7], v[2:3]
	v_lshlrev_b32_e32 v2, 2, v5
	v_cndmask_b32_e64 v5, 0, 1, vcc_lo
	v_cmp_gt_i32_e32 vcc_lo, v4, v19
	s_delay_alu instid0(VALU_DEP_3) | instskip(NEXT) | instid1(VALU_DEP_3)
	v_add_nc_u64_e32 v[6:7], v[6:7], v[2:3]
	v_lshlrev_b32_e32 v2, 2, v5
	v_cndmask_b32_e64 v9, 0, 1, vcc_lo
	s_delay_alu instid0(VALU_DEP_2) | instskip(NEXT) | instid1(VALU_DEP_2)
	v_add_nc_u64_e32 v[4:5], v[6:7], v[2:3]
	v_lshlrev_b32_e32 v2, 2, v9
	s_delay_alu instid0(VALU_DEP_1)
	v_add_nc_u64_e32 v[4:5], v[4:5], v[2:3]
	s_wait_dscnt 0x0
	global_store_b32 v[4:5], v8, off
	s_branch .LBB161_31
.LBB161_34:                             ;   in Loop: Header=BB161_36 Depth=1
	s_or_b32 exec_lo, exec_lo, s4
.LBB161_35:                             ;   in Loop: Header=BB161_36 Depth=1
	s_delay_alu instid0(SALU_CYCLE_1)
	s_or_b32 exec_lo, exec_lo, s2
	s_wait_loadcnt 0x0
	v_mul_f32_e32 v6, s33, v6
	v_lshl_add_u32 v7, v7, 2, v15
	v_add_nc_u64_e32 v[2:3], 16, v[2:3]
	ds_add_f32 v7, v6
	v_cmp_ge_i64_e32 vcc_lo, v[2:3], v[0:1]
	s_or_b32 s1, vcc_lo, s1
	s_delay_alu instid0(SALU_CYCLE_1)
	s_and_not1_b32 exec_lo, exec_lo, s1
	s_cbranch_execz .LBB161_29
.LBB161_36:                             ; =>This Loop Header: Depth=1
                                        ;     Child Loop BB161_39 Depth 2
	v_lshlrev_b64_e32 v[6:7], 2, v[2:3]
	s_mov_b32 s2, exec_lo
	s_delay_alu instid0(VALU_DEP_1)
	v_add_nc_u64_e32 v[8:9], s[6:7], v[6:7]
	v_add_nc_u64_e32 v[6:7], s[8:9], v[6:7]
	global_load_b32 v8, v[8:9], off
	global_load_b32 v6, v[6:7], off
	s_wait_loadcnt 0x1
	s_wait_xcnt 0x1
	v_subrev_nc_u32_e32 v8, s23, v8
	s_wait_xcnt 0x0
	s_delay_alu instid0(VALU_DEP_1) | instskip(NEXT) | instid1(VALU_DEP_1)
	v_lshl_add_u32 v7, v8, 3, v8
	v_and_b32_e32 v7, 31, v7
	s_delay_alu instid0(VALU_DEP_1)
	v_lshl_add_u32 v9, v7, 2, v14
	ds_load_b32 v10, v9
	s_wait_dscnt 0x0
	v_cmpx_ne_u32_e64 v10, v8
	s_cbranch_execz .LBB161_35
; %bb.37:                               ;   in Loop: Header=BB161_36 Depth=1
	s_mov_b32 s4, 0
	s_branch .LBB161_39
.LBB161_38:                             ;   in Loop: Header=BB161_39 Depth=2
	s_or_b32 exec_lo, exec_lo, s13
	s_delay_alu instid0(SALU_CYCLE_1) | instskip(NEXT) | instid1(SALU_CYCLE_1)
	s_and_b32 s5, exec_lo, s12
	s_or_b32 s4, s5, s4
	s_delay_alu instid0(SALU_CYCLE_1)
	s_and_not1_b32 exec_lo, exec_lo, s4
	s_cbranch_execz .LBB161_34
.LBB161_39:                             ;   Parent Loop BB161_36 Depth=1
                                        ; =>  This Inner Loop Header: Depth=2
	s_mov_b32 s5, 0
	s_mov_b32 s12, exec_lo
	v_cmpx_ne_u32_e64 s3, v10
	s_xor_b32 s12, exec_lo, s12
	s_cbranch_execz .LBB161_41
; %bb.40:                               ;   in Loop: Header=BB161_39 Depth=2
	v_add_nc_u32_e32 v7, 1, v7
	s_mov_b32 s5, exec_lo
                                        ; implicit-def: $vgpr9
	s_delay_alu instid0(VALU_DEP_1)
	v_and_b32_e32 v7, 31, v7
	s_and_not1_saveexec_b32 s12, s12
	s_cbranch_execz .LBB161_43
	s_branch .LBB161_42
.LBB161_41:                             ;   in Loop: Header=BB161_39 Depth=2
	s_and_not1_saveexec_b32 s12, s12
	s_cbranch_execz .LBB161_43
.LBB161_42:                             ;   in Loop: Header=BB161_39 Depth=2
	v_mov_b32_e32 v10, s3
	s_and_not1_b32 s5, s5, exec_lo
	ds_cmpstore_rtn_b32 v9, v9, v8, v10
	s_wait_dscnt 0x0
	v_cmp_ne_u32_e32 vcc_lo, s3, v9
	s_and_b32 s13, vcc_lo, exec_lo
	s_delay_alu instid0(SALU_CYCLE_1)
	s_or_b32 s5, s5, s13
.LBB161_43:                             ;   in Loop: Header=BB161_39 Depth=2
	s_or_b32 exec_lo, exec_lo, s12
	s_mov_b32 s12, -1
                                        ; implicit-def: $vgpr9
                                        ; implicit-def: $vgpr10
	s_and_saveexec_b32 s13, s5
	s_cbranch_execz .LBB161_38
; %bb.44:                               ;   in Loop: Header=BB161_39 Depth=2
	v_lshl_add_u32 v9, v7, 2, v14
	ds_load_b32 v10, v9
	s_wait_dscnt 0x0
	v_cmp_eq_u32_e32 vcc_lo, v10, v8
	s_or_not1_b32 s12, vcc_lo, exec_lo
	s_branch .LBB161_38
.LBB161_45:
	s_endpgm
	.section	.rodata,"a",@progbits
	.p2align	6, 0x0
	.amdhsa_kernel _ZN9rocsparseL38csrgemm_numeric_fill_wf_per_row_kernelILj256ELj16ELj32ELj137ElifEEvT4_S1_PKS1_S3_NS_24const_host_device_scalarIT5_EEPKT3_S3_PKS5_S9_S3_SB_S6_S9_S3_SB_S9_S3_PS5_21rocsparse_index_base_SD_SD_SD_bbb
		.amdhsa_group_segment_fixed_size 4096
		.amdhsa_private_segment_fixed_size 0
		.amdhsa_kernarg_size 156
		.amdhsa_user_sgpr_count 2
		.amdhsa_user_sgpr_dispatch_ptr 0
		.amdhsa_user_sgpr_queue_ptr 0
		.amdhsa_user_sgpr_kernarg_segment_ptr 1
		.amdhsa_user_sgpr_dispatch_id 0
		.amdhsa_user_sgpr_kernarg_preload_length 0
		.amdhsa_user_sgpr_kernarg_preload_offset 0
		.amdhsa_user_sgpr_private_segment_size 0
		.amdhsa_wavefront_size32 1
		.amdhsa_uses_dynamic_stack 0
		.amdhsa_enable_private_segment 0
		.amdhsa_system_sgpr_workgroup_id_x 1
		.amdhsa_system_sgpr_workgroup_id_y 0
		.amdhsa_system_sgpr_workgroup_id_z 0
		.amdhsa_system_sgpr_workgroup_info 0
		.amdhsa_system_vgpr_workitem_id 0
		.amdhsa_next_free_vgpr 21
		.amdhsa_next_free_sgpr 40
		.amdhsa_named_barrier_count 0
		.amdhsa_reserve_vcc 1
		.amdhsa_float_round_mode_32 0
		.amdhsa_float_round_mode_16_64 0
		.amdhsa_float_denorm_mode_32 3
		.amdhsa_float_denorm_mode_16_64 3
		.amdhsa_fp16_overflow 0
		.amdhsa_memory_ordered 1
		.amdhsa_forward_progress 1
		.amdhsa_inst_pref_size 20
		.amdhsa_round_robin_scheduling 0
		.amdhsa_exception_fp_ieee_invalid_op 0
		.amdhsa_exception_fp_denorm_src 0
		.amdhsa_exception_fp_ieee_div_zero 0
		.amdhsa_exception_fp_ieee_overflow 0
		.amdhsa_exception_fp_ieee_underflow 0
		.amdhsa_exception_fp_ieee_inexact 0
		.amdhsa_exception_int_div_zero 0
	.end_amdhsa_kernel
	.section	.text._ZN9rocsparseL38csrgemm_numeric_fill_wf_per_row_kernelILj256ELj16ELj32ELj137ElifEEvT4_S1_PKS1_S3_NS_24const_host_device_scalarIT5_EEPKT3_S3_PKS5_S9_S3_SB_S6_S9_S3_SB_S9_S3_PS5_21rocsparse_index_base_SD_SD_SD_bbb,"axG",@progbits,_ZN9rocsparseL38csrgemm_numeric_fill_wf_per_row_kernelILj256ELj16ELj32ELj137ElifEEvT4_S1_PKS1_S3_NS_24const_host_device_scalarIT5_EEPKT3_S3_PKS5_S9_S3_SB_S6_S9_S3_SB_S9_S3_PS5_21rocsparse_index_base_SD_SD_SD_bbb,comdat
.Lfunc_end161:
	.size	_ZN9rocsparseL38csrgemm_numeric_fill_wf_per_row_kernelILj256ELj16ELj32ELj137ElifEEvT4_S1_PKS1_S3_NS_24const_host_device_scalarIT5_EEPKT3_S3_PKS5_S9_S3_SB_S6_S9_S3_SB_S9_S3_PS5_21rocsparse_index_base_SD_SD_SD_bbb, .Lfunc_end161-_ZN9rocsparseL38csrgemm_numeric_fill_wf_per_row_kernelILj256ELj16ELj32ELj137ElifEEvT4_S1_PKS1_S3_NS_24const_host_device_scalarIT5_EEPKT3_S3_PKS5_S9_S3_SB_S6_S9_S3_SB_S9_S3_PS5_21rocsparse_index_base_SD_SD_SD_bbb
                                        ; -- End function
	.set _ZN9rocsparseL38csrgemm_numeric_fill_wf_per_row_kernelILj256ELj16ELj32ELj137ElifEEvT4_S1_PKS1_S3_NS_24const_host_device_scalarIT5_EEPKT3_S3_PKS5_S9_S3_SB_S6_S9_S3_SB_S9_S3_PS5_21rocsparse_index_base_SD_SD_SD_bbb.num_vgpr, 21
	.set _ZN9rocsparseL38csrgemm_numeric_fill_wf_per_row_kernelILj256ELj16ELj32ELj137ElifEEvT4_S1_PKS1_S3_NS_24const_host_device_scalarIT5_EEPKT3_S3_PKS5_S9_S3_SB_S6_S9_S3_SB_S9_S3_PS5_21rocsparse_index_base_SD_SD_SD_bbb.num_agpr, 0
	.set _ZN9rocsparseL38csrgemm_numeric_fill_wf_per_row_kernelILj256ELj16ELj32ELj137ElifEEvT4_S1_PKS1_S3_NS_24const_host_device_scalarIT5_EEPKT3_S3_PKS5_S9_S3_SB_S6_S9_S3_SB_S9_S3_PS5_21rocsparse_index_base_SD_SD_SD_bbb.numbered_sgpr, 40
	.set _ZN9rocsparseL38csrgemm_numeric_fill_wf_per_row_kernelILj256ELj16ELj32ELj137ElifEEvT4_S1_PKS1_S3_NS_24const_host_device_scalarIT5_EEPKT3_S3_PKS5_S9_S3_SB_S6_S9_S3_SB_S9_S3_PS5_21rocsparse_index_base_SD_SD_SD_bbb.num_named_barrier, 0
	.set _ZN9rocsparseL38csrgemm_numeric_fill_wf_per_row_kernelILj256ELj16ELj32ELj137ElifEEvT4_S1_PKS1_S3_NS_24const_host_device_scalarIT5_EEPKT3_S3_PKS5_S9_S3_SB_S6_S9_S3_SB_S9_S3_PS5_21rocsparse_index_base_SD_SD_SD_bbb.private_seg_size, 0
	.set _ZN9rocsparseL38csrgemm_numeric_fill_wf_per_row_kernelILj256ELj16ELj32ELj137ElifEEvT4_S1_PKS1_S3_NS_24const_host_device_scalarIT5_EEPKT3_S3_PKS5_S9_S3_SB_S6_S9_S3_SB_S9_S3_PS5_21rocsparse_index_base_SD_SD_SD_bbb.uses_vcc, 1
	.set _ZN9rocsparseL38csrgemm_numeric_fill_wf_per_row_kernelILj256ELj16ELj32ELj137ElifEEvT4_S1_PKS1_S3_NS_24const_host_device_scalarIT5_EEPKT3_S3_PKS5_S9_S3_SB_S6_S9_S3_SB_S9_S3_PS5_21rocsparse_index_base_SD_SD_SD_bbb.uses_flat_scratch, 0
	.set _ZN9rocsparseL38csrgemm_numeric_fill_wf_per_row_kernelILj256ELj16ELj32ELj137ElifEEvT4_S1_PKS1_S3_NS_24const_host_device_scalarIT5_EEPKT3_S3_PKS5_S9_S3_SB_S6_S9_S3_SB_S9_S3_PS5_21rocsparse_index_base_SD_SD_SD_bbb.has_dyn_sized_stack, 0
	.set _ZN9rocsparseL38csrgemm_numeric_fill_wf_per_row_kernelILj256ELj16ELj32ELj137ElifEEvT4_S1_PKS1_S3_NS_24const_host_device_scalarIT5_EEPKT3_S3_PKS5_S9_S3_SB_S6_S9_S3_SB_S9_S3_PS5_21rocsparse_index_base_SD_SD_SD_bbb.has_recursion, 0
	.set _ZN9rocsparseL38csrgemm_numeric_fill_wf_per_row_kernelILj256ELj16ELj32ELj137ElifEEvT4_S1_PKS1_S3_NS_24const_host_device_scalarIT5_EEPKT3_S3_PKS5_S9_S3_SB_S6_S9_S3_SB_S9_S3_PS5_21rocsparse_index_base_SD_SD_SD_bbb.has_indirect_call, 0
	.section	.AMDGPU.csdata,"",@progbits
; Kernel info:
; codeLenInByte = 2548
; TotalNumSgprs: 42
; NumVgprs: 21
; ScratchSize: 0
; MemoryBound: 0
; FloatMode: 240
; IeeeMode: 1
; LDSByteSize: 4096 bytes/workgroup (compile time only)
; SGPRBlocks: 0
; VGPRBlocks: 1
; NumSGPRsForWavesPerEU: 42
; NumVGPRsForWavesPerEU: 21
; NamedBarCnt: 0
; Occupancy: 16
; WaveLimiterHint : 1
; COMPUTE_PGM_RSRC2:SCRATCH_EN: 0
; COMPUTE_PGM_RSRC2:USER_SGPR: 2
; COMPUTE_PGM_RSRC2:TRAP_HANDLER: 0
; COMPUTE_PGM_RSRC2:TGID_X_EN: 1
; COMPUTE_PGM_RSRC2:TGID_Y_EN: 0
; COMPUTE_PGM_RSRC2:TGID_Z_EN: 0
; COMPUTE_PGM_RSRC2:TIDIG_COMP_CNT: 0
	.section	.text._ZN9rocsparseL41csrgemm_numeric_fill_block_per_row_kernelILj128ELj16ELj256ELj137ELj32ElifEEvT5_PKS1_S3_NS_24const_host_device_scalarIT6_EEPKT4_S3_PKS5_S9_S3_SB_S6_S9_S3_SB_S9_S3_PS5_21rocsparse_index_base_SD_SD_SD_bbb,"axG",@progbits,_ZN9rocsparseL41csrgemm_numeric_fill_block_per_row_kernelILj128ELj16ELj256ELj137ELj32ElifEEvT5_PKS1_S3_NS_24const_host_device_scalarIT6_EEPKT4_S3_PKS5_S9_S3_SB_S6_S9_S3_SB_S9_S3_PS5_21rocsparse_index_base_SD_SD_SD_bbb,comdat
	.globl	_ZN9rocsparseL41csrgemm_numeric_fill_block_per_row_kernelILj128ELj16ELj256ELj137ELj32ElifEEvT5_PKS1_S3_NS_24const_host_device_scalarIT6_EEPKT4_S3_PKS5_S9_S3_SB_S6_S9_S3_SB_S9_S3_PS5_21rocsparse_index_base_SD_SD_SD_bbb ; -- Begin function _ZN9rocsparseL41csrgemm_numeric_fill_block_per_row_kernelILj128ELj16ELj256ELj137ELj32ElifEEvT5_PKS1_S3_NS_24const_host_device_scalarIT6_EEPKT4_S3_PKS5_S9_S3_SB_S6_S9_S3_SB_S9_S3_PS5_21rocsparse_index_base_SD_SD_SD_bbb
	.p2align	8
	.type	_ZN9rocsparseL41csrgemm_numeric_fill_block_per_row_kernelILj128ELj16ELj256ELj137ELj32ElifEEvT5_PKS1_S3_NS_24const_host_device_scalarIT6_EEPKT4_S3_PKS5_S9_S3_SB_S6_S9_S3_SB_S9_S3_PS5_21rocsparse_index_base_SD_SD_SD_bbb,@function
_ZN9rocsparseL41csrgemm_numeric_fill_block_per_row_kernelILj128ELj16ELj256ELj137ELj32ElifEEvT5_PKS1_S3_NS_24const_host_device_scalarIT6_EEPKT4_S3_PKS5_S9_S3_SB_S6_S9_S3_SB_S9_S3_PS5_21rocsparse_index_base_SD_SD_SD_bbb: ; @_ZN9rocsparseL41csrgemm_numeric_fill_block_per_row_kernelILj128ELj16ELj256ELj137ELj32ElifEEvT5_PKS1_S3_NS_24const_host_device_scalarIT6_EEPKT4_S3_PKS5_S9_S3_SB_S6_S9_S3_SB_S9_S3_PS5_21rocsparse_index_base_SD_SD_SD_bbb
; %bb.0:
	s_clause 0x2
	s_load_b32 s6, s[0:1], 0x98
	s_load_b64 s[4:5], s[0:1], 0x18
	s_load_b64 s[2:3], s[0:1], 0x50
	s_wait_kmcnt 0x0
	s_and_b32 s8, 1, s6
	s_bitcmp1_b32 s6, 16
	s_cselect_b32 s7, -1, 0
	s_cmp_eq_u32 s8, 1
	s_cselect_b32 s39, -1, 0
	s_delay_alu instid0(SALU_CYCLE_1) | instskip(SKIP_2) | instid1(SALU_CYCLE_1)
	s_and_b32 s8, s39, exec_lo
	s_cselect_b32 s37, s4, 0
	s_xor_b32 s8, s39, -1
	s_or_b32 s8, s7, s8
	s_delay_alu instid0(SALU_CYCLE_1)
	s_and_b32 vcc_lo, exec_lo, s8
	s_cbranch_vccnz .LBB162_2
; %bb.1:
	s_load_b32 s37, s[4:5], 0x0
.LBB162_2:
	s_load_b128 s[20:23], s[0:1], 0x88
	s_bitcmp1_b32 s6, 8
	s_cselect_b32 s38, -1, 0
	s_wait_xcnt 0x0
	s_and_b32 s4, s38, exec_lo
	s_cselect_b32 s36, s2, 0
	s_xor_b32 s4, s38, -1
	s_delay_alu instid0(SALU_CYCLE_1) | instskip(NEXT) | instid1(SALU_CYCLE_1)
	s_or_b32 s4, s7, s4
	s_and_b32 vcc_lo, exec_lo, s4
	s_cbranch_vccnz .LBB162_4
; %bb.3:
	s_load_b32 s36, s[2:3], 0x0
.LBB162_4:
	s_clause 0x1
	s_load_b128 s[28:31], s[0:1], 0x8
	s_load_b32 s33, s[0:1], 0x0
	s_wait_xcnt 0x0
	v_cmp_gt_u32_e64 s2, 0x100, v0
	v_or_b32_e32 v10, 0xffffff80, v0
	v_lshl_add_u32 v11, v0, 2, 0
	s_and_saveexec_b32 s3, s2
	s_cbranch_execz .LBB162_7
; %bb.5:
	v_or_b32_e32 v1, 0xffffff80, v0
	v_lshl_add_u32 v2, v0, 2, 0
	s_wait_kmcnt 0x0
	v_dual_mov_b32 v3, s33 :: v_dual_mov_b32 v4, 0
	s_mov_b32 s4, 0
.LBB162_6:                              ; =>This Inner Loop Header: Depth=1
	v_add_co_u32 v1, s5, 0x80, v1
	s_xor_b32 s5, s5, -1
	ds_store_2addr_stride64_b32 v2, v3, v4 offset1:4
	v_add_nc_u32_e32 v2, 0x200, v2
	s_and_b32 s5, exec_lo, s5
	s_delay_alu instid0(SALU_CYCLE_1) | instskip(NEXT) | instid1(SALU_CYCLE_1)
	s_or_b32 s4, s5, s4
	s_and_not1_b32 exec_lo, exec_lo, s4
	s_cbranch_execnz .LBB162_6
.LBB162_7:
	s_or_b32 exec_lo, exec_lo, s3
	s_clause 0x3
	s_load_b64 s[34:35], s[0:1], 0x80
	s_load_b256 s[4:11], s[0:1], 0x58
	s_load_b128 s[24:27], s[0:1], 0x40
	s_load_b256 s[12:19], s[0:1], 0x20
	s_wait_dscnt 0x0
	s_barrier_signal -1
	s_barrier_wait -1
	s_wait_kmcnt 0x0
	s_load_b32 s0, s[28:29], 0x0
	s_bfe_u32 s1, ttmp6, 0x4000c
	s_and_b32 s3, ttmp6, 15
	s_add_co_i32 s1, s1, 1
	s_wait_xcnt 0x0
	s_getreg_b32 s28, hwreg(HW_REG_IB_STS2, 6, 4)
	s_mul_i32 s1, ttmp9, s1
	s_delay_alu instid0(SALU_CYCLE_1)
	s_add_co_i32 s3, s3, s1
	s_cmp_eq_u32 s28, 0
	s_cselect_b32 s1, ttmp9, s3
	s_and_b32 vcc_lo, s39, exec_lo
	s_wait_kmcnt 0x0
	s_add_co_i32 s0, s0, s1
	s_mov_b32 s1, 0
	s_load_b32 s28, s[30:31], s0 offset:0x0 scale_offset
	s_cbranch_vccz .LBB162_25
; %bb.8:
	s_wait_kmcnt 0x0
	s_ashr_i32 s29, s28, 31
	v_dual_mov_b32 v5, 0 :: v_dual_lshrrev_b32 v4, 4, v0
	s_lshl_b64 s[30:31], s[28:29], 3
	s_mov_b32 s0, s20
	s_add_nc_u64 s[12:13], s[12:13], s[30:31]
	s_mov_b32 s3, exec_lo
	s_load_b128 s[40:43], s[12:13], 0x0
	v_sub_nc_u64_e64 v[2:3], v[4:5], s[0:1]
	s_wait_kmcnt 0x0
	s_delay_alu instid0(VALU_DEP_1)
	v_add_nc_u64_e32 v[2:3], s[40:41], v[2:3]
	s_sub_nc_u64 s[0:1], s[42:43], s[0:1]
	s_delay_alu instid0(VALU_DEP_1) | instid1(SALU_CYCLE_1)
	v_cmpx_gt_i64_e64 s[0:1], v[2:3]
	s_cbranch_execz .LBB162_24
; %bb.9:
	v_and_b32_e32 v4, 15, v0
	s_mov_b32 s13, 0
	s_mov_b32 s12, s21
	;; [unrolled: 1-line block ×3, first 2 shown]
	s_delay_alu instid0(VALU_DEP_1)
	v_sub_nc_u64_e64 v[4:5], v[4:5], s[12:13]
	s_branch .LBB162_11
.LBB162_10:                             ;   in Loop: Header=BB162_11 Depth=1
	s_or_b32 exec_lo, exec_lo, s30
	v_add_nc_u64_e32 v[2:3], 8, v[2:3]
	s_delay_alu instid0(VALU_DEP_1) | instskip(SKIP_1) | instid1(SALU_CYCLE_1)
	v_cmp_le_i64_e32 vcc_lo, s[0:1], v[2:3]
	s_or_b32 s29, vcc_lo, s29
	s_and_not1_b32 exec_lo, exec_lo, s29
	s_cbranch_execz .LBB162_24
.LBB162_11:                             ; =>This Loop Header: Depth=1
                                        ;     Child Loop BB162_15 Depth 2
                                        ;       Child Loop BB162_18 Depth 3
	v_lshl_add_u64 v[6:7], v[2:3], 2, s[14:15]
	s_mov_b32 s30, exec_lo
	global_load_b32 v1, v[6:7], off
	s_wait_loadcnt 0x0
	s_wait_xcnt 0x0
	v_subrev_nc_u32_e32 v6, s20, v1
	s_delay_alu instid0(VALU_DEP_1) | instskip(NEXT) | instid1(VALU_DEP_1)
	v_ashrrev_i32_e32 v7, 31, v6
	v_lshl_add_u64 v[6:7], v[6:7], 3, s[18:19]
	global_load_b128 v[12:15], v[6:7], off
	s_wait_loadcnt 0x0
	s_wait_xcnt 0x0
	v_sub_nc_u64_e64 v[6:7], v[14:15], s[12:13]
	v_add_nc_u64_e32 v[8:9], v[12:13], v[4:5]
	s_delay_alu instid0(VALU_DEP_1)
	v_cmpx_lt_i64_e64 v[8:9], v[6:7]
	s_cbranch_execz .LBB162_10
; %bb.12:                               ;   in Loop: Header=BB162_11 Depth=1
	v_lshl_add_u64 v[12:13], v[2:3], 2, s[16:17]
	s_mov_b32 s31, 0
	global_load_b32 v1, v[12:13], off
	s_wait_loadcnt 0x0
	v_mul_f32_e32 v1, s37, v1
	s_branch .LBB162_15
.LBB162_13:                             ;   in Loop: Header=BB162_15 Depth=2
	s_or_b32 exec_lo, exec_lo, s40
.LBB162_14:                             ;   in Loop: Header=BB162_15 Depth=2
	s_delay_alu instid0(SALU_CYCLE_1)
	s_or_b32 exec_lo, exec_lo, s39
	s_wait_loadcnt 0x0
	v_mul_f32_e32 v12, v1, v12
	v_lshl_add_u32 v13, v13, 2, 0
	v_add_nc_u64_e32 v[8:9], 16, v[8:9]
	ds_add_f32 v13, v12 offset:1024
	v_cmp_ge_i64_e32 vcc_lo, v[8:9], v[6:7]
	s_or_b32 s31, vcc_lo, s31
	s_delay_alu instid0(SALU_CYCLE_1)
	s_and_not1_b32 exec_lo, exec_lo, s31
	s_cbranch_execz .LBB162_10
.LBB162_15:                             ;   Parent Loop BB162_11 Depth=1
                                        ; =>  This Loop Header: Depth=2
                                        ;       Child Loop BB162_18 Depth 3
	s_wait_xcnt 0x0
	v_lshlrev_b64_e32 v[12:13], 2, v[8:9]
	s_mov_b32 s39, exec_lo
	s_delay_alu instid0(VALU_DEP_1)
	v_add_nc_u64_e32 v[14:15], s[24:25], v[12:13]
	v_add_nc_u64_e32 v[12:13], s[26:27], v[12:13]
	global_load_b32 v14, v[14:15], off
	global_load_b32 v12, v[12:13], off
	s_wait_loadcnt 0x1
	s_wait_xcnt 0x1
	v_subrev_nc_u32_e32 v14, s21, v14
	s_wait_xcnt 0x0
	s_delay_alu instid0(VALU_DEP_1) | instskip(NEXT) | instid1(VALU_DEP_1)
	v_mul_lo_u32 v13, 0x89, v14
	v_and_b32_e32 v13, 0xff, v13
	s_delay_alu instid0(VALU_DEP_1)
	v_lshl_add_u32 v15, v13, 2, 0
	ds_load_b32 v16, v15
	s_wait_dscnt 0x0
	v_cmpx_ne_u32_e64 v16, v14
	s_cbranch_execz .LBB162_14
; %bb.16:                               ;   in Loop: Header=BB162_15 Depth=2
	s_mov_b32 s40, 0
	s_branch .LBB162_18
.LBB162_17:                             ;   in Loop: Header=BB162_18 Depth=3
	s_or_b32 exec_lo, exec_lo, s43
	s_delay_alu instid0(SALU_CYCLE_1) | instskip(NEXT) | instid1(SALU_CYCLE_1)
	s_and_b32 s41, exec_lo, s42
	s_or_b32 s40, s41, s40
	s_delay_alu instid0(SALU_CYCLE_1)
	s_and_not1_b32 exec_lo, exec_lo, s40
	s_cbranch_execz .LBB162_13
.LBB162_18:                             ;   Parent Loop BB162_11 Depth=1
                                        ;     Parent Loop BB162_15 Depth=2
                                        ; =>    This Inner Loop Header: Depth=3
	s_mov_b32 s41, 0
	s_mov_b32 s42, exec_lo
	v_cmpx_ne_u32_e64 s33, v16
	s_xor_b32 s42, exec_lo, s42
	s_cbranch_execz .LBB162_20
; %bb.19:                               ;   in Loop: Header=BB162_18 Depth=3
	v_add_nc_u32_e32 v13, 1, v13
	s_mov_b32 s41, exec_lo
                                        ; implicit-def: $vgpr15
	s_delay_alu instid0(VALU_DEP_1)
	v_and_b32_e32 v13, 0xff, v13
	s_and_not1_saveexec_b32 s42, s42
	s_cbranch_execz .LBB162_22
	s_branch .LBB162_21
.LBB162_20:                             ;   in Loop: Header=BB162_18 Depth=3
	s_and_not1_saveexec_b32 s42, s42
	s_cbranch_execz .LBB162_22
.LBB162_21:                             ;   in Loop: Header=BB162_18 Depth=3
	v_mov_b32_e32 v16, s33
	s_and_not1_b32 s41, s41, exec_lo
	ds_cmpstore_rtn_b32 v15, v15, v14, v16
	s_wait_dscnt 0x0
	v_cmp_ne_u32_e32 vcc_lo, s33, v15
	s_and_b32 s43, vcc_lo, exec_lo
	s_delay_alu instid0(SALU_CYCLE_1)
	s_or_b32 s41, s41, s43
.LBB162_22:                             ;   in Loop: Header=BB162_18 Depth=3
	s_or_b32 exec_lo, exec_lo, s42
	s_mov_b32 s42, -1
                                        ; implicit-def: $vgpr15
                                        ; implicit-def: $vgpr16
	s_and_saveexec_b32 s43, s41
	s_cbranch_execz .LBB162_17
; %bb.23:                               ;   in Loop: Header=BB162_18 Depth=3
	v_lshl_add_u32 v15, v13, 2, 0
	ds_load_b32 v16, v15
	s_wait_dscnt 0x0
	v_cmp_eq_u32_e32 vcc_lo, v16, v14
	s_or_not1_b32 s42, vcc_lo, exec_lo
	s_branch .LBB162_17
.LBB162_24:
	s_or_b32 exec_lo, exec_lo, s3
.LBB162_25:
	s_delay_alu instid0(SALU_CYCLE_1)
	s_and_not1_b32 vcc_lo, exec_lo, s38
	s_cbranch_vccnz .LBB162_28
; %bb.26:
	s_wait_kmcnt 0x0
	s_ashr_i32 s29, s28, 31
	v_mov_b32_e32 v1, 0
	s_lshl_b64 s[0:1], s[28:29], 3
	s_delay_alu instid0(SALU_CYCLE_1) | instskip(SKIP_4) | instid1(SALU_CYCLE_1)
	s_add_nc_u64 s[0:1], s[4:5], s[0:1]
	s_load_b128 s[12:15], s[0:1], 0x0
	s_wait_xcnt 0x0
	s_mov_b32 s1, 0
	s_mov_b32 s0, s23
	v_sub_nc_u64_e64 v[2:3], v[0:1], s[0:1]
	s_wait_kmcnt 0x0
	s_delay_alu instid0(VALU_DEP_1) | instskip(SKIP_2) | instid1(VALU_DEP_1)
	v_add_nc_u64_e32 v[2:3], s[12:13], v[2:3]
	s_sub_nc_u64 s[4:5], s[14:15], s[0:1]
	s_mov_b32 s0, exec_lo
	v_cmpx_gt_i64_e64 s[4:5], v[2:3]
	s_cbranch_execnz .LBB162_43
.LBB162_27:
	s_or_b32 exec_lo, exec_lo, s0
.LBB162_28:
	s_wait_dscnt 0x0
	s_barrier_signal -1
	s_barrier_wait -1
	s_and_saveexec_b32 s4, s2
	s_cbranch_execz .LBB162_52
; %bb.29:
	v_mbcnt_lo_u32_b32 v2, -1, 0
	v_dual_lshrrev_b32 v3, 3, v0 :: v_dual_mov_b32 v1, 0
	s_wait_xcnt 0x0
	v_cmp_lt_u32_e64 s0, 31, v0
	v_cmp_lt_u32_e64 s1, 63, v0
	s_delay_alu instid0(VALU_DEP_3)
	v_dual_mov_b32 v6, 0 :: v_dual_bitop2_b32 v3, 12, v3 bitop3:0x40
	v_xor_b32_e32 v2, 31, v2
	v_cmp_lt_u32_e64 s2, 0x5f, v0
	s_mov_b32 s5, 0
	v_cmp_eq_u32_e32 vcc_lo, 0x7f, v0
	v_add_nc_u32_e32 v3, 0, v3
	v_lshrrev_b32_e64 v2, v2, -1
	s_branch .LBB162_31
.LBB162_30:                             ;   in Loop: Header=BB162_31 Depth=1
	s_or_b32 exec_lo, exec_lo, s3
	s_wait_dscnt 0x0
	s_barrier_signal -1
	s_barrier_wait -1
	ds_load_b32 v4, v1 offset:2060
	v_add_co_u32 v10, s3, 0x80, v10
	s_xor_b32 s3, s3, -1
	v_add_nc_u32_e32 v11, 0x200, v11
	s_and_b32 s3, exec_lo, s3
	s_delay_alu instid0(SALU_CYCLE_1)
	s_or_b32 s5, s3, s5
	s_wait_dscnt 0x0
	v_add_nc_u32_e32 v6, v4, v6
	s_and_not1_b32 exec_lo, exec_lo, s5
	s_cbranch_execz .LBB162_52
.LBB162_31:                             ; =>This Inner Loop Header: Depth=1
	ds_load_2addr_stride64_b32 v[4:5], v11 offset1:4
	s_wait_dscnt 0x0
	s_barrier_signal -1
	s_barrier_wait -1
	v_cmp_gt_i32_e64 s3, s33, v4
	s_bcnt1_i32_b32 s6, s3
	s_delay_alu instid0(SALU_CYCLE_1) | instskip(NEXT) | instid1(VALU_DEP_1)
	v_dual_mov_b32 v8, s6 :: v_dual_bitop2_b32 v7, s3, v2 bitop3:0x40
	v_bcnt_u32_b32 v7, v7, 0
	ds_store_b32 v3, v8 offset:2048
	s_wait_dscnt 0x0
	s_barrier_signal -1
	s_barrier_wait -1
	s_and_saveexec_b32 s6, s0
	s_cbranch_execz .LBB162_36
; %bb.32:                               ;   in Loop: Header=BB162_31 Depth=1
	ds_load_b32 v8, v1 offset:2048
	s_wait_dscnt 0x0
	v_add_nc_u32_e32 v7, v8, v7
	s_or_b32 exec_lo, exec_lo, s6
	s_and_saveexec_b32 s6, s1
	s_cbranch_execnz .LBB162_37
.LBB162_33:                             ;   in Loop: Header=BB162_31 Depth=1
	s_or_b32 exec_lo, exec_lo, s6
	s_and_saveexec_b32 s6, s2
	s_cbranch_execz .LBB162_38
.LBB162_34:                             ;   in Loop: Header=BB162_31 Depth=1
	ds_load_b32 v8, v1 offset:2056
	s_wait_dscnt 0x0
	v_add_nc_u32_e32 v7, v8, v7
	s_or_b32 exec_lo, exec_lo, s6
	s_and_saveexec_b32 s6, s3
	s_cbranch_execnz .LBB162_39
.LBB162_35:                             ;   in Loop: Header=BB162_31 Depth=1
	s_or_b32 exec_lo, exec_lo, s6
	s_and_saveexec_b32 s3, vcc_lo
	s_cbranch_execz .LBB162_30
	s_branch .LBB162_40
.LBB162_36:                             ;   in Loop: Header=BB162_31 Depth=1
	s_or_b32 exec_lo, exec_lo, s6
	s_and_saveexec_b32 s6, s1
	s_cbranch_execz .LBB162_33
.LBB162_37:                             ;   in Loop: Header=BB162_31 Depth=1
	ds_load_b32 v8, v1 offset:2052
	s_wait_dscnt 0x0
	v_add_nc_u32_e32 v7, v8, v7
	s_or_b32 exec_lo, exec_lo, s6
	s_and_saveexec_b32 s6, s2
	s_cbranch_execnz .LBB162_34
.LBB162_38:                             ;   in Loop: Header=BB162_31 Depth=1
	s_or_b32 exec_lo, exec_lo, s6
	s_and_saveexec_b32 s6, s3
	s_cbranch_execz .LBB162_35
.LBB162_39:                             ;   in Loop: Header=BB162_31 Depth=1
	s_delay_alu instid0(VALU_DEP_1) | instskip(SKIP_1) | instid1(VALU_DEP_2)
	v_add3_u32 v8, v6, -1, v7
	v_add_nc_u32_e32 v9, v6, v7
	v_lshl_add_u32 v8, v8, 2, 0
	s_delay_alu instid0(VALU_DEP_2)
	v_lshl_add_u32 v9, v9, 2, 0
	ds_store_b32 v8, v4
	ds_store_b32 v9, v5 offset:1020
	s_or_b32 exec_lo, exec_lo, s6
	s_and_saveexec_b32 s3, vcc_lo
	s_cbranch_execz .LBB162_30
.LBB162_40:                             ;   in Loop: Header=BB162_31 Depth=1
	ds_store_b32 v1, v7 offset:2060
	s_branch .LBB162_30
.LBB162_41:                             ;   in Loop: Header=BB162_43 Depth=1
	s_or_b32 exec_lo, exec_lo, s12
.LBB162_42:                             ;   in Loop: Header=BB162_43 Depth=1
	s_delay_alu instid0(SALU_CYCLE_1)
	s_or_b32 exec_lo, exec_lo, s3
	s_wait_loadcnt 0x0
	v_mul_f32_e32 v1, s36, v1
	v_lshl_add_u32 v4, v4, 2, 0
	v_add_nc_u64_e32 v[2:3], 0x80, v[2:3]
	ds_add_f32 v4, v1 offset:1024
	v_cmp_le_i64_e32 vcc_lo, s[4:5], v[2:3]
	s_or_b32 s1, vcc_lo, s1
	s_delay_alu instid0(SALU_CYCLE_1)
	s_and_not1_b32 exec_lo, exec_lo, s1
	s_cbranch_execz .LBB162_27
.LBB162_43:                             ; =>This Loop Header: Depth=1
                                        ;     Child Loop BB162_46 Depth 2
	v_lshlrev_b64_e32 v[4:5], 2, v[2:3]
	s_mov_b32 s3, exec_lo
	s_delay_alu instid0(VALU_DEP_1)
	v_add_nc_u64_e32 v[6:7], s[6:7], v[4:5]
	v_add_nc_u64_e32 v[4:5], s[8:9], v[4:5]
	global_load_b32 v6, v[6:7], off
	global_load_b32 v1, v[4:5], off
	s_wait_loadcnt 0x1
	s_wait_xcnt 0x0
	v_subrev_nc_u32_e32 v5, s23, v6
	s_delay_alu instid0(VALU_DEP_1) | instskip(NEXT) | instid1(VALU_DEP_1)
	v_mul_lo_u32 v4, 0x89, v5
	v_and_b32_e32 v4, 0xff, v4
	s_delay_alu instid0(VALU_DEP_1)
	v_lshl_add_u32 v6, v4, 2, 0
	ds_load_b32 v7, v6
	s_wait_dscnt 0x0
	v_cmpx_ne_u32_e64 v7, v5
	s_cbranch_execz .LBB162_42
; %bb.44:                               ;   in Loop: Header=BB162_43 Depth=1
	s_mov_b32 s12, 0
	s_branch .LBB162_46
.LBB162_45:                             ;   in Loop: Header=BB162_46 Depth=2
	s_or_b32 exec_lo, exec_lo, s15
	s_delay_alu instid0(SALU_CYCLE_1) | instskip(NEXT) | instid1(SALU_CYCLE_1)
	s_and_b32 s13, exec_lo, s14
	s_or_b32 s12, s13, s12
	s_delay_alu instid0(SALU_CYCLE_1)
	s_and_not1_b32 exec_lo, exec_lo, s12
	s_cbranch_execz .LBB162_41
.LBB162_46:                             ;   Parent Loop BB162_43 Depth=1
                                        ; =>  This Inner Loop Header: Depth=2
	s_mov_b32 s13, 0
	s_mov_b32 s14, exec_lo
	v_cmpx_ne_u32_e64 s33, v7
	s_xor_b32 s14, exec_lo, s14
	s_cbranch_execz .LBB162_48
; %bb.47:                               ;   in Loop: Header=BB162_46 Depth=2
	v_add_nc_u32_e32 v4, 1, v4
	s_mov_b32 s13, exec_lo
                                        ; implicit-def: $vgpr6
	s_delay_alu instid0(VALU_DEP_1)
	v_and_b32_e32 v4, 0xff, v4
	s_and_not1_saveexec_b32 s14, s14
	s_cbranch_execz .LBB162_50
	s_branch .LBB162_49
.LBB162_48:                             ;   in Loop: Header=BB162_46 Depth=2
	s_and_not1_saveexec_b32 s14, s14
	s_cbranch_execz .LBB162_50
.LBB162_49:                             ;   in Loop: Header=BB162_46 Depth=2
	v_mov_b32_e32 v7, s33
	s_and_not1_b32 s13, s13, exec_lo
	ds_cmpstore_rtn_b32 v6, v6, v5, v7
	s_wait_dscnt 0x0
	v_cmp_ne_u32_e32 vcc_lo, s33, v6
	s_and_b32 s15, vcc_lo, exec_lo
	s_delay_alu instid0(SALU_CYCLE_1)
	s_or_b32 s13, s13, s15
.LBB162_50:                             ;   in Loop: Header=BB162_46 Depth=2
	s_or_b32 exec_lo, exec_lo, s14
	s_mov_b32 s14, -1
                                        ; implicit-def: $vgpr6
                                        ; implicit-def: $vgpr7
	s_and_saveexec_b32 s15, s13
	s_cbranch_execz .LBB162_45
; %bb.51:                               ;   in Loop: Header=BB162_46 Depth=2
	v_lshl_add_u32 v6, v4, 2, 0
	ds_load_b32 v7, v6
	s_wait_dscnt 0x0
	v_cmp_eq_u32_e32 vcc_lo, v7, v5
	s_or_not1_b32 s14, vcc_lo, exec_lo
	s_branch .LBB162_45
.LBB162_52:
	s_or_b32 exec_lo, exec_lo, s4
	s_wait_kmcnt 0x0
	s_ashr_i32 s29, s28, 31
	s_delay_alu instid0(SALU_CYCLE_1) | instskip(NEXT) | instid1(SALU_CYCLE_1)
	s_lshl_b64 s[0:1], s[28:29], 3
	s_add_nc_u64 s[4:5], s[10:11], s[0:1]
	s_load_b128 s[0:3], s[4:5], 0x0
	s_wait_xcnt 0x0
	s_mov_b32 s4, exec_lo
	s_wait_kmcnt 0x0
	s_sub_co_i32 s3, s2, s0
	s_delay_alu instid0(SALU_CYCLE_1)
	v_cmpx_gt_i32_e64 s3, v0
	s_cbranch_execz .LBB162_62
; %bb.53:
	s_sub_co_i32 s4, s0, s2
	s_and_b32 s2, s3, 7
	s_cmp_lt_u32 s4, -7
	s_mov_b32 s23, 0
	s_cselect_b32 s4, -1, 0
	s_and_b32 s5, s3, -8
	s_cmp_lg_u32 s2, 0
	s_sub_nc_u64 s[0:1], s[0:1], s[22:23]
	s_cselect_b32 s6, -1, 0
	s_mov_b32 s7, 0
	s_branch .LBB162_55
.LBB162_54:                             ;   in Loop: Header=BB162_55 Depth=1
	v_add_nc_u32_e32 v0, 0x80, v0
	s_delay_alu instid0(VALU_DEP_2) | instskip(NEXT) | instid1(VALU_DEP_2)
	v_lshl_add_u64 v[4:5], v[4:5], 2, s[34:35]
	v_cmp_le_i32_e32 vcc_lo, s3, v0
	s_wait_dscnt 0x0
	global_store_b32 v[4:5], v3, off
	s_or_b32 s7, vcc_lo, s7
	s_wait_xcnt 0x0
	s_and_not1_b32 exec_lo, exec_lo, s7
	s_cbranch_execz .LBB162_62
.LBB162_55:                             ; =>This Loop Header: Depth=1
                                        ;     Child Loop BB162_57 Depth 2
                                        ;     Child Loop BB162_61 Depth 2
	v_lshl_add_u32 v1, v0, 2, 0
	v_mov_b64_e32 v[4:5], s[0:1]
	s_and_not1_b32 vcc_lo, exec_lo, s4
	s_mov_b32 s8, 0
	ds_load_2addr_stride64_b32 v[2:3], v1 offset1:4
	s_cbranch_vccnz .LBB162_59
; %bb.56:                               ;   in Loop: Header=BB162_55 Depth=1
	v_mov_b64_e32 v[4:5], s[0:1]
	s_mov_b32 s9, 0
.LBB162_57:                             ;   Parent Loop BB162_55 Depth=1
                                        ; =>  This Inner Loop Header: Depth=2
	s_delay_alu instid0(SALU_CYCLE_1)
	v_dual_mov_b32 v1, s9 :: v_dual_mov_b32 v11, s23
	v_mov_b32_e32 v17, s23
	s_add_co_i32 s8, s8, 8
	s_add_co_i32 s9, s9, 32
	ds_load_2addr_b32 v[6:7], v1 offset1:1
	ds_load_2addr_b32 v[8:9], v1 offset0:2 offset1:3
	ds_load_2addr_b32 v[12:13], v1 offset0:4 offset1:5
	;; [unrolled: 1-line block ×3, first 2 shown]
	s_cmp_eq_u32 s5, s8
	s_wait_dscnt 0x3
	v_cmp_gt_i32_e32 vcc_lo, v2, v6
	v_cndmask_b32_e64 v10, 0, 1, vcc_lo
	v_cmp_gt_i32_e32 vcc_lo, v2, v7
	v_mov_b32_e32 v7, s23
	s_delay_alu instid0(VALU_DEP_3) | instskip(SKIP_4) | instid1(VALU_DEP_3)
	v_add_nc_u64_e32 v[4:5], v[4:5], v[10:11]
	v_cndmask_b32_e64 v16, 0, 1, vcc_lo
	s_wait_dscnt 0x2
	v_cmp_gt_i32_e32 vcc_lo, v2, v8
	v_cndmask_b32_e64 v6, 0, 1, vcc_lo
	v_add_nc_u64_e32 v[4:5], v[4:5], v[16:17]
	v_cmp_gt_i32_e32 vcc_lo, v2, v9
	v_mov_b32_e32 v9, s23
	v_cndmask_b32_e64 v10, 0, 1, vcc_lo
	s_delay_alu instid0(VALU_DEP_4) | instskip(SKIP_3) | instid1(VALU_DEP_3)
	v_add_nc_u64_e32 v[4:5], v[4:5], v[6:7]
	s_wait_dscnt 0x1
	v_cmp_gt_i32_e32 vcc_lo, v2, v12
	v_cndmask_b32_e64 v6, 0, 1, vcc_lo
	v_add_nc_u64_e32 v[4:5], v[4:5], v[10:11]
	v_cmp_gt_i32_e32 vcc_lo, v2, v13
	v_cndmask_b32_e64 v8, 0, 1, vcc_lo
	s_delay_alu instid0(VALU_DEP_3) | instskip(SKIP_3) | instid1(VALU_DEP_3)
	v_add_nc_u64_e32 v[4:5], v[4:5], v[6:7]
	s_wait_dscnt 0x0
	v_cmp_gt_i32_e32 vcc_lo, v2, v14
	v_cndmask_b32_e64 v6, 0, 1, vcc_lo
	v_add_nc_u64_e32 v[4:5], v[4:5], v[8:9]
	v_cmp_gt_i32_e32 vcc_lo, v2, v15
	v_cndmask_b32_e64 v8, 0, 1, vcc_lo
	s_delay_alu instid0(VALU_DEP_3) | instskip(NEXT) | instid1(VALU_DEP_1)
	v_add_nc_u64_e32 v[4:5], v[4:5], v[6:7]
	v_add_nc_u64_e32 v[4:5], v[4:5], v[8:9]
	s_cbranch_scc0 .LBB162_57
; %bb.58:                               ;   in Loop: Header=BB162_55 Depth=1
	s_mov_b32 s8, s5
.LBB162_59:                             ;   in Loop: Header=BB162_55 Depth=1
	s_and_not1_b32 vcc_lo, exec_lo, s6
	s_cbranch_vccnz .LBB162_54
; %bb.60:                               ;   in Loop: Header=BB162_55 Depth=1
	s_lshl_b32 s8, s8, 2
	s_mov_b32 s9, s2
	s_add_co_i32 s8, s8, 0
.LBB162_61:                             ;   Parent Loop BB162_55 Depth=1
                                        ; =>  This Inner Loop Header: Depth=2
	s_delay_alu instid0(SALU_CYCLE_1)
	v_dual_mov_b32 v1, s8 :: v_dual_mov_b32 v7, s23
	s_add_co_i32 s9, s9, -1
	s_add_co_i32 s8, s8, 4
	s_cmp_lg_u32 s9, 0
	ds_load_b32 v1, v1
	s_wait_dscnt 0x0
	v_cmp_gt_i32_e32 vcc_lo, v2, v1
	v_cndmask_b32_e64 v6, 0, 1, vcc_lo
	s_delay_alu instid0(VALU_DEP_1)
	v_add_nc_u64_e32 v[4:5], v[4:5], v[6:7]
	s_cbranch_scc1 .LBB162_61
	s_branch .LBB162_54
.LBB162_62:
	s_endpgm
	.section	.rodata,"a",@progbits
	.p2align	6, 0x0
	.amdhsa_kernel _ZN9rocsparseL41csrgemm_numeric_fill_block_per_row_kernelILj128ELj16ELj256ELj137ELj32ElifEEvT5_PKS1_S3_NS_24const_host_device_scalarIT6_EEPKT4_S3_PKS5_S9_S3_SB_S6_S9_S3_SB_S9_S3_PS5_21rocsparse_index_base_SD_SD_SD_bbb
		.amdhsa_group_segment_fixed_size 0
		.amdhsa_private_segment_fixed_size 0
		.amdhsa_kernarg_size 156
		.amdhsa_user_sgpr_count 2
		.amdhsa_user_sgpr_dispatch_ptr 0
		.amdhsa_user_sgpr_queue_ptr 0
		.amdhsa_user_sgpr_kernarg_segment_ptr 1
		.amdhsa_user_sgpr_dispatch_id 0
		.amdhsa_user_sgpr_kernarg_preload_length 0
		.amdhsa_user_sgpr_kernarg_preload_offset 0
		.amdhsa_user_sgpr_private_segment_size 0
		.amdhsa_wavefront_size32 1
		.amdhsa_uses_dynamic_stack 0
		.amdhsa_enable_private_segment 0
		.amdhsa_system_sgpr_workgroup_id_x 1
		.amdhsa_system_sgpr_workgroup_id_y 0
		.amdhsa_system_sgpr_workgroup_id_z 0
		.amdhsa_system_sgpr_workgroup_info 0
		.amdhsa_system_vgpr_workitem_id 0
		.amdhsa_next_free_vgpr 18
		.amdhsa_next_free_sgpr 44
		.amdhsa_named_barrier_count 0
		.amdhsa_reserve_vcc 1
		.amdhsa_float_round_mode_32 0
		.amdhsa_float_round_mode_16_64 0
		.amdhsa_float_denorm_mode_32 3
		.amdhsa_float_denorm_mode_16_64 3
		.amdhsa_fp16_overflow 0
		.amdhsa_memory_ordered 1
		.amdhsa_forward_progress 1
		.amdhsa_inst_pref_size 21
		.amdhsa_round_robin_scheduling 0
		.amdhsa_exception_fp_ieee_invalid_op 0
		.amdhsa_exception_fp_denorm_src 0
		.amdhsa_exception_fp_ieee_div_zero 0
		.amdhsa_exception_fp_ieee_overflow 0
		.amdhsa_exception_fp_ieee_underflow 0
		.amdhsa_exception_fp_ieee_inexact 0
		.amdhsa_exception_int_div_zero 0
	.end_amdhsa_kernel
	.section	.text._ZN9rocsparseL41csrgemm_numeric_fill_block_per_row_kernelILj128ELj16ELj256ELj137ELj32ElifEEvT5_PKS1_S3_NS_24const_host_device_scalarIT6_EEPKT4_S3_PKS5_S9_S3_SB_S6_S9_S3_SB_S9_S3_PS5_21rocsparse_index_base_SD_SD_SD_bbb,"axG",@progbits,_ZN9rocsparseL41csrgemm_numeric_fill_block_per_row_kernelILj128ELj16ELj256ELj137ELj32ElifEEvT5_PKS1_S3_NS_24const_host_device_scalarIT6_EEPKT4_S3_PKS5_S9_S3_SB_S6_S9_S3_SB_S9_S3_PS5_21rocsparse_index_base_SD_SD_SD_bbb,comdat
.Lfunc_end162:
	.size	_ZN9rocsparseL41csrgemm_numeric_fill_block_per_row_kernelILj128ELj16ELj256ELj137ELj32ElifEEvT5_PKS1_S3_NS_24const_host_device_scalarIT6_EEPKT4_S3_PKS5_S9_S3_SB_S6_S9_S3_SB_S9_S3_PS5_21rocsparse_index_base_SD_SD_SD_bbb, .Lfunc_end162-_ZN9rocsparseL41csrgemm_numeric_fill_block_per_row_kernelILj128ELj16ELj256ELj137ELj32ElifEEvT5_PKS1_S3_NS_24const_host_device_scalarIT6_EEPKT4_S3_PKS5_S9_S3_SB_S6_S9_S3_SB_S9_S3_PS5_21rocsparse_index_base_SD_SD_SD_bbb
                                        ; -- End function
	.set _ZN9rocsparseL41csrgemm_numeric_fill_block_per_row_kernelILj128ELj16ELj256ELj137ELj32ElifEEvT5_PKS1_S3_NS_24const_host_device_scalarIT6_EEPKT4_S3_PKS5_S9_S3_SB_S6_S9_S3_SB_S9_S3_PS5_21rocsparse_index_base_SD_SD_SD_bbb.num_vgpr, 18
	.set _ZN9rocsparseL41csrgemm_numeric_fill_block_per_row_kernelILj128ELj16ELj256ELj137ELj32ElifEEvT5_PKS1_S3_NS_24const_host_device_scalarIT6_EEPKT4_S3_PKS5_S9_S3_SB_S6_S9_S3_SB_S9_S3_PS5_21rocsparse_index_base_SD_SD_SD_bbb.num_agpr, 0
	.set _ZN9rocsparseL41csrgemm_numeric_fill_block_per_row_kernelILj128ELj16ELj256ELj137ELj32ElifEEvT5_PKS1_S3_NS_24const_host_device_scalarIT6_EEPKT4_S3_PKS5_S9_S3_SB_S6_S9_S3_SB_S9_S3_PS5_21rocsparse_index_base_SD_SD_SD_bbb.numbered_sgpr, 44
	.set _ZN9rocsparseL41csrgemm_numeric_fill_block_per_row_kernelILj128ELj16ELj256ELj137ELj32ElifEEvT5_PKS1_S3_NS_24const_host_device_scalarIT6_EEPKT4_S3_PKS5_S9_S3_SB_S6_S9_S3_SB_S9_S3_PS5_21rocsparse_index_base_SD_SD_SD_bbb.num_named_barrier, 0
	.set _ZN9rocsparseL41csrgemm_numeric_fill_block_per_row_kernelILj128ELj16ELj256ELj137ELj32ElifEEvT5_PKS1_S3_NS_24const_host_device_scalarIT6_EEPKT4_S3_PKS5_S9_S3_SB_S6_S9_S3_SB_S9_S3_PS5_21rocsparse_index_base_SD_SD_SD_bbb.private_seg_size, 0
	.set _ZN9rocsparseL41csrgemm_numeric_fill_block_per_row_kernelILj128ELj16ELj256ELj137ELj32ElifEEvT5_PKS1_S3_NS_24const_host_device_scalarIT6_EEPKT4_S3_PKS5_S9_S3_SB_S6_S9_S3_SB_S9_S3_PS5_21rocsparse_index_base_SD_SD_SD_bbb.uses_vcc, 1
	.set _ZN9rocsparseL41csrgemm_numeric_fill_block_per_row_kernelILj128ELj16ELj256ELj137ELj32ElifEEvT5_PKS1_S3_NS_24const_host_device_scalarIT6_EEPKT4_S3_PKS5_S9_S3_SB_S6_S9_S3_SB_S9_S3_PS5_21rocsparse_index_base_SD_SD_SD_bbb.uses_flat_scratch, 0
	.set _ZN9rocsparseL41csrgemm_numeric_fill_block_per_row_kernelILj128ELj16ELj256ELj137ELj32ElifEEvT5_PKS1_S3_NS_24const_host_device_scalarIT6_EEPKT4_S3_PKS5_S9_S3_SB_S6_S9_S3_SB_S9_S3_PS5_21rocsparse_index_base_SD_SD_SD_bbb.has_dyn_sized_stack, 0
	.set _ZN9rocsparseL41csrgemm_numeric_fill_block_per_row_kernelILj128ELj16ELj256ELj137ELj32ElifEEvT5_PKS1_S3_NS_24const_host_device_scalarIT6_EEPKT4_S3_PKS5_S9_S3_SB_S6_S9_S3_SB_S9_S3_PS5_21rocsparse_index_base_SD_SD_SD_bbb.has_recursion, 0
	.set _ZN9rocsparseL41csrgemm_numeric_fill_block_per_row_kernelILj128ELj16ELj256ELj137ELj32ElifEEvT5_PKS1_S3_NS_24const_host_device_scalarIT6_EEPKT4_S3_PKS5_S9_S3_SB_S6_S9_S3_SB_S9_S3_PS5_21rocsparse_index_base_SD_SD_SD_bbb.has_indirect_call, 0
	.section	.AMDGPU.csdata,"",@progbits
; Kernel info:
; codeLenInByte = 2568
; TotalNumSgprs: 46
; NumVgprs: 18
; ScratchSize: 0
; MemoryBound: 0
; FloatMode: 240
; IeeeMode: 1
; LDSByteSize: 0 bytes/workgroup (compile time only)
; SGPRBlocks: 0
; VGPRBlocks: 1
; NumSGPRsForWavesPerEU: 46
; NumVGPRsForWavesPerEU: 18
; NamedBarCnt: 0
; Occupancy: 16
; WaveLimiterHint : 1
; COMPUTE_PGM_RSRC2:SCRATCH_EN: 0
; COMPUTE_PGM_RSRC2:USER_SGPR: 2
; COMPUTE_PGM_RSRC2:TRAP_HANDLER: 0
; COMPUTE_PGM_RSRC2:TGID_X_EN: 1
; COMPUTE_PGM_RSRC2:TGID_Y_EN: 0
; COMPUTE_PGM_RSRC2:TGID_Z_EN: 0
; COMPUTE_PGM_RSRC2:TIDIG_COMP_CNT: 0
	.section	.text._ZN9rocsparseL41csrgemm_numeric_fill_block_per_row_kernelILj128ELj16ELj256ELj137ELj64ElifEEvT5_PKS1_S3_NS_24const_host_device_scalarIT6_EEPKT4_S3_PKS5_S9_S3_SB_S6_S9_S3_SB_S9_S3_PS5_21rocsparse_index_base_SD_SD_SD_bbb,"axG",@progbits,_ZN9rocsparseL41csrgemm_numeric_fill_block_per_row_kernelILj128ELj16ELj256ELj137ELj64ElifEEvT5_PKS1_S3_NS_24const_host_device_scalarIT6_EEPKT4_S3_PKS5_S9_S3_SB_S6_S9_S3_SB_S9_S3_PS5_21rocsparse_index_base_SD_SD_SD_bbb,comdat
	.globl	_ZN9rocsparseL41csrgemm_numeric_fill_block_per_row_kernelILj128ELj16ELj256ELj137ELj64ElifEEvT5_PKS1_S3_NS_24const_host_device_scalarIT6_EEPKT4_S3_PKS5_S9_S3_SB_S6_S9_S3_SB_S9_S3_PS5_21rocsparse_index_base_SD_SD_SD_bbb ; -- Begin function _ZN9rocsparseL41csrgemm_numeric_fill_block_per_row_kernelILj128ELj16ELj256ELj137ELj64ElifEEvT5_PKS1_S3_NS_24const_host_device_scalarIT6_EEPKT4_S3_PKS5_S9_S3_SB_S6_S9_S3_SB_S9_S3_PS5_21rocsparse_index_base_SD_SD_SD_bbb
	.p2align	8
	.type	_ZN9rocsparseL41csrgemm_numeric_fill_block_per_row_kernelILj128ELj16ELj256ELj137ELj64ElifEEvT5_PKS1_S3_NS_24const_host_device_scalarIT6_EEPKT4_S3_PKS5_S9_S3_SB_S6_S9_S3_SB_S9_S3_PS5_21rocsparse_index_base_SD_SD_SD_bbb,@function
_ZN9rocsparseL41csrgemm_numeric_fill_block_per_row_kernelILj128ELj16ELj256ELj137ELj64ElifEEvT5_PKS1_S3_NS_24const_host_device_scalarIT6_EEPKT4_S3_PKS5_S9_S3_SB_S6_S9_S3_SB_S9_S3_PS5_21rocsparse_index_base_SD_SD_SD_bbb: ; @_ZN9rocsparseL41csrgemm_numeric_fill_block_per_row_kernelILj128ELj16ELj256ELj137ELj64ElifEEvT5_PKS1_S3_NS_24const_host_device_scalarIT6_EEPKT4_S3_PKS5_S9_S3_SB_S6_S9_S3_SB_S9_S3_PS5_21rocsparse_index_base_SD_SD_SD_bbb
; %bb.0:
	s_clause 0x2
	s_load_b32 s6, s[0:1], 0x98
	s_load_b64 s[4:5], s[0:1], 0x18
	s_load_b64 s[2:3], s[0:1], 0x50
	s_wait_kmcnt 0x0
	s_and_b32 s8, 1, s6
	s_bitcmp1_b32 s6, 16
	s_cselect_b32 s7, -1, 0
	s_cmp_eq_u32 s8, 1
	s_cselect_b32 s38, -1, 0
	s_delay_alu instid0(SALU_CYCLE_1) | instskip(SKIP_2) | instid1(SALU_CYCLE_1)
	s_and_b32 s8, s38, exec_lo
	s_cselect_b32 s36, s4, 0
	s_xor_b32 s8, s38, -1
	s_or_b32 s8, s7, s8
	s_delay_alu instid0(SALU_CYCLE_1)
	s_and_b32 vcc_lo, exec_lo, s8
	s_cbranch_vccnz .LBB163_2
; %bb.1:
	s_load_b32 s36, s[4:5], 0x0
.LBB163_2:
	s_load_b128 s[20:23], s[0:1], 0x88
	s_bitcmp1_b32 s6, 8
	s_cselect_b32 s37, -1, 0
	s_wait_xcnt 0x0
	s_and_b32 s4, s37, exec_lo
	s_cselect_b32 s33, s2, 0
	s_xor_b32 s4, s37, -1
	s_delay_alu instid0(SALU_CYCLE_1) | instskip(NEXT) | instid1(SALU_CYCLE_1)
	s_or_b32 s4, s7, s4
	s_and_b32 vcc_lo, exec_lo, s4
	s_cbranch_vccnz .LBB163_4
; %bb.3:
	s_load_b32 s33, s[2:3], 0x0
.LBB163_4:
	s_load_b128 s[28:31], s[0:1], 0x8
	s_wait_xcnt 0x0
	s_load_b32 s3, s[0:1], 0x0
	v_cmp_gt_u32_e64 s2, 0x100, v0
	v_or_b32_e32 v12, 0xffffff80, v0
	v_lshl_add_u32 v13, v0, 2, 0
	s_and_saveexec_b32 s4, s2
	s_cbranch_execz .LBB163_7
; %bb.5:
	v_or_b32_e32 v1, 0xffffff80, v0
	v_lshl_add_u32 v2, v0, 2, 0
	s_wait_kmcnt 0x0
	v_dual_mov_b32 v3, s3 :: v_dual_mov_b32 v4, 0
	s_mov_b32 s5, 0
.LBB163_6:                              ; =>This Inner Loop Header: Depth=1
	v_add_co_u32 v1, s6, 0x80, v1
	s_xor_b32 s6, s6, -1
	ds_store_2addr_stride64_b32 v2, v3, v4 offset1:4
	v_add_nc_u32_e32 v2, 0x200, v2
	s_and_b32 s6, exec_lo, s6
	s_delay_alu instid0(SALU_CYCLE_1) | instskip(NEXT) | instid1(SALU_CYCLE_1)
	s_or_b32 s5, s6, s5
	s_and_not1_b32 exec_lo, exec_lo, s5
	s_cbranch_execnz .LBB163_6
.LBB163_7:
	s_or_b32 exec_lo, exec_lo, s4
	s_clause 0x3
	s_load_b64 s[34:35], s[0:1], 0x80
	s_load_b256 s[4:11], s[0:1], 0x58
	s_load_b128 s[24:27], s[0:1], 0x40
	s_load_b256 s[12:19], s[0:1], 0x20
	s_wait_dscnt 0x0
	s_barrier_signal -1
	s_barrier_wait -1
	s_wait_kmcnt 0x0
	s_load_b32 s0, s[28:29], 0x0
	s_bfe_u32 s1, ttmp6, 0x4000c
	s_wait_xcnt 0x0
	s_and_b32 s28, ttmp6, 15
	s_add_co_i32 s1, s1, 1
	s_getreg_b32 s29, hwreg(HW_REG_IB_STS2, 6, 4)
	s_mul_i32 s1, ttmp9, s1
	v_lshrrev_b32_e32 v2, 4, v0
	s_add_co_i32 s28, s28, s1
	s_cmp_eq_u32 s29, 0
	s_cselect_b32 s1, ttmp9, s28
	s_and_b32 vcc_lo, s38, exec_lo
	s_wait_kmcnt 0x0
	s_add_co_i32 s0, s0, s1
	s_mov_b32 s1, 0
	s_load_b32 s28, s[30:31], s0 offset:0x0 scale_offset
	s_cbranch_vccz .LBB163_25
; %bb.8:
	s_wait_kmcnt 0x0
	s_ashr_i32 s29, s28, 31
	v_mov_b32_e32 v3, 0
	s_lshl_b64 s[30:31], s[28:29], 3
	s_mov_b32 s0, s20
	s_add_nc_u64 s[12:13], s[12:13], s[30:31]
	s_mov_b32 s29, exec_lo
	s_load_b128 s[40:43], s[12:13], 0x0
	v_sub_nc_u64_e64 v[4:5], v[2:3], s[0:1]
	s_wait_kmcnt 0x0
	s_delay_alu instid0(VALU_DEP_1)
	v_add_nc_u64_e32 v[4:5], s[40:41], v[4:5]
	s_sub_nc_u64 s[0:1], s[42:43], s[0:1]
	s_delay_alu instid0(VALU_DEP_1) | instid1(SALU_CYCLE_1)
	v_cmpx_gt_i64_e64 s[0:1], v[4:5]
	s_cbranch_execz .LBB163_24
; %bb.9:
	v_dual_mov_b32 v7, v3 :: v_dual_bitop2_b32 v6, 15, v0 bitop3:0x40
	s_mov_b32 s13, 0
	s_mov_b32 s12, s21
	;; [unrolled: 1-line block ×3, first 2 shown]
	s_delay_alu instid0(VALU_DEP_1)
	v_sub_nc_u64_e64 v[6:7], v[6:7], s[12:13]
	s_branch .LBB163_11
.LBB163_10:                             ;   in Loop: Header=BB163_11 Depth=1
	s_or_b32 exec_lo, exec_lo, s31
	v_add_nc_u64_e32 v[4:5], 8, v[4:5]
	s_delay_alu instid0(VALU_DEP_1) | instskip(SKIP_1) | instid1(SALU_CYCLE_1)
	v_cmp_le_i64_e32 vcc_lo, s[0:1], v[4:5]
	s_or_b32 s30, vcc_lo, s30
	s_and_not1_b32 exec_lo, exec_lo, s30
	s_cbranch_execz .LBB163_24
.LBB163_11:                             ; =>This Loop Header: Depth=1
                                        ;     Child Loop BB163_15 Depth 2
                                        ;       Child Loop BB163_18 Depth 3
	v_lshl_add_u64 v[8:9], v[4:5], 2, s[14:15]
	s_mov_b32 s31, exec_lo
	global_load_b32 v1, v[8:9], off
	s_wait_loadcnt 0x0
	s_wait_xcnt 0x0
	v_subrev_nc_u32_e32 v8, s20, v1
	s_delay_alu instid0(VALU_DEP_1) | instskip(NEXT) | instid1(VALU_DEP_1)
	v_ashrrev_i32_e32 v9, 31, v8
	v_lshl_add_u64 v[8:9], v[8:9], 3, s[18:19]
	global_load_b128 v[14:17], v[8:9], off
	s_wait_loadcnt 0x0
	s_wait_xcnt 0x0
	v_sub_nc_u64_e64 v[8:9], v[16:17], s[12:13]
	v_add_nc_u64_e32 v[10:11], v[14:15], v[6:7]
	s_delay_alu instid0(VALU_DEP_1)
	v_cmpx_lt_i64_e64 v[10:11], v[8:9]
	s_cbranch_execz .LBB163_10
; %bb.12:                               ;   in Loop: Header=BB163_11 Depth=1
	v_lshl_add_u64 v[14:15], v[4:5], 2, s[16:17]
	s_mov_b32 s38, 0
	global_load_b32 v1, v[14:15], off
	s_wait_loadcnt 0x0
	v_mul_f32_e32 v1, s36, v1
	s_branch .LBB163_15
.LBB163_13:                             ;   in Loop: Header=BB163_15 Depth=2
	s_or_b32 exec_lo, exec_lo, s40
.LBB163_14:                             ;   in Loop: Header=BB163_15 Depth=2
	s_delay_alu instid0(SALU_CYCLE_1)
	s_or_b32 exec_lo, exec_lo, s39
	s_wait_loadcnt 0x0
	v_mul_f32_e32 v3, v1, v3
	v_lshl_add_u32 v14, v14, 2, 0
	v_add_nc_u64_e32 v[10:11], 16, v[10:11]
	ds_add_f32 v14, v3 offset:1024
	v_cmp_ge_i64_e32 vcc_lo, v[10:11], v[8:9]
	s_or_b32 s38, vcc_lo, s38
	s_delay_alu instid0(SALU_CYCLE_1)
	s_and_not1_b32 exec_lo, exec_lo, s38
	s_cbranch_execz .LBB163_10
.LBB163_15:                             ;   Parent Loop BB163_11 Depth=1
                                        ; =>  This Loop Header: Depth=2
                                        ;       Child Loop BB163_18 Depth 3
	s_wait_xcnt 0x0
	v_lshlrev_b64_e32 v[14:15], 2, v[10:11]
	s_mov_b32 s39, exec_lo
	s_delay_alu instid0(VALU_DEP_1)
	v_add_nc_u64_e32 v[16:17], s[24:25], v[14:15]
	v_add_nc_u64_e32 v[14:15], s[26:27], v[14:15]
	global_load_b32 v16, v[16:17], off
	global_load_b32 v3, v[14:15], off
	s_wait_loadcnt 0x1
	s_wait_xcnt 0x0
	v_subrev_nc_u32_e32 v15, s21, v16
	s_delay_alu instid0(VALU_DEP_1) | instskip(NEXT) | instid1(VALU_DEP_1)
	v_mul_lo_u32 v14, 0x89, v15
	v_and_b32_e32 v14, 0xff, v14
	s_delay_alu instid0(VALU_DEP_1)
	v_lshl_add_u32 v16, v14, 2, 0
	ds_load_b32 v17, v16
	s_wait_dscnt 0x0
	v_cmpx_ne_u32_e64 v17, v15
	s_cbranch_execz .LBB163_14
; %bb.16:                               ;   in Loop: Header=BB163_15 Depth=2
	s_mov_b32 s40, 0
	s_branch .LBB163_18
.LBB163_17:                             ;   in Loop: Header=BB163_18 Depth=3
	s_or_b32 exec_lo, exec_lo, s43
	s_delay_alu instid0(SALU_CYCLE_1) | instskip(NEXT) | instid1(SALU_CYCLE_1)
	s_and_b32 s41, exec_lo, s42
	s_or_b32 s40, s41, s40
	s_delay_alu instid0(SALU_CYCLE_1)
	s_and_not1_b32 exec_lo, exec_lo, s40
	s_cbranch_execz .LBB163_13
.LBB163_18:                             ;   Parent Loop BB163_11 Depth=1
                                        ;     Parent Loop BB163_15 Depth=2
                                        ; =>    This Inner Loop Header: Depth=3
	s_mov_b32 s41, 0
	s_mov_b32 s42, exec_lo
	v_cmpx_ne_u32_e64 s3, v17
	s_xor_b32 s42, exec_lo, s42
	s_cbranch_execz .LBB163_20
; %bb.19:                               ;   in Loop: Header=BB163_18 Depth=3
	v_add_nc_u32_e32 v14, 1, v14
	s_mov_b32 s41, exec_lo
                                        ; implicit-def: $vgpr16
	s_delay_alu instid0(VALU_DEP_1)
	v_and_b32_e32 v14, 0xff, v14
	s_and_not1_saveexec_b32 s42, s42
	s_cbranch_execz .LBB163_22
	s_branch .LBB163_21
.LBB163_20:                             ;   in Loop: Header=BB163_18 Depth=3
	s_and_not1_saveexec_b32 s42, s42
	s_cbranch_execz .LBB163_22
.LBB163_21:                             ;   in Loop: Header=BB163_18 Depth=3
	v_mov_b32_e32 v17, s3
	s_and_not1_b32 s41, s41, exec_lo
	ds_cmpstore_rtn_b32 v16, v16, v15, v17
	s_wait_dscnt 0x0
	v_cmp_ne_u32_e32 vcc_lo, s3, v16
	s_and_b32 s43, vcc_lo, exec_lo
	s_delay_alu instid0(SALU_CYCLE_1)
	s_or_b32 s41, s41, s43
.LBB163_22:                             ;   in Loop: Header=BB163_18 Depth=3
	s_or_b32 exec_lo, exec_lo, s42
	s_mov_b32 s42, -1
                                        ; implicit-def: $vgpr16
                                        ; implicit-def: $vgpr17
	s_and_saveexec_b32 s43, s41
	s_cbranch_execz .LBB163_17
; %bb.23:                               ;   in Loop: Header=BB163_18 Depth=3
	v_lshl_add_u32 v16, v14, 2, 0
	ds_load_b32 v17, v16
	s_wait_dscnt 0x0
	v_cmp_eq_u32_e32 vcc_lo, v17, v15
	s_or_not1_b32 s42, vcc_lo, exec_lo
	s_branch .LBB163_17
.LBB163_24:
	s_or_b32 exec_lo, exec_lo, s29
.LBB163_25:
	s_delay_alu instid0(SALU_CYCLE_1)
	s_and_not1_b32 vcc_lo, exec_lo, s37
	s_cbranch_vccnz .LBB163_28
; %bb.26:
	s_wait_kmcnt 0x0
	s_ashr_i32 s29, s28, 31
	v_mov_b32_e32 v1, 0
	s_lshl_b64 s[0:1], s[28:29], 3
	s_delay_alu instid0(SALU_CYCLE_1) | instskip(SKIP_4) | instid1(SALU_CYCLE_1)
	s_add_nc_u64 s[0:1], s[4:5], s[0:1]
	s_load_b128 s[12:15], s[0:1], 0x0
	s_wait_xcnt 0x0
	s_mov_b32 s1, 0
	s_mov_b32 s0, s23
	v_sub_nc_u64_e64 v[4:5], v[0:1], s[0:1]
	s_wait_kmcnt 0x0
	s_delay_alu instid0(VALU_DEP_1) | instskip(SKIP_2) | instid1(VALU_DEP_1)
	v_add_nc_u64_e32 v[4:5], s[12:13], v[4:5]
	s_sub_nc_u64 s[4:5], s[14:15], s[0:1]
	s_mov_b32 s0, exec_lo
	v_cmpx_gt_i64_e64 s[4:5], v[4:5]
	s_cbranch_execnz .LBB163_39
.LBB163_27:
	s_or_b32 exec_lo, exec_lo, s0
.LBB163_28:
	s_wait_dscnt 0x0
	s_barrier_signal -1
	s_barrier_wait -1
	s_and_saveexec_b32 s4, s2
	s_cbranch_execz .LBB163_48
; %bb.29:
	v_mbcnt_lo_u32_b32 v1, -1, 0
	v_and_b32_e32 v2, 4, v2
	s_wait_xcnt 0x0
	v_cmp_eq_u32_e64 s0, 0x7f, v0
	v_mov_b32_e32 v6, 0
	s_mov_b32 s2, 0
	v_dual_mov_b32 v1, 0 :: v_dual_bitop2_b32 v4, 31, v1 bitop3:0x14
	v_add_nc_u32_e32 v3, 0, v2
	v_cmp_lt_u32_e32 vcc_lo, 63, v0
	s_delay_alu instid0(VALU_DEP_3)
	v_lshrrev_b32_e64 v2, v4, -1
	s_branch .LBB163_31
.LBB163_30:                             ;   in Loop: Header=BB163_31 Depth=1
	s_or_b32 exec_lo, exec_lo, s1
	s_wait_dscnt 0x0
	s_barrier_signal -1
	s_barrier_wait -1
	ds_load_b32 v4, v1 offset:2052
	v_add_co_u32 v12, s1, 0x80, v12
	s_xor_b32 s1, s1, -1
	v_add_nc_u32_e32 v13, 0x200, v13
	s_and_b32 s1, exec_lo, s1
	s_delay_alu instid0(SALU_CYCLE_1)
	s_or_b32 s2, s1, s2
	s_wait_dscnt 0x0
	v_add_nc_u32_e32 v6, v4, v6
	s_and_not1_b32 exec_lo, exec_lo, s2
	s_cbranch_execz .LBB163_48
.LBB163_31:                             ; =>This Inner Loop Header: Depth=1
	ds_load_2addr_stride64_b32 v[4:5], v13 offset1:4
	s_wait_dscnt 0x0
	s_barrier_signal -1
	s_barrier_wait -1
	v_cmp_gt_i32_e64 s1, s3, v4
	s_bcnt1_i32_b32 s5, s1
	s_delay_alu instid0(SALU_CYCLE_1) | instskip(NEXT) | instid1(VALU_DEP_1)
	v_dual_mov_b32 v8, s5 :: v_dual_bitop2_b32 v7, s1, v2 bitop3:0x40
	v_bcnt_u32_b32 v7, v7, 0
	ds_store_b32 v3, v8 offset:2048
	s_wait_dscnt 0x0
	s_barrier_signal -1
	s_barrier_wait -1
	s_and_saveexec_b32 s5, vcc_lo
	s_cbranch_execz .LBB163_34
; %bb.32:                               ;   in Loop: Header=BB163_31 Depth=1
	ds_load_b32 v8, v1 offset:2048
	s_wait_dscnt 0x0
	v_add_nc_u32_e32 v7, v8, v7
	s_or_b32 exec_lo, exec_lo, s5
	s_and_saveexec_b32 s5, s1
	s_cbranch_execnz .LBB163_35
.LBB163_33:                             ;   in Loop: Header=BB163_31 Depth=1
	s_or_b32 exec_lo, exec_lo, s5
	s_and_saveexec_b32 s1, s0
	s_cbranch_execz .LBB163_30
	s_branch .LBB163_36
.LBB163_34:                             ;   in Loop: Header=BB163_31 Depth=1
	s_or_b32 exec_lo, exec_lo, s5
	s_and_saveexec_b32 s5, s1
	s_cbranch_execz .LBB163_33
.LBB163_35:                             ;   in Loop: Header=BB163_31 Depth=1
	s_delay_alu instid0(VALU_DEP_1) | instskip(SKIP_1) | instid1(VALU_DEP_2)
	v_add3_u32 v8, v6, -1, v7
	v_add_nc_u32_e32 v9, v6, v7
	v_lshl_add_u32 v8, v8, 2, 0
	s_delay_alu instid0(VALU_DEP_2)
	v_lshl_add_u32 v9, v9, 2, 0
	ds_store_b32 v8, v4
	ds_store_b32 v9, v5 offset:1020
	s_or_b32 exec_lo, exec_lo, s5
	s_and_saveexec_b32 s1, s0
	s_cbranch_execz .LBB163_30
.LBB163_36:                             ;   in Loop: Header=BB163_31 Depth=1
	ds_store_b32 v1, v7 offset:2052
	s_branch .LBB163_30
.LBB163_37:                             ;   in Loop: Header=BB163_39 Depth=1
	s_or_b32 exec_lo, exec_lo, s13
.LBB163_38:                             ;   in Loop: Header=BB163_39 Depth=1
	s_delay_alu instid0(SALU_CYCLE_1)
	s_or_b32 exec_lo, exec_lo, s12
	s_wait_loadcnt 0x0
	v_mul_f32_e32 v1, s33, v1
	v_lshl_add_u32 v3, v3, 2, 0
	v_add_nc_u64_e32 v[4:5], 0x80, v[4:5]
	ds_add_f32 v3, v1 offset:1024
	v_cmp_le_i64_e32 vcc_lo, s[4:5], v[4:5]
	s_or_b32 s1, vcc_lo, s1
	s_delay_alu instid0(SALU_CYCLE_1)
	s_and_not1_b32 exec_lo, exec_lo, s1
	s_cbranch_execz .LBB163_27
.LBB163_39:                             ; =>This Loop Header: Depth=1
                                        ;     Child Loop BB163_42 Depth 2
	v_lshlrev_b64_e32 v[6:7], 2, v[4:5]
	s_mov_b32 s12, exec_lo
	s_delay_alu instid0(VALU_DEP_1)
	v_add_nc_u64_e32 v[8:9], s[6:7], v[6:7]
	v_add_nc_u64_e32 v[6:7], s[8:9], v[6:7]
	global_load_b32 v3, v[8:9], off
	global_load_b32 v1, v[6:7], off
	s_wait_loadcnt 0x1
	s_wait_xcnt 0x0
	v_subrev_nc_u32_e32 v6, s23, v3
	s_delay_alu instid0(VALU_DEP_1) | instskip(NEXT) | instid1(VALU_DEP_1)
	v_mul_lo_u32 v3, 0x89, v6
	v_and_b32_e32 v3, 0xff, v3
	s_delay_alu instid0(VALU_DEP_1)
	v_lshl_add_u32 v7, v3, 2, 0
	ds_load_b32 v8, v7
	s_wait_dscnt 0x0
	v_cmpx_ne_u32_e64 v8, v6
	s_cbranch_execz .LBB163_38
; %bb.40:                               ;   in Loop: Header=BB163_39 Depth=1
	s_mov_b32 s13, 0
	s_branch .LBB163_42
.LBB163_41:                             ;   in Loop: Header=BB163_42 Depth=2
	s_or_b32 exec_lo, exec_lo, s16
	s_delay_alu instid0(SALU_CYCLE_1) | instskip(NEXT) | instid1(SALU_CYCLE_1)
	s_and_b32 s14, exec_lo, s15
	s_or_b32 s13, s14, s13
	s_delay_alu instid0(SALU_CYCLE_1)
	s_and_not1_b32 exec_lo, exec_lo, s13
	s_cbranch_execz .LBB163_37
.LBB163_42:                             ;   Parent Loop BB163_39 Depth=1
                                        ; =>  This Inner Loop Header: Depth=2
	s_mov_b32 s14, 0
	s_mov_b32 s15, exec_lo
	v_cmpx_ne_u32_e64 s3, v8
	s_xor_b32 s15, exec_lo, s15
	s_cbranch_execz .LBB163_44
; %bb.43:                               ;   in Loop: Header=BB163_42 Depth=2
	v_add_nc_u32_e32 v3, 1, v3
	s_mov_b32 s14, exec_lo
                                        ; implicit-def: $vgpr7
	s_delay_alu instid0(VALU_DEP_1)
	v_and_b32_e32 v3, 0xff, v3
	s_and_not1_saveexec_b32 s15, s15
	s_cbranch_execz .LBB163_46
	s_branch .LBB163_45
.LBB163_44:                             ;   in Loop: Header=BB163_42 Depth=2
	s_and_not1_saveexec_b32 s15, s15
	s_cbranch_execz .LBB163_46
.LBB163_45:                             ;   in Loop: Header=BB163_42 Depth=2
	v_mov_b32_e32 v8, s3
	s_and_not1_b32 s14, s14, exec_lo
	ds_cmpstore_rtn_b32 v7, v7, v6, v8
	s_wait_dscnt 0x0
	v_cmp_ne_u32_e32 vcc_lo, s3, v7
	s_and_b32 s16, vcc_lo, exec_lo
	s_delay_alu instid0(SALU_CYCLE_1)
	s_or_b32 s14, s14, s16
.LBB163_46:                             ;   in Loop: Header=BB163_42 Depth=2
	s_or_b32 exec_lo, exec_lo, s15
	s_mov_b32 s15, -1
                                        ; implicit-def: $vgpr7
                                        ; implicit-def: $vgpr8
	s_and_saveexec_b32 s16, s14
	s_cbranch_execz .LBB163_41
; %bb.47:                               ;   in Loop: Header=BB163_42 Depth=2
	v_lshl_add_u32 v7, v3, 2, 0
	ds_load_b32 v8, v7
	s_wait_dscnt 0x0
	v_cmp_eq_u32_e32 vcc_lo, v8, v6
	s_or_not1_b32 s15, vcc_lo, exec_lo
	s_branch .LBB163_41
.LBB163_48:
	s_or_b32 exec_lo, exec_lo, s4
	s_wait_kmcnt 0x0
	s_ashr_i32 s29, s28, 31
	s_delay_alu instid0(SALU_CYCLE_1) | instskip(NEXT) | instid1(SALU_CYCLE_1)
	s_lshl_b64 s[0:1], s[28:29], 3
	s_add_nc_u64 s[4:5], s[10:11], s[0:1]
	s_load_b128 s[0:3], s[4:5], 0x0
	s_wait_xcnt 0x0
	s_mov_b32 s4, exec_lo
	s_wait_kmcnt 0x0
	s_sub_co_i32 s3, s2, s0
	s_delay_alu instid0(SALU_CYCLE_1)
	v_cmpx_gt_i32_e64 s3, v0
	s_cbranch_execz .LBB163_58
; %bb.49:
	s_sub_co_i32 s4, s0, s2
	s_and_b32 s2, s3, 7
	s_cmp_lt_u32 s4, -7
	s_mov_b32 s23, 0
	s_cselect_b32 s4, -1, 0
	s_and_b32 s5, s3, -8
	s_cmp_lg_u32 s2, 0
	s_sub_nc_u64 s[0:1], s[0:1], s[22:23]
	s_cselect_b32 s6, -1, 0
	s_mov_b32 s7, 0
	s_branch .LBB163_51
.LBB163_50:                             ;   in Loop: Header=BB163_51 Depth=1
	v_add_nc_u32_e32 v0, 0x80, v0
	s_delay_alu instid0(VALU_DEP_2) | instskip(NEXT) | instid1(VALU_DEP_2)
	v_lshl_add_u64 v[4:5], v[4:5], 2, s[34:35]
	v_cmp_le_i32_e32 vcc_lo, s3, v0
	s_wait_dscnt 0x0
	global_store_b32 v[4:5], v3, off
	s_or_b32 s7, vcc_lo, s7
	s_wait_xcnt 0x0
	s_and_not1_b32 exec_lo, exec_lo, s7
	s_cbranch_execz .LBB163_58
.LBB163_51:                             ; =>This Loop Header: Depth=1
                                        ;     Child Loop BB163_53 Depth 2
                                        ;     Child Loop BB163_57 Depth 2
	v_lshl_add_u32 v1, v0, 2, 0
	v_mov_b64_e32 v[4:5], s[0:1]
	s_and_not1_b32 vcc_lo, exec_lo, s4
	s_mov_b32 s8, 0
	ds_load_2addr_stride64_b32 v[2:3], v1 offset1:4
	s_cbranch_vccnz .LBB163_55
; %bb.52:                               ;   in Loop: Header=BB163_51 Depth=1
	v_mov_b64_e32 v[4:5], s[0:1]
	s_mov_b32 s9, 0
.LBB163_53:                             ;   Parent Loop BB163_51 Depth=1
                                        ; =>  This Inner Loop Header: Depth=2
	s_delay_alu instid0(SALU_CYCLE_1)
	v_dual_mov_b32 v1, s9 :: v_dual_mov_b32 v11, s23
	v_mov_b32_e32 v17, s23
	s_add_co_i32 s8, s8, 8
	s_add_co_i32 s9, s9, 32
	ds_load_2addr_b32 v[6:7], v1 offset1:1
	ds_load_2addr_b32 v[8:9], v1 offset0:2 offset1:3
	ds_load_2addr_b32 v[12:13], v1 offset0:4 offset1:5
	;; [unrolled: 1-line block ×3, first 2 shown]
	s_cmp_eq_u32 s5, s8
	s_wait_dscnt 0x3
	v_cmp_gt_i32_e32 vcc_lo, v2, v6
	v_cndmask_b32_e64 v10, 0, 1, vcc_lo
	v_cmp_gt_i32_e32 vcc_lo, v2, v7
	v_mov_b32_e32 v7, s23
	s_delay_alu instid0(VALU_DEP_3) | instskip(SKIP_4) | instid1(VALU_DEP_3)
	v_add_nc_u64_e32 v[4:5], v[4:5], v[10:11]
	v_cndmask_b32_e64 v16, 0, 1, vcc_lo
	s_wait_dscnt 0x2
	v_cmp_gt_i32_e32 vcc_lo, v2, v8
	v_cndmask_b32_e64 v6, 0, 1, vcc_lo
	v_add_nc_u64_e32 v[4:5], v[4:5], v[16:17]
	v_cmp_gt_i32_e32 vcc_lo, v2, v9
	v_mov_b32_e32 v9, s23
	v_cndmask_b32_e64 v10, 0, 1, vcc_lo
	s_delay_alu instid0(VALU_DEP_4) | instskip(SKIP_3) | instid1(VALU_DEP_3)
	v_add_nc_u64_e32 v[4:5], v[4:5], v[6:7]
	s_wait_dscnt 0x1
	v_cmp_gt_i32_e32 vcc_lo, v2, v12
	v_cndmask_b32_e64 v6, 0, 1, vcc_lo
	v_add_nc_u64_e32 v[4:5], v[4:5], v[10:11]
	v_cmp_gt_i32_e32 vcc_lo, v2, v13
	v_cndmask_b32_e64 v8, 0, 1, vcc_lo
	s_delay_alu instid0(VALU_DEP_3) | instskip(SKIP_3) | instid1(VALU_DEP_3)
	v_add_nc_u64_e32 v[4:5], v[4:5], v[6:7]
	s_wait_dscnt 0x0
	v_cmp_gt_i32_e32 vcc_lo, v2, v14
	v_cndmask_b32_e64 v6, 0, 1, vcc_lo
	v_add_nc_u64_e32 v[4:5], v[4:5], v[8:9]
	v_cmp_gt_i32_e32 vcc_lo, v2, v15
	v_cndmask_b32_e64 v8, 0, 1, vcc_lo
	s_delay_alu instid0(VALU_DEP_3) | instskip(NEXT) | instid1(VALU_DEP_1)
	v_add_nc_u64_e32 v[4:5], v[4:5], v[6:7]
	v_add_nc_u64_e32 v[4:5], v[4:5], v[8:9]
	s_cbranch_scc0 .LBB163_53
; %bb.54:                               ;   in Loop: Header=BB163_51 Depth=1
	s_mov_b32 s8, s5
.LBB163_55:                             ;   in Loop: Header=BB163_51 Depth=1
	s_and_not1_b32 vcc_lo, exec_lo, s6
	s_cbranch_vccnz .LBB163_50
; %bb.56:                               ;   in Loop: Header=BB163_51 Depth=1
	s_lshl_b32 s8, s8, 2
	s_mov_b32 s9, s2
	s_add_co_i32 s8, s8, 0
.LBB163_57:                             ;   Parent Loop BB163_51 Depth=1
                                        ; =>  This Inner Loop Header: Depth=2
	s_delay_alu instid0(SALU_CYCLE_1)
	v_dual_mov_b32 v1, s8 :: v_dual_mov_b32 v7, s23
	s_add_co_i32 s9, s9, -1
	s_add_co_i32 s8, s8, 4
	s_cmp_lg_u32 s9, 0
	ds_load_b32 v1, v1
	s_wait_dscnt 0x0
	v_cmp_gt_i32_e32 vcc_lo, v2, v1
	v_cndmask_b32_e64 v6, 0, 1, vcc_lo
	s_delay_alu instid0(VALU_DEP_1)
	v_add_nc_u64_e32 v[4:5], v[4:5], v[6:7]
	s_cbranch_scc1 .LBB163_57
	s_branch .LBB163_50
.LBB163_58:
	s_endpgm
	.section	.rodata,"a",@progbits
	.p2align	6, 0x0
	.amdhsa_kernel _ZN9rocsparseL41csrgemm_numeric_fill_block_per_row_kernelILj128ELj16ELj256ELj137ELj64ElifEEvT5_PKS1_S3_NS_24const_host_device_scalarIT6_EEPKT4_S3_PKS5_S9_S3_SB_S6_S9_S3_SB_S9_S3_PS5_21rocsparse_index_base_SD_SD_SD_bbb
		.amdhsa_group_segment_fixed_size 0
		.amdhsa_private_segment_fixed_size 0
		.amdhsa_kernarg_size 156
		.amdhsa_user_sgpr_count 2
		.amdhsa_user_sgpr_dispatch_ptr 0
		.amdhsa_user_sgpr_queue_ptr 0
		.amdhsa_user_sgpr_kernarg_segment_ptr 1
		.amdhsa_user_sgpr_dispatch_id 0
		.amdhsa_user_sgpr_kernarg_preload_length 0
		.amdhsa_user_sgpr_kernarg_preload_offset 0
		.amdhsa_user_sgpr_private_segment_size 0
		.amdhsa_wavefront_size32 1
		.amdhsa_uses_dynamic_stack 0
		.amdhsa_enable_private_segment 0
		.amdhsa_system_sgpr_workgroup_id_x 1
		.amdhsa_system_sgpr_workgroup_id_y 0
		.amdhsa_system_sgpr_workgroup_id_z 0
		.amdhsa_system_sgpr_workgroup_info 0
		.amdhsa_system_vgpr_workitem_id 0
		.amdhsa_next_free_vgpr 18
		.amdhsa_next_free_sgpr 44
		.amdhsa_named_barrier_count 0
		.amdhsa_reserve_vcc 1
		.amdhsa_float_round_mode_32 0
		.amdhsa_float_round_mode_16_64 0
		.amdhsa_float_denorm_mode_32 3
		.amdhsa_float_denorm_mode_16_64 3
		.amdhsa_fp16_overflow 0
		.amdhsa_memory_ordered 1
		.amdhsa_forward_progress 1
		.amdhsa_inst_pref_size 20
		.amdhsa_round_robin_scheduling 0
		.amdhsa_exception_fp_ieee_invalid_op 0
		.amdhsa_exception_fp_denorm_src 0
		.amdhsa_exception_fp_ieee_div_zero 0
		.amdhsa_exception_fp_ieee_overflow 0
		.amdhsa_exception_fp_ieee_underflow 0
		.amdhsa_exception_fp_ieee_inexact 0
		.amdhsa_exception_int_div_zero 0
	.end_amdhsa_kernel
	.section	.text._ZN9rocsparseL41csrgemm_numeric_fill_block_per_row_kernelILj128ELj16ELj256ELj137ELj64ElifEEvT5_PKS1_S3_NS_24const_host_device_scalarIT6_EEPKT4_S3_PKS5_S9_S3_SB_S6_S9_S3_SB_S9_S3_PS5_21rocsparse_index_base_SD_SD_SD_bbb,"axG",@progbits,_ZN9rocsparseL41csrgemm_numeric_fill_block_per_row_kernelILj128ELj16ELj256ELj137ELj64ElifEEvT5_PKS1_S3_NS_24const_host_device_scalarIT6_EEPKT4_S3_PKS5_S9_S3_SB_S6_S9_S3_SB_S9_S3_PS5_21rocsparse_index_base_SD_SD_SD_bbb,comdat
.Lfunc_end163:
	.size	_ZN9rocsparseL41csrgemm_numeric_fill_block_per_row_kernelILj128ELj16ELj256ELj137ELj64ElifEEvT5_PKS1_S3_NS_24const_host_device_scalarIT6_EEPKT4_S3_PKS5_S9_S3_SB_S6_S9_S3_SB_S9_S3_PS5_21rocsparse_index_base_SD_SD_SD_bbb, .Lfunc_end163-_ZN9rocsparseL41csrgemm_numeric_fill_block_per_row_kernelILj128ELj16ELj256ELj137ELj64ElifEEvT5_PKS1_S3_NS_24const_host_device_scalarIT6_EEPKT4_S3_PKS5_S9_S3_SB_S6_S9_S3_SB_S9_S3_PS5_21rocsparse_index_base_SD_SD_SD_bbb
                                        ; -- End function
	.set _ZN9rocsparseL41csrgemm_numeric_fill_block_per_row_kernelILj128ELj16ELj256ELj137ELj64ElifEEvT5_PKS1_S3_NS_24const_host_device_scalarIT6_EEPKT4_S3_PKS5_S9_S3_SB_S6_S9_S3_SB_S9_S3_PS5_21rocsparse_index_base_SD_SD_SD_bbb.num_vgpr, 18
	.set _ZN9rocsparseL41csrgemm_numeric_fill_block_per_row_kernelILj128ELj16ELj256ELj137ELj64ElifEEvT5_PKS1_S3_NS_24const_host_device_scalarIT6_EEPKT4_S3_PKS5_S9_S3_SB_S6_S9_S3_SB_S9_S3_PS5_21rocsparse_index_base_SD_SD_SD_bbb.num_agpr, 0
	.set _ZN9rocsparseL41csrgemm_numeric_fill_block_per_row_kernelILj128ELj16ELj256ELj137ELj64ElifEEvT5_PKS1_S3_NS_24const_host_device_scalarIT6_EEPKT4_S3_PKS5_S9_S3_SB_S6_S9_S3_SB_S9_S3_PS5_21rocsparse_index_base_SD_SD_SD_bbb.numbered_sgpr, 44
	.set _ZN9rocsparseL41csrgemm_numeric_fill_block_per_row_kernelILj128ELj16ELj256ELj137ELj64ElifEEvT5_PKS1_S3_NS_24const_host_device_scalarIT6_EEPKT4_S3_PKS5_S9_S3_SB_S6_S9_S3_SB_S9_S3_PS5_21rocsparse_index_base_SD_SD_SD_bbb.num_named_barrier, 0
	.set _ZN9rocsparseL41csrgemm_numeric_fill_block_per_row_kernelILj128ELj16ELj256ELj137ELj64ElifEEvT5_PKS1_S3_NS_24const_host_device_scalarIT6_EEPKT4_S3_PKS5_S9_S3_SB_S6_S9_S3_SB_S9_S3_PS5_21rocsparse_index_base_SD_SD_SD_bbb.private_seg_size, 0
	.set _ZN9rocsparseL41csrgemm_numeric_fill_block_per_row_kernelILj128ELj16ELj256ELj137ELj64ElifEEvT5_PKS1_S3_NS_24const_host_device_scalarIT6_EEPKT4_S3_PKS5_S9_S3_SB_S6_S9_S3_SB_S9_S3_PS5_21rocsparse_index_base_SD_SD_SD_bbb.uses_vcc, 1
	.set _ZN9rocsparseL41csrgemm_numeric_fill_block_per_row_kernelILj128ELj16ELj256ELj137ELj64ElifEEvT5_PKS1_S3_NS_24const_host_device_scalarIT6_EEPKT4_S3_PKS5_S9_S3_SB_S6_S9_S3_SB_S9_S3_PS5_21rocsparse_index_base_SD_SD_SD_bbb.uses_flat_scratch, 0
	.set _ZN9rocsparseL41csrgemm_numeric_fill_block_per_row_kernelILj128ELj16ELj256ELj137ELj64ElifEEvT5_PKS1_S3_NS_24const_host_device_scalarIT6_EEPKT4_S3_PKS5_S9_S3_SB_S6_S9_S3_SB_S9_S3_PS5_21rocsparse_index_base_SD_SD_SD_bbb.has_dyn_sized_stack, 0
	.set _ZN9rocsparseL41csrgemm_numeric_fill_block_per_row_kernelILj128ELj16ELj256ELj137ELj64ElifEEvT5_PKS1_S3_NS_24const_host_device_scalarIT6_EEPKT4_S3_PKS5_S9_S3_SB_S6_S9_S3_SB_S9_S3_PS5_21rocsparse_index_base_SD_SD_SD_bbb.has_recursion, 0
	.set _ZN9rocsparseL41csrgemm_numeric_fill_block_per_row_kernelILj128ELj16ELj256ELj137ELj64ElifEEvT5_PKS1_S3_NS_24const_host_device_scalarIT6_EEPKT4_S3_PKS5_S9_S3_SB_S6_S9_S3_SB_S9_S3_PS5_21rocsparse_index_base_SD_SD_SD_bbb.has_indirect_call, 0
	.section	.AMDGPU.csdata,"",@progbits
; Kernel info:
; codeLenInByte = 2456
; TotalNumSgprs: 46
; NumVgprs: 18
; ScratchSize: 0
; MemoryBound: 0
; FloatMode: 240
; IeeeMode: 1
; LDSByteSize: 0 bytes/workgroup (compile time only)
; SGPRBlocks: 0
; VGPRBlocks: 1
; NumSGPRsForWavesPerEU: 46
; NumVGPRsForWavesPerEU: 18
; NamedBarCnt: 0
; Occupancy: 16
; WaveLimiterHint : 1
; COMPUTE_PGM_RSRC2:SCRATCH_EN: 0
; COMPUTE_PGM_RSRC2:USER_SGPR: 2
; COMPUTE_PGM_RSRC2:TRAP_HANDLER: 0
; COMPUTE_PGM_RSRC2:TGID_X_EN: 1
; COMPUTE_PGM_RSRC2:TGID_Y_EN: 0
; COMPUTE_PGM_RSRC2:TGID_Z_EN: 0
; COMPUTE_PGM_RSRC2:TIDIG_COMP_CNT: 0
	.section	.text._ZN9rocsparseL41csrgemm_numeric_fill_block_per_row_kernelILj256ELj32ELj512ELj137ELj32ElifEEvT5_PKS1_S3_NS_24const_host_device_scalarIT6_EEPKT4_S3_PKS5_S9_S3_SB_S6_S9_S3_SB_S9_S3_PS5_21rocsparse_index_base_SD_SD_SD_bbb,"axG",@progbits,_ZN9rocsparseL41csrgemm_numeric_fill_block_per_row_kernelILj256ELj32ELj512ELj137ELj32ElifEEvT5_PKS1_S3_NS_24const_host_device_scalarIT6_EEPKT4_S3_PKS5_S9_S3_SB_S6_S9_S3_SB_S9_S3_PS5_21rocsparse_index_base_SD_SD_SD_bbb,comdat
	.globl	_ZN9rocsparseL41csrgemm_numeric_fill_block_per_row_kernelILj256ELj32ELj512ELj137ELj32ElifEEvT5_PKS1_S3_NS_24const_host_device_scalarIT6_EEPKT4_S3_PKS5_S9_S3_SB_S6_S9_S3_SB_S9_S3_PS5_21rocsparse_index_base_SD_SD_SD_bbb ; -- Begin function _ZN9rocsparseL41csrgemm_numeric_fill_block_per_row_kernelILj256ELj32ELj512ELj137ELj32ElifEEvT5_PKS1_S3_NS_24const_host_device_scalarIT6_EEPKT4_S3_PKS5_S9_S3_SB_S6_S9_S3_SB_S9_S3_PS5_21rocsparse_index_base_SD_SD_SD_bbb
	.p2align	8
	.type	_ZN9rocsparseL41csrgemm_numeric_fill_block_per_row_kernelILj256ELj32ELj512ELj137ELj32ElifEEvT5_PKS1_S3_NS_24const_host_device_scalarIT6_EEPKT4_S3_PKS5_S9_S3_SB_S6_S9_S3_SB_S9_S3_PS5_21rocsparse_index_base_SD_SD_SD_bbb,@function
_ZN9rocsparseL41csrgemm_numeric_fill_block_per_row_kernelILj256ELj32ELj512ELj137ELj32ElifEEvT5_PKS1_S3_NS_24const_host_device_scalarIT6_EEPKT4_S3_PKS5_S9_S3_SB_S6_S9_S3_SB_S9_S3_PS5_21rocsparse_index_base_SD_SD_SD_bbb: ; @_ZN9rocsparseL41csrgemm_numeric_fill_block_per_row_kernelILj256ELj32ELj512ELj137ELj32ElifEEvT5_PKS1_S3_NS_24const_host_device_scalarIT6_EEPKT4_S3_PKS5_S9_S3_SB_S6_S9_S3_SB_S9_S3_PS5_21rocsparse_index_base_SD_SD_SD_bbb
; %bb.0:
	s_clause 0x2
	s_load_b32 s6, s[0:1], 0x98
	s_load_b64 s[4:5], s[0:1], 0x18
	s_load_b64 s[2:3], s[0:1], 0x50
	s_wait_kmcnt 0x0
	s_and_b32 s8, 1, s6
	s_bitcmp1_b32 s6, 16
	s_cselect_b32 s7, -1, 0
	s_cmp_eq_u32 s8, 1
	s_cselect_b32 s39, -1, 0
	s_delay_alu instid0(SALU_CYCLE_1) | instskip(SKIP_2) | instid1(SALU_CYCLE_1)
	s_and_b32 s8, s39, exec_lo
	s_cselect_b32 s37, s4, 0
	s_xor_b32 s8, s39, -1
	s_or_b32 s8, s7, s8
	s_delay_alu instid0(SALU_CYCLE_1)
	s_and_b32 vcc_lo, exec_lo, s8
	s_cbranch_vccnz .LBB164_2
; %bb.1:
	s_load_b32 s37, s[4:5], 0x0
.LBB164_2:
	s_load_b128 s[20:23], s[0:1], 0x88
	s_bitcmp1_b32 s6, 8
	s_cselect_b32 s38, -1, 0
	s_wait_xcnt 0x0
	s_and_b32 s4, s38, exec_lo
	s_cselect_b32 s36, s2, 0
	s_xor_b32 s4, s38, -1
	s_delay_alu instid0(SALU_CYCLE_1) | instskip(NEXT) | instid1(SALU_CYCLE_1)
	s_or_b32 s4, s7, s4
	s_and_b32 vcc_lo, exec_lo, s4
	s_cbranch_vccnz .LBB164_4
; %bb.3:
	s_load_b32 s36, s[2:3], 0x0
.LBB164_4:
	s_clause 0x1
	s_load_b128 s[28:31], s[0:1], 0x8
	s_load_b32 s33, s[0:1], 0x0
	s_wait_xcnt 0x0
	v_cmp_gt_u32_e64 s2, 0x200, v0
	v_or_b32_e32 v12, 0xffffff00, v0
	v_lshl_add_u32 v13, v0, 2, 0
	s_and_saveexec_b32 s3, s2
	s_cbranch_execz .LBB164_7
; %bb.5:
	v_or_b32_e32 v1, 0xffffff00, v0
	v_lshl_add_u32 v2, v0, 2, 0
	s_wait_kmcnt 0x0
	v_dual_mov_b32 v3, s33 :: v_dual_mov_b32 v4, 0
	s_mov_b32 s4, 0
.LBB164_6:                              ; =>This Inner Loop Header: Depth=1
	v_add_co_u32 v1, s5, 0x100, v1
	s_xor_b32 s5, s5, -1
	ds_store_2addr_stride64_b32 v2, v3, v4 offset1:8
	v_add_nc_u32_e32 v2, 0x400, v2
	s_and_b32 s5, exec_lo, s5
	s_delay_alu instid0(SALU_CYCLE_1) | instskip(NEXT) | instid1(SALU_CYCLE_1)
	s_or_b32 s4, s5, s4
	s_and_not1_b32 exec_lo, exec_lo, s4
	s_cbranch_execnz .LBB164_6
.LBB164_7:
	s_or_b32 exec_lo, exec_lo, s3
	s_clause 0x3
	s_load_b64 s[34:35], s[0:1], 0x80
	s_load_b256 s[4:11], s[0:1], 0x58
	s_load_b128 s[24:27], s[0:1], 0x40
	s_load_b256 s[12:19], s[0:1], 0x20
	s_wait_dscnt 0x0
	s_barrier_signal -1
	s_barrier_wait -1
	s_wait_kmcnt 0x0
	s_load_b32 s0, s[28:29], 0x0
	s_bfe_u32 s1, ttmp6, 0x4000c
	s_and_b32 s3, ttmp6, 15
	s_add_co_i32 s1, s1, 1
	s_wait_xcnt 0x0
	s_getreg_b32 s28, hwreg(HW_REG_IB_STS2, 6, 4)
	s_mul_i32 s1, ttmp9, s1
	v_lshrrev_b32_e32 v2, 5, v0
	s_add_co_i32 s3, s3, s1
	s_cmp_eq_u32 s28, 0
	s_cselect_b32 s1, ttmp9, s3
	s_and_b32 vcc_lo, s39, exec_lo
	s_wait_kmcnt 0x0
	s_add_co_i32 s0, s0, s1
	s_mov_b32 s1, 0
	s_load_b32 s28, s[30:31], s0 offset:0x0 scale_offset
	s_cbranch_vccz .LBB164_25
; %bb.8:
	s_wait_kmcnt 0x0
	s_ashr_i32 s29, s28, 31
	v_mov_b32_e32 v3, 0
	s_lshl_b64 s[30:31], s[28:29], 3
	s_mov_b32 s0, s20
	s_add_nc_u64 s[12:13], s[12:13], s[30:31]
	s_mov_b32 s3, exec_lo
	s_load_b128 s[40:43], s[12:13], 0x0
	v_sub_nc_u64_e64 v[4:5], v[2:3], s[0:1]
	s_wait_kmcnt 0x0
	s_delay_alu instid0(VALU_DEP_1)
	v_add_nc_u64_e32 v[4:5], s[40:41], v[4:5]
	s_sub_nc_u64 s[0:1], s[42:43], s[0:1]
	s_delay_alu instid0(VALU_DEP_1) | instid1(SALU_CYCLE_1)
	v_cmpx_gt_i64_e64 s[0:1], v[4:5]
	s_cbranch_execz .LBB164_24
; %bb.9:
	v_dual_mov_b32 v7, v3 :: v_dual_bitop2_b32 v6, 31, v0 bitop3:0x40
	s_mov_b32 s13, 0
	s_mov_b32 s12, s21
	;; [unrolled: 1-line block ×3, first 2 shown]
	s_delay_alu instid0(VALU_DEP_1)
	v_sub_nc_u64_e64 v[6:7], v[6:7], s[12:13]
	s_branch .LBB164_11
.LBB164_10:                             ;   in Loop: Header=BB164_11 Depth=1
	s_or_b32 exec_lo, exec_lo, s30
	v_add_nc_u64_e32 v[4:5], 8, v[4:5]
	s_delay_alu instid0(VALU_DEP_1) | instskip(SKIP_1) | instid1(SALU_CYCLE_1)
	v_cmp_le_i64_e32 vcc_lo, s[0:1], v[4:5]
	s_or_b32 s29, vcc_lo, s29
	s_and_not1_b32 exec_lo, exec_lo, s29
	s_cbranch_execz .LBB164_24
.LBB164_11:                             ; =>This Loop Header: Depth=1
                                        ;     Child Loop BB164_15 Depth 2
                                        ;       Child Loop BB164_18 Depth 3
	v_lshl_add_u64 v[8:9], v[4:5], 2, s[14:15]
	s_mov_b32 s30, exec_lo
	global_load_b32 v1, v[8:9], off
	s_wait_loadcnt 0x0
	s_wait_xcnt 0x0
	v_subrev_nc_u32_e32 v8, s20, v1
	s_delay_alu instid0(VALU_DEP_1) | instskip(NEXT) | instid1(VALU_DEP_1)
	v_ashrrev_i32_e32 v9, 31, v8
	v_lshl_add_u64 v[8:9], v[8:9], 3, s[18:19]
	global_load_b128 v[14:17], v[8:9], off
	s_wait_loadcnt 0x0
	s_wait_xcnt 0x0
	v_sub_nc_u64_e64 v[8:9], v[16:17], s[12:13]
	v_add_nc_u64_e32 v[10:11], v[14:15], v[6:7]
	s_delay_alu instid0(VALU_DEP_1)
	v_cmpx_lt_i64_e64 v[10:11], v[8:9]
	s_cbranch_execz .LBB164_10
; %bb.12:                               ;   in Loop: Header=BB164_11 Depth=1
	v_lshl_add_u64 v[14:15], v[4:5], 2, s[16:17]
	s_mov_b32 s31, 0
	global_load_b32 v1, v[14:15], off
	s_wait_loadcnt 0x0
	v_mul_f32_e32 v1, s37, v1
	s_branch .LBB164_15
.LBB164_13:                             ;   in Loop: Header=BB164_15 Depth=2
	s_or_b32 exec_lo, exec_lo, s40
.LBB164_14:                             ;   in Loop: Header=BB164_15 Depth=2
	s_delay_alu instid0(SALU_CYCLE_1)
	s_or_b32 exec_lo, exec_lo, s39
	s_wait_loadcnt 0x0
	v_mul_f32_e32 v3, v1, v3
	v_lshl_add_u32 v14, v14, 2, 0
	v_add_nc_u64_e32 v[10:11], 32, v[10:11]
	ds_add_f32 v14, v3 offset:2048
	v_cmp_ge_i64_e32 vcc_lo, v[10:11], v[8:9]
	s_or_b32 s31, vcc_lo, s31
	s_delay_alu instid0(SALU_CYCLE_1)
	s_and_not1_b32 exec_lo, exec_lo, s31
	s_cbranch_execz .LBB164_10
.LBB164_15:                             ;   Parent Loop BB164_11 Depth=1
                                        ; =>  This Loop Header: Depth=2
                                        ;       Child Loop BB164_18 Depth 3
	s_wait_xcnt 0x0
	v_lshlrev_b64_e32 v[14:15], 2, v[10:11]
	s_mov_b32 s39, exec_lo
	s_delay_alu instid0(VALU_DEP_1)
	v_add_nc_u64_e32 v[16:17], s[24:25], v[14:15]
	v_add_nc_u64_e32 v[14:15], s[26:27], v[14:15]
	global_load_b32 v16, v[16:17], off
	global_load_b32 v3, v[14:15], off
	s_wait_loadcnt 0x1
	s_wait_xcnt 0x0
	v_subrev_nc_u32_e32 v15, s21, v16
	s_delay_alu instid0(VALU_DEP_1) | instskip(NEXT) | instid1(VALU_DEP_1)
	v_mul_lo_u32 v14, 0x89, v15
	v_and_b32_e32 v14, 0x1ff, v14
	s_delay_alu instid0(VALU_DEP_1)
	v_lshl_add_u32 v16, v14, 2, 0
	ds_load_b32 v17, v16
	s_wait_dscnt 0x0
	v_cmpx_ne_u32_e64 v17, v15
	s_cbranch_execz .LBB164_14
; %bb.16:                               ;   in Loop: Header=BB164_15 Depth=2
	s_mov_b32 s40, 0
	s_branch .LBB164_18
.LBB164_17:                             ;   in Loop: Header=BB164_18 Depth=3
	s_or_b32 exec_lo, exec_lo, s43
	s_delay_alu instid0(SALU_CYCLE_1) | instskip(NEXT) | instid1(SALU_CYCLE_1)
	s_and_b32 s41, exec_lo, s42
	s_or_b32 s40, s41, s40
	s_delay_alu instid0(SALU_CYCLE_1)
	s_and_not1_b32 exec_lo, exec_lo, s40
	s_cbranch_execz .LBB164_13
.LBB164_18:                             ;   Parent Loop BB164_11 Depth=1
                                        ;     Parent Loop BB164_15 Depth=2
                                        ; =>    This Inner Loop Header: Depth=3
	s_mov_b32 s41, 0
	s_mov_b32 s42, exec_lo
	v_cmpx_ne_u32_e64 s33, v17
	s_xor_b32 s42, exec_lo, s42
	s_cbranch_execz .LBB164_20
; %bb.19:                               ;   in Loop: Header=BB164_18 Depth=3
	v_add_nc_u32_e32 v14, 1, v14
	s_mov_b32 s41, exec_lo
                                        ; implicit-def: $vgpr16
	s_delay_alu instid0(VALU_DEP_1)
	v_and_b32_e32 v14, 0x1ff, v14
	s_and_not1_saveexec_b32 s42, s42
	s_cbranch_execz .LBB164_22
	s_branch .LBB164_21
.LBB164_20:                             ;   in Loop: Header=BB164_18 Depth=3
	s_and_not1_saveexec_b32 s42, s42
	s_cbranch_execz .LBB164_22
.LBB164_21:                             ;   in Loop: Header=BB164_18 Depth=3
	v_mov_b32_e32 v17, s33
	s_and_not1_b32 s41, s41, exec_lo
	ds_cmpstore_rtn_b32 v16, v16, v15, v17
	s_wait_dscnt 0x0
	v_cmp_ne_u32_e32 vcc_lo, s33, v16
	s_and_b32 s43, vcc_lo, exec_lo
	s_delay_alu instid0(SALU_CYCLE_1)
	s_or_b32 s41, s41, s43
.LBB164_22:                             ;   in Loop: Header=BB164_18 Depth=3
	s_or_b32 exec_lo, exec_lo, s42
	s_mov_b32 s42, -1
                                        ; implicit-def: $vgpr16
                                        ; implicit-def: $vgpr17
	s_and_saveexec_b32 s43, s41
	s_cbranch_execz .LBB164_17
; %bb.23:                               ;   in Loop: Header=BB164_18 Depth=3
	v_lshl_add_u32 v16, v14, 2, 0
	ds_load_b32 v17, v16
	s_wait_dscnt 0x0
	v_cmp_eq_u32_e32 vcc_lo, v17, v15
	s_or_not1_b32 s42, vcc_lo, exec_lo
	s_branch .LBB164_17
.LBB164_24:
	s_or_b32 exec_lo, exec_lo, s3
.LBB164_25:
	s_delay_alu instid0(SALU_CYCLE_1)
	s_and_not1_b32 vcc_lo, exec_lo, s38
	s_cbranch_vccnz .LBB164_28
; %bb.26:
	s_wait_kmcnt 0x0
	s_ashr_i32 s29, s28, 31
	v_mov_b32_e32 v1, 0
	s_lshl_b64 s[0:1], s[28:29], 3
	s_delay_alu instid0(SALU_CYCLE_1) | instskip(SKIP_4) | instid1(SALU_CYCLE_1)
	s_add_nc_u64 s[0:1], s[4:5], s[0:1]
	s_load_b128 s[12:15], s[0:1], 0x0
	s_wait_xcnt 0x0
	s_mov_b32 s1, 0
	s_mov_b32 s0, s23
	v_sub_nc_u64_e64 v[4:5], v[0:1], s[0:1]
	s_wait_kmcnt 0x0
	s_delay_alu instid0(VALU_DEP_1) | instskip(SKIP_2) | instid1(VALU_DEP_1)
	v_add_nc_u64_e32 v[4:5], s[12:13], v[4:5]
	s_sub_nc_u64 s[4:5], s[14:15], s[0:1]
	s_mov_b32 s0, exec_lo
	v_cmpx_gt_i64_e64 s[4:5], v[4:5]
	s_cbranch_execnz .LBB164_51
.LBB164_27:
	s_or_b32 exec_lo, exec_lo, s0
.LBB164_28:
	s_wait_dscnt 0x0
	s_barrier_signal -1
	s_barrier_wait -1
	s_and_saveexec_b32 s8, s2
	s_cbranch_execz .LBB164_60
; %bb.29:
	v_mbcnt_lo_u32_b32 v4, -1, 0
	v_mov_b32_e32 v1, 0
	v_lshl_add_u32 v3, v2, 2, 0
	s_wait_xcnt 0x0
	v_cmp_lt_u32_e64 s0, 31, v0
	v_cmp_lt_u32_e64 s1, 63, v0
	v_xor_b32_e32 v2, 31, v4
	v_cmp_lt_u32_e64 s2, 0x5f, v0
	v_cmp_lt_u32_e64 s3, 0x7f, v0
	;; [unrolled: 1-line block ×4, first 2 shown]
	v_lshrrev_b32_e64 v2, v2, -1
	v_cmp_lt_u32_e64 s6, 0xdf, v0
	v_mov_b32_e32 v6, 0
	s_mov_b32 s9, 0
	v_cmp_eq_u32_e32 vcc_lo, 0xff, v0
	s_branch .LBB164_31
.LBB164_30:                             ;   in Loop: Header=BB164_31 Depth=1
	s_or_b32 exec_lo, exec_lo, s7
	s_wait_dscnt 0x0
	s_barrier_signal -1
	s_barrier_wait -1
	ds_load_b32 v4, v1 offset:4124
	v_add_co_u32 v12, s7, 0x100, v12
	s_xor_b32 s7, s7, -1
	v_add_nc_u32_e32 v13, 0x400, v13
	s_and_b32 s7, exec_lo, s7
	s_delay_alu instid0(SALU_CYCLE_1)
	s_or_b32 s9, s7, s9
	s_wait_dscnt 0x0
	v_add_nc_u32_e32 v6, v4, v6
	s_and_not1_b32 exec_lo, exec_lo, s9
	s_cbranch_execz .LBB164_60
.LBB164_31:                             ; =>This Inner Loop Header: Depth=1
	ds_load_2addr_stride64_b32 v[4:5], v13 offset1:8
	s_wait_dscnt 0x0
	s_barrier_signal -1
	s_barrier_wait -1
	v_cmp_gt_i32_e64 s7, s33, v4
	s_bcnt1_i32_b32 s12, s7
	s_delay_alu instid0(SALU_CYCLE_1) | instskip(NEXT) | instid1(VALU_DEP_1)
	v_dual_mov_b32 v8, s12 :: v_dual_bitop2_b32 v7, s7, v2 bitop3:0x40
	v_bcnt_u32_b32 v7, v7, 0
	ds_store_b32 v3, v8 offset:4096
	s_wait_dscnt 0x0
	s_barrier_signal -1
	s_barrier_wait -1
	s_and_saveexec_b32 s12, s0
	s_cbranch_execz .LBB164_40
; %bb.32:                               ;   in Loop: Header=BB164_31 Depth=1
	ds_load_b32 v8, v1 offset:4096
	s_wait_dscnt 0x0
	v_add_nc_u32_e32 v7, v8, v7
	s_or_b32 exec_lo, exec_lo, s12
	s_and_saveexec_b32 s12, s1
	s_cbranch_execnz .LBB164_41
.LBB164_33:                             ;   in Loop: Header=BB164_31 Depth=1
	s_or_b32 exec_lo, exec_lo, s12
	s_and_saveexec_b32 s12, s2
	s_cbranch_execz .LBB164_42
.LBB164_34:                             ;   in Loop: Header=BB164_31 Depth=1
	ds_load_b32 v8, v1 offset:4104
	s_wait_dscnt 0x0
	v_add_nc_u32_e32 v7, v8, v7
	s_or_b32 exec_lo, exec_lo, s12
	s_and_saveexec_b32 s12, s3
	s_cbranch_execnz .LBB164_43
.LBB164_35:                             ;   in Loop: Header=BB164_31 Depth=1
	s_or_b32 exec_lo, exec_lo, s12
	s_and_saveexec_b32 s12, s4
	s_cbranch_execz .LBB164_44
.LBB164_36:                             ;   in Loop: Header=BB164_31 Depth=1
	ds_load_b32 v8, v1 offset:4112
	s_wait_dscnt 0x0
	v_add_nc_u32_e32 v7, v8, v7
	s_or_b32 exec_lo, exec_lo, s12
	s_and_saveexec_b32 s12, s5
	s_cbranch_execnz .LBB164_45
.LBB164_37:                             ;   in Loop: Header=BB164_31 Depth=1
	s_or_b32 exec_lo, exec_lo, s12
	s_and_saveexec_b32 s12, s6
	s_cbranch_execz .LBB164_46
.LBB164_38:                             ;   in Loop: Header=BB164_31 Depth=1
	ds_load_b32 v8, v1 offset:4120
	s_wait_dscnt 0x0
	v_add_nc_u32_e32 v7, v8, v7
	s_or_b32 exec_lo, exec_lo, s12
	s_and_saveexec_b32 s12, s7
	s_cbranch_execnz .LBB164_47
.LBB164_39:                             ;   in Loop: Header=BB164_31 Depth=1
	s_or_b32 exec_lo, exec_lo, s12
	s_and_saveexec_b32 s7, vcc_lo
	s_cbranch_execz .LBB164_30
	s_branch .LBB164_48
.LBB164_40:                             ;   in Loop: Header=BB164_31 Depth=1
	s_or_b32 exec_lo, exec_lo, s12
	s_and_saveexec_b32 s12, s1
	s_cbranch_execz .LBB164_33
.LBB164_41:                             ;   in Loop: Header=BB164_31 Depth=1
	ds_load_b32 v8, v1 offset:4100
	s_wait_dscnt 0x0
	v_add_nc_u32_e32 v7, v8, v7
	s_or_b32 exec_lo, exec_lo, s12
	s_and_saveexec_b32 s12, s2
	s_cbranch_execnz .LBB164_34
.LBB164_42:                             ;   in Loop: Header=BB164_31 Depth=1
	s_or_b32 exec_lo, exec_lo, s12
	s_and_saveexec_b32 s12, s3
	s_cbranch_execz .LBB164_35
.LBB164_43:                             ;   in Loop: Header=BB164_31 Depth=1
	ds_load_b32 v8, v1 offset:4108
	s_wait_dscnt 0x0
	v_add_nc_u32_e32 v7, v8, v7
	s_or_b32 exec_lo, exec_lo, s12
	s_and_saveexec_b32 s12, s4
	s_cbranch_execnz .LBB164_36
.LBB164_44:                             ;   in Loop: Header=BB164_31 Depth=1
	s_or_b32 exec_lo, exec_lo, s12
	s_and_saveexec_b32 s12, s5
	s_cbranch_execz .LBB164_37
.LBB164_45:                             ;   in Loop: Header=BB164_31 Depth=1
	ds_load_b32 v8, v1 offset:4116
	s_wait_dscnt 0x0
	v_add_nc_u32_e32 v7, v8, v7
	s_or_b32 exec_lo, exec_lo, s12
	s_and_saveexec_b32 s12, s6
	s_cbranch_execnz .LBB164_38
.LBB164_46:                             ;   in Loop: Header=BB164_31 Depth=1
	s_or_b32 exec_lo, exec_lo, s12
	s_and_saveexec_b32 s12, s7
	s_cbranch_execz .LBB164_39
.LBB164_47:                             ;   in Loop: Header=BB164_31 Depth=1
	s_delay_alu instid0(VALU_DEP_1) | instskip(SKIP_1) | instid1(VALU_DEP_2)
	v_add3_u32 v8, v6, -1, v7
	v_add_nc_u32_e32 v9, v6, v7
	v_lshl_add_u32 v8, v8, 2, 0
	s_delay_alu instid0(VALU_DEP_2)
	v_lshl_add_u32 v9, v9, 2, 0
	ds_store_b32 v8, v4
	ds_store_b32 v9, v5 offset:2044
	s_or_b32 exec_lo, exec_lo, s12
	s_and_saveexec_b32 s7, vcc_lo
	s_cbranch_execz .LBB164_30
.LBB164_48:                             ;   in Loop: Header=BB164_31 Depth=1
	ds_store_b32 v1, v7 offset:4124
	s_branch .LBB164_30
.LBB164_49:                             ;   in Loop: Header=BB164_51 Depth=1
	s_or_b32 exec_lo, exec_lo, s12
.LBB164_50:                             ;   in Loop: Header=BB164_51 Depth=1
	s_delay_alu instid0(SALU_CYCLE_1)
	s_or_b32 exec_lo, exec_lo, s3
	s_wait_loadcnt 0x0
	v_mul_f32_e32 v1, s36, v1
	v_lshl_add_u32 v3, v3, 2, 0
	v_add_nc_u64_e32 v[4:5], 0x100, v[4:5]
	ds_add_f32 v3, v1 offset:2048
	v_cmp_le_i64_e32 vcc_lo, s[4:5], v[4:5]
	s_or_b32 s1, vcc_lo, s1
	s_delay_alu instid0(SALU_CYCLE_1)
	s_and_not1_b32 exec_lo, exec_lo, s1
	s_cbranch_execz .LBB164_27
.LBB164_51:                             ; =>This Loop Header: Depth=1
                                        ;     Child Loop BB164_54 Depth 2
	v_lshlrev_b64_e32 v[6:7], 2, v[4:5]
	s_mov_b32 s3, exec_lo
	s_delay_alu instid0(VALU_DEP_1)
	v_add_nc_u64_e32 v[8:9], s[6:7], v[6:7]
	v_add_nc_u64_e32 v[6:7], s[8:9], v[6:7]
	global_load_b32 v3, v[8:9], off
	global_load_b32 v1, v[6:7], off
	s_wait_loadcnt 0x1
	s_wait_xcnt 0x0
	v_subrev_nc_u32_e32 v6, s23, v3
	s_delay_alu instid0(VALU_DEP_1) | instskip(NEXT) | instid1(VALU_DEP_1)
	v_mul_lo_u32 v3, 0x89, v6
	v_and_b32_e32 v3, 0x1ff, v3
	s_delay_alu instid0(VALU_DEP_1)
	v_lshl_add_u32 v7, v3, 2, 0
	ds_load_b32 v8, v7
	s_wait_dscnt 0x0
	v_cmpx_ne_u32_e64 v8, v6
	s_cbranch_execz .LBB164_50
; %bb.52:                               ;   in Loop: Header=BB164_51 Depth=1
	s_mov_b32 s12, 0
	s_branch .LBB164_54
.LBB164_53:                             ;   in Loop: Header=BB164_54 Depth=2
	s_or_b32 exec_lo, exec_lo, s15
	s_delay_alu instid0(SALU_CYCLE_1) | instskip(NEXT) | instid1(SALU_CYCLE_1)
	s_and_b32 s13, exec_lo, s14
	s_or_b32 s12, s13, s12
	s_delay_alu instid0(SALU_CYCLE_1)
	s_and_not1_b32 exec_lo, exec_lo, s12
	s_cbranch_execz .LBB164_49
.LBB164_54:                             ;   Parent Loop BB164_51 Depth=1
                                        ; =>  This Inner Loop Header: Depth=2
	s_mov_b32 s13, 0
	s_mov_b32 s14, exec_lo
	v_cmpx_ne_u32_e64 s33, v8
	s_xor_b32 s14, exec_lo, s14
	s_cbranch_execz .LBB164_56
; %bb.55:                               ;   in Loop: Header=BB164_54 Depth=2
	v_add_nc_u32_e32 v3, 1, v3
	s_mov_b32 s13, exec_lo
                                        ; implicit-def: $vgpr7
	s_delay_alu instid0(VALU_DEP_1)
	v_and_b32_e32 v3, 0x1ff, v3
	s_and_not1_saveexec_b32 s14, s14
	s_cbranch_execz .LBB164_58
	s_branch .LBB164_57
.LBB164_56:                             ;   in Loop: Header=BB164_54 Depth=2
	s_and_not1_saveexec_b32 s14, s14
	s_cbranch_execz .LBB164_58
.LBB164_57:                             ;   in Loop: Header=BB164_54 Depth=2
	v_mov_b32_e32 v8, s33
	s_and_not1_b32 s13, s13, exec_lo
	ds_cmpstore_rtn_b32 v7, v7, v6, v8
	s_wait_dscnt 0x0
	v_cmp_ne_u32_e32 vcc_lo, s33, v7
	s_and_b32 s15, vcc_lo, exec_lo
	s_delay_alu instid0(SALU_CYCLE_1)
	s_or_b32 s13, s13, s15
.LBB164_58:                             ;   in Loop: Header=BB164_54 Depth=2
	s_or_b32 exec_lo, exec_lo, s14
	s_mov_b32 s14, -1
                                        ; implicit-def: $vgpr7
                                        ; implicit-def: $vgpr8
	s_and_saveexec_b32 s15, s13
	s_cbranch_execz .LBB164_53
; %bb.59:                               ;   in Loop: Header=BB164_54 Depth=2
	v_lshl_add_u32 v7, v3, 2, 0
	ds_load_b32 v8, v7
	s_wait_dscnt 0x0
	v_cmp_eq_u32_e32 vcc_lo, v8, v6
	s_or_not1_b32 s14, vcc_lo, exec_lo
	s_branch .LBB164_53
.LBB164_60:
	s_or_b32 exec_lo, exec_lo, s8
	s_wait_kmcnt 0x0
	s_ashr_i32 s29, s28, 31
	s_delay_alu instid0(SALU_CYCLE_1) | instskip(NEXT) | instid1(SALU_CYCLE_1)
	s_lshl_b64 s[0:1], s[28:29], 3
	s_add_nc_u64 s[4:5], s[10:11], s[0:1]
	s_load_b128 s[0:3], s[4:5], 0x0
	s_wait_xcnt 0x0
	s_mov_b32 s4, exec_lo
	s_wait_kmcnt 0x0
	s_sub_co_i32 s3, s2, s0
	s_delay_alu instid0(SALU_CYCLE_1)
	v_cmpx_gt_i32_e64 s3, v0
	s_cbranch_execz .LBB164_70
; %bb.61:
	s_sub_co_i32 s4, s0, s2
	s_and_b32 s2, s3, 7
	s_cmp_lt_u32 s4, -7
	s_mov_b32 s23, 0
	s_cselect_b32 s4, -1, 0
	s_and_b32 s5, s3, -8
	s_cmp_lg_u32 s2, 0
	s_sub_nc_u64 s[0:1], s[0:1], s[22:23]
	s_cselect_b32 s6, -1, 0
	s_mov_b32 s7, 0
	s_branch .LBB164_63
.LBB164_62:                             ;   in Loop: Header=BB164_63 Depth=1
	v_add_nc_u32_e32 v0, 0x100, v0
	s_delay_alu instid0(VALU_DEP_2) | instskip(NEXT) | instid1(VALU_DEP_2)
	v_lshl_add_u64 v[4:5], v[4:5], 2, s[34:35]
	v_cmp_le_i32_e32 vcc_lo, s3, v0
	s_wait_dscnt 0x0
	global_store_b32 v[4:5], v3, off
	s_or_b32 s7, vcc_lo, s7
	s_wait_xcnt 0x0
	s_and_not1_b32 exec_lo, exec_lo, s7
	s_cbranch_execz .LBB164_70
.LBB164_63:                             ; =>This Loop Header: Depth=1
                                        ;     Child Loop BB164_65 Depth 2
                                        ;     Child Loop BB164_69 Depth 2
	v_lshl_add_u32 v1, v0, 2, 0
	v_mov_b64_e32 v[4:5], s[0:1]
	s_and_not1_b32 vcc_lo, exec_lo, s4
	s_mov_b32 s8, 0
	ds_load_2addr_stride64_b32 v[2:3], v1 offset1:8
	s_cbranch_vccnz .LBB164_67
; %bb.64:                               ;   in Loop: Header=BB164_63 Depth=1
	v_mov_b64_e32 v[4:5], s[0:1]
	s_mov_b32 s9, 0
.LBB164_65:                             ;   Parent Loop BB164_63 Depth=1
                                        ; =>  This Inner Loop Header: Depth=2
	s_delay_alu instid0(SALU_CYCLE_1)
	v_dual_mov_b32 v1, s9 :: v_dual_mov_b32 v11, s23
	v_mov_b32_e32 v17, s23
	s_add_co_i32 s8, s8, 8
	s_add_co_i32 s9, s9, 32
	ds_load_2addr_b32 v[6:7], v1 offset1:1
	ds_load_2addr_b32 v[8:9], v1 offset0:2 offset1:3
	ds_load_2addr_b32 v[12:13], v1 offset0:4 offset1:5
	;; [unrolled: 1-line block ×3, first 2 shown]
	s_cmp_eq_u32 s5, s8
	s_wait_dscnt 0x3
	v_cmp_gt_i32_e32 vcc_lo, v2, v6
	v_cndmask_b32_e64 v10, 0, 1, vcc_lo
	v_cmp_gt_i32_e32 vcc_lo, v2, v7
	v_mov_b32_e32 v7, s23
	s_delay_alu instid0(VALU_DEP_3) | instskip(SKIP_4) | instid1(VALU_DEP_3)
	v_add_nc_u64_e32 v[4:5], v[4:5], v[10:11]
	v_cndmask_b32_e64 v16, 0, 1, vcc_lo
	s_wait_dscnt 0x2
	v_cmp_gt_i32_e32 vcc_lo, v2, v8
	v_cndmask_b32_e64 v6, 0, 1, vcc_lo
	v_add_nc_u64_e32 v[4:5], v[4:5], v[16:17]
	v_cmp_gt_i32_e32 vcc_lo, v2, v9
	v_mov_b32_e32 v9, s23
	v_cndmask_b32_e64 v10, 0, 1, vcc_lo
	s_delay_alu instid0(VALU_DEP_4) | instskip(SKIP_3) | instid1(VALU_DEP_3)
	v_add_nc_u64_e32 v[4:5], v[4:5], v[6:7]
	s_wait_dscnt 0x1
	v_cmp_gt_i32_e32 vcc_lo, v2, v12
	v_cndmask_b32_e64 v6, 0, 1, vcc_lo
	v_add_nc_u64_e32 v[4:5], v[4:5], v[10:11]
	v_cmp_gt_i32_e32 vcc_lo, v2, v13
	v_cndmask_b32_e64 v8, 0, 1, vcc_lo
	s_delay_alu instid0(VALU_DEP_3) | instskip(SKIP_3) | instid1(VALU_DEP_3)
	v_add_nc_u64_e32 v[4:5], v[4:5], v[6:7]
	s_wait_dscnt 0x0
	v_cmp_gt_i32_e32 vcc_lo, v2, v14
	v_cndmask_b32_e64 v6, 0, 1, vcc_lo
	v_add_nc_u64_e32 v[4:5], v[4:5], v[8:9]
	v_cmp_gt_i32_e32 vcc_lo, v2, v15
	v_cndmask_b32_e64 v8, 0, 1, vcc_lo
	s_delay_alu instid0(VALU_DEP_3) | instskip(NEXT) | instid1(VALU_DEP_1)
	v_add_nc_u64_e32 v[4:5], v[4:5], v[6:7]
	v_add_nc_u64_e32 v[4:5], v[4:5], v[8:9]
	s_cbranch_scc0 .LBB164_65
; %bb.66:                               ;   in Loop: Header=BB164_63 Depth=1
	s_mov_b32 s8, s5
.LBB164_67:                             ;   in Loop: Header=BB164_63 Depth=1
	s_and_not1_b32 vcc_lo, exec_lo, s6
	s_cbranch_vccnz .LBB164_62
; %bb.68:                               ;   in Loop: Header=BB164_63 Depth=1
	s_lshl_b32 s8, s8, 2
	s_mov_b32 s9, s2
	s_add_co_i32 s8, s8, 0
.LBB164_69:                             ;   Parent Loop BB164_63 Depth=1
                                        ; =>  This Inner Loop Header: Depth=2
	s_delay_alu instid0(SALU_CYCLE_1)
	v_dual_mov_b32 v1, s8 :: v_dual_mov_b32 v7, s23
	s_add_co_i32 s9, s9, -1
	s_add_co_i32 s8, s8, 4
	s_cmp_lg_u32 s9, 0
	ds_load_b32 v1, v1
	s_wait_dscnt 0x0
	v_cmp_gt_i32_e32 vcc_lo, v2, v1
	v_cndmask_b32_e64 v6, 0, 1, vcc_lo
	s_delay_alu instid0(VALU_DEP_1)
	v_add_nc_u64_e32 v[4:5], v[4:5], v[6:7]
	s_cbranch_scc1 .LBB164_69
	s_branch .LBB164_62
.LBB164_70:
	s_endpgm
	.section	.rodata,"a",@progbits
	.p2align	6, 0x0
	.amdhsa_kernel _ZN9rocsparseL41csrgemm_numeric_fill_block_per_row_kernelILj256ELj32ELj512ELj137ELj32ElifEEvT5_PKS1_S3_NS_24const_host_device_scalarIT6_EEPKT4_S3_PKS5_S9_S3_SB_S6_S9_S3_SB_S9_S3_PS5_21rocsparse_index_base_SD_SD_SD_bbb
		.amdhsa_group_segment_fixed_size 0
		.amdhsa_private_segment_fixed_size 0
		.amdhsa_kernarg_size 156
		.amdhsa_user_sgpr_count 2
		.amdhsa_user_sgpr_dispatch_ptr 0
		.amdhsa_user_sgpr_queue_ptr 0
		.amdhsa_user_sgpr_kernarg_segment_ptr 1
		.amdhsa_user_sgpr_dispatch_id 0
		.amdhsa_user_sgpr_kernarg_preload_length 0
		.amdhsa_user_sgpr_kernarg_preload_offset 0
		.amdhsa_user_sgpr_private_segment_size 0
		.amdhsa_wavefront_size32 1
		.amdhsa_uses_dynamic_stack 0
		.amdhsa_enable_private_segment 0
		.amdhsa_system_sgpr_workgroup_id_x 1
		.amdhsa_system_sgpr_workgroup_id_y 0
		.amdhsa_system_sgpr_workgroup_id_z 0
		.amdhsa_system_sgpr_workgroup_info 0
		.amdhsa_system_vgpr_workitem_id 0
		.amdhsa_next_free_vgpr 18
		.amdhsa_next_free_sgpr 44
		.amdhsa_named_barrier_count 0
		.amdhsa_reserve_vcc 1
		.amdhsa_float_round_mode_32 0
		.amdhsa_float_round_mode_16_64 0
		.amdhsa_float_denorm_mode_32 3
		.amdhsa_float_denorm_mode_16_64 3
		.amdhsa_fp16_overflow 0
		.amdhsa_memory_ordered 1
		.amdhsa_forward_progress 1
		.amdhsa_inst_pref_size 22
		.amdhsa_round_robin_scheduling 0
		.amdhsa_exception_fp_ieee_invalid_op 0
		.amdhsa_exception_fp_denorm_src 0
		.amdhsa_exception_fp_ieee_div_zero 0
		.amdhsa_exception_fp_ieee_overflow 0
		.amdhsa_exception_fp_ieee_underflow 0
		.amdhsa_exception_fp_ieee_inexact 0
		.amdhsa_exception_int_div_zero 0
	.end_amdhsa_kernel
	.section	.text._ZN9rocsparseL41csrgemm_numeric_fill_block_per_row_kernelILj256ELj32ELj512ELj137ELj32ElifEEvT5_PKS1_S3_NS_24const_host_device_scalarIT6_EEPKT4_S3_PKS5_S9_S3_SB_S6_S9_S3_SB_S9_S3_PS5_21rocsparse_index_base_SD_SD_SD_bbb,"axG",@progbits,_ZN9rocsparseL41csrgemm_numeric_fill_block_per_row_kernelILj256ELj32ELj512ELj137ELj32ElifEEvT5_PKS1_S3_NS_24const_host_device_scalarIT6_EEPKT4_S3_PKS5_S9_S3_SB_S6_S9_S3_SB_S9_S3_PS5_21rocsparse_index_base_SD_SD_SD_bbb,comdat
.Lfunc_end164:
	.size	_ZN9rocsparseL41csrgemm_numeric_fill_block_per_row_kernelILj256ELj32ELj512ELj137ELj32ElifEEvT5_PKS1_S3_NS_24const_host_device_scalarIT6_EEPKT4_S3_PKS5_S9_S3_SB_S6_S9_S3_SB_S9_S3_PS5_21rocsparse_index_base_SD_SD_SD_bbb, .Lfunc_end164-_ZN9rocsparseL41csrgemm_numeric_fill_block_per_row_kernelILj256ELj32ELj512ELj137ELj32ElifEEvT5_PKS1_S3_NS_24const_host_device_scalarIT6_EEPKT4_S3_PKS5_S9_S3_SB_S6_S9_S3_SB_S9_S3_PS5_21rocsparse_index_base_SD_SD_SD_bbb
                                        ; -- End function
	.set _ZN9rocsparseL41csrgemm_numeric_fill_block_per_row_kernelILj256ELj32ELj512ELj137ELj32ElifEEvT5_PKS1_S3_NS_24const_host_device_scalarIT6_EEPKT4_S3_PKS5_S9_S3_SB_S6_S9_S3_SB_S9_S3_PS5_21rocsparse_index_base_SD_SD_SD_bbb.num_vgpr, 18
	.set _ZN9rocsparseL41csrgemm_numeric_fill_block_per_row_kernelILj256ELj32ELj512ELj137ELj32ElifEEvT5_PKS1_S3_NS_24const_host_device_scalarIT6_EEPKT4_S3_PKS5_S9_S3_SB_S6_S9_S3_SB_S9_S3_PS5_21rocsparse_index_base_SD_SD_SD_bbb.num_agpr, 0
	.set _ZN9rocsparseL41csrgemm_numeric_fill_block_per_row_kernelILj256ELj32ELj512ELj137ELj32ElifEEvT5_PKS1_S3_NS_24const_host_device_scalarIT6_EEPKT4_S3_PKS5_S9_S3_SB_S6_S9_S3_SB_S9_S3_PS5_21rocsparse_index_base_SD_SD_SD_bbb.numbered_sgpr, 44
	.set _ZN9rocsparseL41csrgemm_numeric_fill_block_per_row_kernelILj256ELj32ELj512ELj137ELj32ElifEEvT5_PKS1_S3_NS_24const_host_device_scalarIT6_EEPKT4_S3_PKS5_S9_S3_SB_S6_S9_S3_SB_S9_S3_PS5_21rocsparse_index_base_SD_SD_SD_bbb.num_named_barrier, 0
	.set _ZN9rocsparseL41csrgemm_numeric_fill_block_per_row_kernelILj256ELj32ELj512ELj137ELj32ElifEEvT5_PKS1_S3_NS_24const_host_device_scalarIT6_EEPKT4_S3_PKS5_S9_S3_SB_S6_S9_S3_SB_S9_S3_PS5_21rocsparse_index_base_SD_SD_SD_bbb.private_seg_size, 0
	.set _ZN9rocsparseL41csrgemm_numeric_fill_block_per_row_kernelILj256ELj32ELj512ELj137ELj32ElifEEvT5_PKS1_S3_NS_24const_host_device_scalarIT6_EEPKT4_S3_PKS5_S9_S3_SB_S6_S9_S3_SB_S9_S3_PS5_21rocsparse_index_base_SD_SD_SD_bbb.uses_vcc, 1
	.set _ZN9rocsparseL41csrgemm_numeric_fill_block_per_row_kernelILj256ELj32ELj512ELj137ELj32ElifEEvT5_PKS1_S3_NS_24const_host_device_scalarIT6_EEPKT4_S3_PKS5_S9_S3_SB_S6_S9_S3_SB_S9_S3_PS5_21rocsparse_index_base_SD_SD_SD_bbb.uses_flat_scratch, 0
	.set _ZN9rocsparseL41csrgemm_numeric_fill_block_per_row_kernelILj256ELj32ELj512ELj137ELj32ElifEEvT5_PKS1_S3_NS_24const_host_device_scalarIT6_EEPKT4_S3_PKS5_S9_S3_SB_S6_S9_S3_SB_S9_S3_PS5_21rocsparse_index_base_SD_SD_SD_bbb.has_dyn_sized_stack, 0
	.set _ZN9rocsparseL41csrgemm_numeric_fill_block_per_row_kernelILj256ELj32ELj512ELj137ELj32ElifEEvT5_PKS1_S3_NS_24const_host_device_scalarIT6_EEPKT4_S3_PKS5_S9_S3_SB_S6_S9_S3_SB_S9_S3_PS5_21rocsparse_index_base_SD_SD_SD_bbb.has_recursion, 0
	.set _ZN9rocsparseL41csrgemm_numeric_fill_block_per_row_kernelILj256ELj32ELj512ELj137ELj32ElifEEvT5_PKS1_S3_NS_24const_host_device_scalarIT6_EEPKT4_S3_PKS5_S9_S3_SB_S6_S9_S3_SB_S9_S3_PS5_21rocsparse_index_base_SD_SD_SD_bbb.has_indirect_call, 0
	.section	.AMDGPU.csdata,"",@progbits
; Kernel info:
; codeLenInByte = 2760
; TotalNumSgprs: 46
; NumVgprs: 18
; ScratchSize: 0
; MemoryBound: 0
; FloatMode: 240
; IeeeMode: 1
; LDSByteSize: 0 bytes/workgroup (compile time only)
; SGPRBlocks: 0
; VGPRBlocks: 1
; NumSGPRsForWavesPerEU: 46
; NumVGPRsForWavesPerEU: 18
; NamedBarCnt: 0
; Occupancy: 16
; WaveLimiterHint : 1
; COMPUTE_PGM_RSRC2:SCRATCH_EN: 0
; COMPUTE_PGM_RSRC2:USER_SGPR: 2
; COMPUTE_PGM_RSRC2:TRAP_HANDLER: 0
; COMPUTE_PGM_RSRC2:TGID_X_EN: 1
; COMPUTE_PGM_RSRC2:TGID_Y_EN: 0
; COMPUTE_PGM_RSRC2:TGID_Z_EN: 0
; COMPUTE_PGM_RSRC2:TIDIG_COMP_CNT: 0
	.section	.text._ZN9rocsparseL41csrgemm_numeric_fill_block_per_row_kernelILj256ELj32ELj512ELj137ELj64ElifEEvT5_PKS1_S3_NS_24const_host_device_scalarIT6_EEPKT4_S3_PKS5_S9_S3_SB_S6_S9_S3_SB_S9_S3_PS5_21rocsparse_index_base_SD_SD_SD_bbb,"axG",@progbits,_ZN9rocsparseL41csrgemm_numeric_fill_block_per_row_kernelILj256ELj32ELj512ELj137ELj64ElifEEvT5_PKS1_S3_NS_24const_host_device_scalarIT6_EEPKT4_S3_PKS5_S9_S3_SB_S6_S9_S3_SB_S9_S3_PS5_21rocsparse_index_base_SD_SD_SD_bbb,comdat
	.globl	_ZN9rocsparseL41csrgemm_numeric_fill_block_per_row_kernelILj256ELj32ELj512ELj137ELj64ElifEEvT5_PKS1_S3_NS_24const_host_device_scalarIT6_EEPKT4_S3_PKS5_S9_S3_SB_S6_S9_S3_SB_S9_S3_PS5_21rocsparse_index_base_SD_SD_SD_bbb ; -- Begin function _ZN9rocsparseL41csrgemm_numeric_fill_block_per_row_kernelILj256ELj32ELj512ELj137ELj64ElifEEvT5_PKS1_S3_NS_24const_host_device_scalarIT6_EEPKT4_S3_PKS5_S9_S3_SB_S6_S9_S3_SB_S9_S3_PS5_21rocsparse_index_base_SD_SD_SD_bbb
	.p2align	8
	.type	_ZN9rocsparseL41csrgemm_numeric_fill_block_per_row_kernelILj256ELj32ELj512ELj137ELj64ElifEEvT5_PKS1_S3_NS_24const_host_device_scalarIT6_EEPKT4_S3_PKS5_S9_S3_SB_S6_S9_S3_SB_S9_S3_PS5_21rocsparse_index_base_SD_SD_SD_bbb,@function
_ZN9rocsparseL41csrgemm_numeric_fill_block_per_row_kernelILj256ELj32ELj512ELj137ELj64ElifEEvT5_PKS1_S3_NS_24const_host_device_scalarIT6_EEPKT4_S3_PKS5_S9_S3_SB_S6_S9_S3_SB_S9_S3_PS5_21rocsparse_index_base_SD_SD_SD_bbb: ; @_ZN9rocsparseL41csrgemm_numeric_fill_block_per_row_kernelILj256ELj32ELj512ELj137ELj64ElifEEvT5_PKS1_S3_NS_24const_host_device_scalarIT6_EEPKT4_S3_PKS5_S9_S3_SB_S6_S9_S3_SB_S9_S3_PS5_21rocsparse_index_base_SD_SD_SD_bbb
; %bb.0:
	s_clause 0x2
	s_load_b32 s6, s[0:1], 0x98
	s_load_b64 s[4:5], s[0:1], 0x18
	s_load_b64 s[2:3], s[0:1], 0x50
	s_wait_kmcnt 0x0
	s_and_b32 s8, 1, s6
	s_bitcmp1_b32 s6, 16
	s_cselect_b32 s7, -1, 0
	s_cmp_eq_u32 s8, 1
	s_cselect_b32 s39, -1, 0
	s_delay_alu instid0(SALU_CYCLE_1) | instskip(SKIP_2) | instid1(SALU_CYCLE_1)
	s_and_b32 s8, s39, exec_lo
	s_cselect_b32 s37, s4, 0
	s_xor_b32 s8, s39, -1
	s_or_b32 s8, s7, s8
	s_delay_alu instid0(SALU_CYCLE_1)
	s_and_b32 vcc_lo, exec_lo, s8
	s_cbranch_vccnz .LBB165_2
; %bb.1:
	s_load_b32 s37, s[4:5], 0x0
.LBB165_2:
	s_load_b128 s[20:23], s[0:1], 0x88
	s_bitcmp1_b32 s6, 8
	s_cselect_b32 s38, -1, 0
	s_wait_xcnt 0x0
	s_and_b32 s4, s38, exec_lo
	s_cselect_b32 s36, s2, 0
	s_xor_b32 s4, s38, -1
	s_delay_alu instid0(SALU_CYCLE_1) | instskip(NEXT) | instid1(SALU_CYCLE_1)
	s_or_b32 s4, s7, s4
	s_and_b32 vcc_lo, exec_lo, s4
	s_cbranch_vccnz .LBB165_4
; %bb.3:
	s_load_b32 s36, s[2:3], 0x0
.LBB165_4:
	s_clause 0x1
	s_load_b128 s[28:31], s[0:1], 0x8
	s_load_b32 s33, s[0:1], 0x0
	s_wait_xcnt 0x0
	v_cmp_gt_u32_e64 s2, 0x200, v0
	v_or_b32_e32 v10, 0xffffff00, v0
	v_lshl_add_u32 v11, v0, 2, 0
	s_and_saveexec_b32 s3, s2
	s_cbranch_execz .LBB165_7
; %bb.5:
	v_or_b32_e32 v1, 0xffffff00, v0
	v_lshl_add_u32 v2, v0, 2, 0
	s_wait_kmcnt 0x0
	v_dual_mov_b32 v3, s33 :: v_dual_mov_b32 v4, 0
	s_mov_b32 s4, 0
.LBB165_6:                              ; =>This Inner Loop Header: Depth=1
	v_add_co_u32 v1, s5, 0x100, v1
	s_xor_b32 s5, s5, -1
	ds_store_2addr_stride64_b32 v2, v3, v4 offset1:8
	v_add_nc_u32_e32 v2, 0x400, v2
	s_and_b32 s5, exec_lo, s5
	s_delay_alu instid0(SALU_CYCLE_1) | instskip(NEXT) | instid1(SALU_CYCLE_1)
	s_or_b32 s4, s5, s4
	s_and_not1_b32 exec_lo, exec_lo, s4
	s_cbranch_execnz .LBB165_6
.LBB165_7:
	s_or_b32 exec_lo, exec_lo, s3
	s_clause 0x3
	s_load_b64 s[34:35], s[0:1], 0x80
	s_load_b256 s[4:11], s[0:1], 0x58
	s_load_b128 s[24:27], s[0:1], 0x40
	s_load_b256 s[12:19], s[0:1], 0x20
	s_wait_dscnt 0x0
	s_barrier_signal -1
	s_barrier_wait -1
	s_wait_kmcnt 0x0
	s_load_b32 s0, s[28:29], 0x0
	s_bfe_u32 s1, ttmp6, 0x4000c
	s_and_b32 s3, ttmp6, 15
	s_add_co_i32 s1, s1, 1
	s_wait_xcnt 0x0
	s_getreg_b32 s28, hwreg(HW_REG_IB_STS2, 6, 4)
	s_mul_i32 s1, ttmp9, s1
	s_delay_alu instid0(SALU_CYCLE_1)
	s_add_co_i32 s3, s3, s1
	s_cmp_eq_u32 s28, 0
	s_cselect_b32 s1, ttmp9, s3
	s_and_b32 vcc_lo, s39, exec_lo
	s_wait_kmcnt 0x0
	s_add_co_i32 s0, s0, s1
	s_mov_b32 s1, 0
	s_load_b32 s28, s[30:31], s0 offset:0x0 scale_offset
	s_cbranch_vccz .LBB165_25
; %bb.8:
	s_wait_kmcnt 0x0
	s_ashr_i32 s29, s28, 31
	v_dual_mov_b32 v5, 0 :: v_dual_lshrrev_b32 v4, 5, v0
	s_lshl_b64 s[30:31], s[28:29], 3
	s_mov_b32 s0, s20
	s_add_nc_u64 s[12:13], s[12:13], s[30:31]
	s_mov_b32 s3, exec_lo
	s_load_b128 s[40:43], s[12:13], 0x0
	v_sub_nc_u64_e64 v[2:3], v[4:5], s[0:1]
	s_wait_kmcnt 0x0
	s_delay_alu instid0(VALU_DEP_1)
	v_add_nc_u64_e32 v[2:3], s[40:41], v[2:3]
	s_sub_nc_u64 s[0:1], s[42:43], s[0:1]
	s_delay_alu instid0(VALU_DEP_1) | instid1(SALU_CYCLE_1)
	v_cmpx_gt_i64_e64 s[0:1], v[2:3]
	s_cbranch_execz .LBB165_24
; %bb.9:
	v_and_b32_e32 v4, 31, v0
	s_mov_b32 s13, 0
	s_mov_b32 s12, s21
	;; [unrolled: 1-line block ×3, first 2 shown]
	s_delay_alu instid0(VALU_DEP_1)
	v_sub_nc_u64_e64 v[4:5], v[4:5], s[12:13]
	s_branch .LBB165_11
.LBB165_10:                             ;   in Loop: Header=BB165_11 Depth=1
	s_or_b32 exec_lo, exec_lo, s30
	v_add_nc_u64_e32 v[2:3], 8, v[2:3]
	s_delay_alu instid0(VALU_DEP_1) | instskip(SKIP_1) | instid1(SALU_CYCLE_1)
	v_cmp_le_i64_e32 vcc_lo, s[0:1], v[2:3]
	s_or_b32 s29, vcc_lo, s29
	s_and_not1_b32 exec_lo, exec_lo, s29
	s_cbranch_execz .LBB165_24
.LBB165_11:                             ; =>This Loop Header: Depth=1
                                        ;     Child Loop BB165_15 Depth 2
                                        ;       Child Loop BB165_18 Depth 3
	v_lshl_add_u64 v[6:7], v[2:3], 2, s[14:15]
	s_mov_b32 s30, exec_lo
	global_load_b32 v1, v[6:7], off
	s_wait_loadcnt 0x0
	s_wait_xcnt 0x0
	v_subrev_nc_u32_e32 v6, s20, v1
	s_delay_alu instid0(VALU_DEP_1) | instskip(NEXT) | instid1(VALU_DEP_1)
	v_ashrrev_i32_e32 v7, 31, v6
	v_lshl_add_u64 v[6:7], v[6:7], 3, s[18:19]
	global_load_b128 v[12:15], v[6:7], off
	s_wait_loadcnt 0x0
	s_wait_xcnt 0x0
	v_sub_nc_u64_e64 v[6:7], v[14:15], s[12:13]
	v_add_nc_u64_e32 v[8:9], v[12:13], v[4:5]
	s_delay_alu instid0(VALU_DEP_1)
	v_cmpx_lt_i64_e64 v[8:9], v[6:7]
	s_cbranch_execz .LBB165_10
; %bb.12:                               ;   in Loop: Header=BB165_11 Depth=1
	v_lshl_add_u64 v[12:13], v[2:3], 2, s[16:17]
	s_mov_b32 s31, 0
	global_load_b32 v1, v[12:13], off
	s_wait_loadcnt 0x0
	v_mul_f32_e32 v1, s37, v1
	s_branch .LBB165_15
.LBB165_13:                             ;   in Loop: Header=BB165_15 Depth=2
	s_or_b32 exec_lo, exec_lo, s40
.LBB165_14:                             ;   in Loop: Header=BB165_15 Depth=2
	s_delay_alu instid0(SALU_CYCLE_1)
	s_or_b32 exec_lo, exec_lo, s39
	s_wait_loadcnt 0x0
	v_mul_f32_e32 v12, v1, v12
	v_lshl_add_u32 v13, v13, 2, 0
	v_add_nc_u64_e32 v[8:9], 32, v[8:9]
	ds_add_f32 v13, v12 offset:2048
	v_cmp_ge_i64_e32 vcc_lo, v[8:9], v[6:7]
	s_or_b32 s31, vcc_lo, s31
	s_delay_alu instid0(SALU_CYCLE_1)
	s_and_not1_b32 exec_lo, exec_lo, s31
	s_cbranch_execz .LBB165_10
.LBB165_15:                             ;   Parent Loop BB165_11 Depth=1
                                        ; =>  This Loop Header: Depth=2
                                        ;       Child Loop BB165_18 Depth 3
	s_wait_xcnt 0x0
	v_lshlrev_b64_e32 v[12:13], 2, v[8:9]
	s_mov_b32 s39, exec_lo
	s_delay_alu instid0(VALU_DEP_1)
	v_add_nc_u64_e32 v[14:15], s[24:25], v[12:13]
	v_add_nc_u64_e32 v[12:13], s[26:27], v[12:13]
	global_load_b32 v14, v[14:15], off
	global_load_b32 v12, v[12:13], off
	s_wait_loadcnt 0x1
	s_wait_xcnt 0x1
	v_subrev_nc_u32_e32 v14, s21, v14
	s_wait_xcnt 0x0
	s_delay_alu instid0(VALU_DEP_1) | instskip(NEXT) | instid1(VALU_DEP_1)
	v_mul_lo_u32 v13, 0x89, v14
	v_and_b32_e32 v13, 0x1ff, v13
	s_delay_alu instid0(VALU_DEP_1)
	v_lshl_add_u32 v15, v13, 2, 0
	ds_load_b32 v16, v15
	s_wait_dscnt 0x0
	v_cmpx_ne_u32_e64 v16, v14
	s_cbranch_execz .LBB165_14
; %bb.16:                               ;   in Loop: Header=BB165_15 Depth=2
	s_mov_b32 s40, 0
	s_branch .LBB165_18
.LBB165_17:                             ;   in Loop: Header=BB165_18 Depth=3
	s_or_b32 exec_lo, exec_lo, s43
	s_delay_alu instid0(SALU_CYCLE_1) | instskip(NEXT) | instid1(SALU_CYCLE_1)
	s_and_b32 s41, exec_lo, s42
	s_or_b32 s40, s41, s40
	s_delay_alu instid0(SALU_CYCLE_1)
	s_and_not1_b32 exec_lo, exec_lo, s40
	s_cbranch_execz .LBB165_13
.LBB165_18:                             ;   Parent Loop BB165_11 Depth=1
                                        ;     Parent Loop BB165_15 Depth=2
                                        ; =>    This Inner Loop Header: Depth=3
	s_mov_b32 s41, 0
	s_mov_b32 s42, exec_lo
	v_cmpx_ne_u32_e64 s33, v16
	s_xor_b32 s42, exec_lo, s42
	s_cbranch_execz .LBB165_20
; %bb.19:                               ;   in Loop: Header=BB165_18 Depth=3
	v_add_nc_u32_e32 v13, 1, v13
	s_mov_b32 s41, exec_lo
                                        ; implicit-def: $vgpr15
	s_delay_alu instid0(VALU_DEP_1)
	v_and_b32_e32 v13, 0x1ff, v13
	s_and_not1_saveexec_b32 s42, s42
	s_cbranch_execz .LBB165_22
	s_branch .LBB165_21
.LBB165_20:                             ;   in Loop: Header=BB165_18 Depth=3
	s_and_not1_saveexec_b32 s42, s42
	s_cbranch_execz .LBB165_22
.LBB165_21:                             ;   in Loop: Header=BB165_18 Depth=3
	v_mov_b32_e32 v16, s33
	s_and_not1_b32 s41, s41, exec_lo
	ds_cmpstore_rtn_b32 v15, v15, v14, v16
	s_wait_dscnt 0x0
	v_cmp_ne_u32_e32 vcc_lo, s33, v15
	s_and_b32 s43, vcc_lo, exec_lo
	s_delay_alu instid0(SALU_CYCLE_1)
	s_or_b32 s41, s41, s43
.LBB165_22:                             ;   in Loop: Header=BB165_18 Depth=3
	s_or_b32 exec_lo, exec_lo, s42
	s_mov_b32 s42, -1
                                        ; implicit-def: $vgpr15
                                        ; implicit-def: $vgpr16
	s_and_saveexec_b32 s43, s41
	s_cbranch_execz .LBB165_17
; %bb.23:                               ;   in Loop: Header=BB165_18 Depth=3
	v_lshl_add_u32 v15, v13, 2, 0
	ds_load_b32 v16, v15
	s_wait_dscnt 0x0
	v_cmp_eq_u32_e32 vcc_lo, v16, v14
	s_or_not1_b32 s42, vcc_lo, exec_lo
	s_branch .LBB165_17
.LBB165_24:
	s_or_b32 exec_lo, exec_lo, s3
.LBB165_25:
	s_delay_alu instid0(SALU_CYCLE_1)
	s_and_not1_b32 vcc_lo, exec_lo, s38
	s_cbranch_vccnz .LBB165_28
; %bb.26:
	s_wait_kmcnt 0x0
	s_ashr_i32 s29, s28, 31
	v_mov_b32_e32 v1, 0
	s_lshl_b64 s[0:1], s[28:29], 3
	s_delay_alu instid0(SALU_CYCLE_1) | instskip(SKIP_4) | instid1(SALU_CYCLE_1)
	s_add_nc_u64 s[0:1], s[4:5], s[0:1]
	s_load_b128 s[12:15], s[0:1], 0x0
	s_wait_xcnt 0x0
	s_mov_b32 s1, 0
	s_mov_b32 s0, s23
	v_sub_nc_u64_e64 v[2:3], v[0:1], s[0:1]
	s_wait_kmcnt 0x0
	s_delay_alu instid0(VALU_DEP_1) | instskip(SKIP_2) | instid1(VALU_DEP_1)
	v_add_nc_u64_e32 v[2:3], s[12:13], v[2:3]
	s_sub_nc_u64 s[4:5], s[14:15], s[0:1]
	s_mov_b32 s0, exec_lo
	v_cmpx_gt_i64_e64 s[4:5], v[2:3]
	s_cbranch_execnz .LBB165_43
.LBB165_27:
	s_or_b32 exec_lo, exec_lo, s0
.LBB165_28:
	s_wait_dscnt 0x0
	s_barrier_signal -1
	s_barrier_wait -1
	s_and_saveexec_b32 s4, s2
	s_cbranch_execz .LBB165_52
; %bb.29:
	v_mbcnt_lo_u32_b32 v2, -1, 0
	v_dual_lshrrev_b32 v3, 4, v0 :: v_dual_mov_b32 v1, 0
	s_wait_xcnt 0x0
	v_cmp_lt_u32_e64 s0, 63, v0
	v_cmp_lt_u32_e64 s1, 0x7f, v0
	s_delay_alu instid0(VALU_DEP_3)
	v_dual_mov_b32 v6, 0 :: v_dual_bitop2_b32 v3, 12, v3 bitop3:0x40
	v_xor_b32_e32 v2, 31, v2
	v_cmp_lt_u32_e64 s2, 0xbf, v0
	s_mov_b32 s5, 0
	v_cmp_eq_u32_e32 vcc_lo, 0xff, v0
	v_add_nc_u32_e32 v3, 0, v3
	v_lshrrev_b32_e64 v2, v2, -1
	s_branch .LBB165_31
.LBB165_30:                             ;   in Loop: Header=BB165_31 Depth=1
	s_or_b32 exec_lo, exec_lo, s3
	s_wait_dscnt 0x0
	s_barrier_signal -1
	s_barrier_wait -1
	ds_load_b32 v4, v1 offset:4108
	v_add_co_u32 v10, s3, 0x100, v10
	s_xor_b32 s3, s3, -1
	v_add_nc_u32_e32 v11, 0x400, v11
	s_and_b32 s3, exec_lo, s3
	s_delay_alu instid0(SALU_CYCLE_1)
	s_or_b32 s5, s3, s5
	s_wait_dscnt 0x0
	v_add_nc_u32_e32 v6, v4, v6
	s_and_not1_b32 exec_lo, exec_lo, s5
	s_cbranch_execz .LBB165_52
.LBB165_31:                             ; =>This Inner Loop Header: Depth=1
	ds_load_2addr_stride64_b32 v[4:5], v11 offset1:8
	s_wait_dscnt 0x0
	s_barrier_signal -1
	s_barrier_wait -1
	v_cmp_gt_i32_e64 s3, s33, v4
	s_bcnt1_i32_b32 s6, s3
	s_delay_alu instid0(SALU_CYCLE_1) | instskip(NEXT) | instid1(VALU_DEP_1)
	v_dual_mov_b32 v8, s6 :: v_dual_bitop2_b32 v7, s3, v2 bitop3:0x40
	v_bcnt_u32_b32 v7, v7, 0
	ds_store_b32 v3, v8 offset:4096
	s_wait_dscnt 0x0
	s_barrier_signal -1
	s_barrier_wait -1
	s_and_saveexec_b32 s6, s0
	s_cbranch_execz .LBB165_36
; %bb.32:                               ;   in Loop: Header=BB165_31 Depth=1
	ds_load_b32 v8, v1 offset:4096
	s_wait_dscnt 0x0
	v_add_nc_u32_e32 v7, v8, v7
	s_or_b32 exec_lo, exec_lo, s6
	s_and_saveexec_b32 s6, s1
	s_cbranch_execnz .LBB165_37
.LBB165_33:                             ;   in Loop: Header=BB165_31 Depth=1
	s_or_b32 exec_lo, exec_lo, s6
	s_and_saveexec_b32 s6, s2
	s_cbranch_execz .LBB165_38
.LBB165_34:                             ;   in Loop: Header=BB165_31 Depth=1
	ds_load_b32 v8, v1 offset:4104
	s_wait_dscnt 0x0
	v_add_nc_u32_e32 v7, v8, v7
	s_or_b32 exec_lo, exec_lo, s6
	s_and_saveexec_b32 s6, s3
	s_cbranch_execnz .LBB165_39
.LBB165_35:                             ;   in Loop: Header=BB165_31 Depth=1
	s_or_b32 exec_lo, exec_lo, s6
	s_and_saveexec_b32 s3, vcc_lo
	s_cbranch_execz .LBB165_30
	s_branch .LBB165_40
.LBB165_36:                             ;   in Loop: Header=BB165_31 Depth=1
	s_or_b32 exec_lo, exec_lo, s6
	s_and_saveexec_b32 s6, s1
	s_cbranch_execz .LBB165_33
.LBB165_37:                             ;   in Loop: Header=BB165_31 Depth=1
	ds_load_b32 v8, v1 offset:4100
	s_wait_dscnt 0x0
	v_add_nc_u32_e32 v7, v8, v7
	s_or_b32 exec_lo, exec_lo, s6
	s_and_saveexec_b32 s6, s2
	s_cbranch_execnz .LBB165_34
.LBB165_38:                             ;   in Loop: Header=BB165_31 Depth=1
	s_or_b32 exec_lo, exec_lo, s6
	s_and_saveexec_b32 s6, s3
	s_cbranch_execz .LBB165_35
.LBB165_39:                             ;   in Loop: Header=BB165_31 Depth=1
	s_delay_alu instid0(VALU_DEP_1) | instskip(SKIP_1) | instid1(VALU_DEP_2)
	v_add3_u32 v8, v6, -1, v7
	v_add_nc_u32_e32 v9, v6, v7
	v_lshl_add_u32 v8, v8, 2, 0
	s_delay_alu instid0(VALU_DEP_2)
	v_lshl_add_u32 v9, v9, 2, 0
	ds_store_b32 v8, v4
	ds_store_b32 v9, v5 offset:2044
	s_or_b32 exec_lo, exec_lo, s6
	s_and_saveexec_b32 s3, vcc_lo
	s_cbranch_execz .LBB165_30
.LBB165_40:                             ;   in Loop: Header=BB165_31 Depth=1
	ds_store_b32 v1, v7 offset:4108
	s_branch .LBB165_30
.LBB165_41:                             ;   in Loop: Header=BB165_43 Depth=1
	s_or_b32 exec_lo, exec_lo, s12
.LBB165_42:                             ;   in Loop: Header=BB165_43 Depth=1
	s_delay_alu instid0(SALU_CYCLE_1)
	s_or_b32 exec_lo, exec_lo, s3
	s_wait_loadcnt 0x0
	v_mul_f32_e32 v1, s36, v1
	v_lshl_add_u32 v4, v4, 2, 0
	v_add_nc_u64_e32 v[2:3], 0x100, v[2:3]
	ds_add_f32 v4, v1 offset:2048
	v_cmp_le_i64_e32 vcc_lo, s[4:5], v[2:3]
	s_or_b32 s1, vcc_lo, s1
	s_delay_alu instid0(SALU_CYCLE_1)
	s_and_not1_b32 exec_lo, exec_lo, s1
	s_cbranch_execz .LBB165_27
.LBB165_43:                             ; =>This Loop Header: Depth=1
                                        ;     Child Loop BB165_46 Depth 2
	v_lshlrev_b64_e32 v[4:5], 2, v[2:3]
	s_mov_b32 s3, exec_lo
	s_delay_alu instid0(VALU_DEP_1)
	v_add_nc_u64_e32 v[6:7], s[6:7], v[4:5]
	v_add_nc_u64_e32 v[4:5], s[8:9], v[4:5]
	global_load_b32 v6, v[6:7], off
	global_load_b32 v1, v[4:5], off
	s_wait_loadcnt 0x1
	s_wait_xcnt 0x0
	v_subrev_nc_u32_e32 v5, s23, v6
	s_delay_alu instid0(VALU_DEP_1) | instskip(NEXT) | instid1(VALU_DEP_1)
	v_mul_lo_u32 v4, 0x89, v5
	v_and_b32_e32 v4, 0x1ff, v4
	s_delay_alu instid0(VALU_DEP_1)
	v_lshl_add_u32 v6, v4, 2, 0
	ds_load_b32 v7, v6
	s_wait_dscnt 0x0
	v_cmpx_ne_u32_e64 v7, v5
	s_cbranch_execz .LBB165_42
; %bb.44:                               ;   in Loop: Header=BB165_43 Depth=1
	s_mov_b32 s12, 0
	s_branch .LBB165_46
.LBB165_45:                             ;   in Loop: Header=BB165_46 Depth=2
	s_or_b32 exec_lo, exec_lo, s15
	s_delay_alu instid0(SALU_CYCLE_1) | instskip(NEXT) | instid1(SALU_CYCLE_1)
	s_and_b32 s13, exec_lo, s14
	s_or_b32 s12, s13, s12
	s_delay_alu instid0(SALU_CYCLE_1)
	s_and_not1_b32 exec_lo, exec_lo, s12
	s_cbranch_execz .LBB165_41
.LBB165_46:                             ;   Parent Loop BB165_43 Depth=1
                                        ; =>  This Inner Loop Header: Depth=2
	s_mov_b32 s13, 0
	s_mov_b32 s14, exec_lo
	v_cmpx_ne_u32_e64 s33, v7
	s_xor_b32 s14, exec_lo, s14
	s_cbranch_execz .LBB165_48
; %bb.47:                               ;   in Loop: Header=BB165_46 Depth=2
	v_add_nc_u32_e32 v4, 1, v4
	s_mov_b32 s13, exec_lo
                                        ; implicit-def: $vgpr6
	s_delay_alu instid0(VALU_DEP_1)
	v_and_b32_e32 v4, 0x1ff, v4
	s_and_not1_saveexec_b32 s14, s14
	s_cbranch_execz .LBB165_50
	s_branch .LBB165_49
.LBB165_48:                             ;   in Loop: Header=BB165_46 Depth=2
	s_and_not1_saveexec_b32 s14, s14
	s_cbranch_execz .LBB165_50
.LBB165_49:                             ;   in Loop: Header=BB165_46 Depth=2
	v_mov_b32_e32 v7, s33
	s_and_not1_b32 s13, s13, exec_lo
	ds_cmpstore_rtn_b32 v6, v6, v5, v7
	s_wait_dscnt 0x0
	v_cmp_ne_u32_e32 vcc_lo, s33, v6
	s_and_b32 s15, vcc_lo, exec_lo
	s_delay_alu instid0(SALU_CYCLE_1)
	s_or_b32 s13, s13, s15
.LBB165_50:                             ;   in Loop: Header=BB165_46 Depth=2
	s_or_b32 exec_lo, exec_lo, s14
	s_mov_b32 s14, -1
                                        ; implicit-def: $vgpr6
                                        ; implicit-def: $vgpr7
	s_and_saveexec_b32 s15, s13
	s_cbranch_execz .LBB165_45
; %bb.51:                               ;   in Loop: Header=BB165_46 Depth=2
	v_lshl_add_u32 v6, v4, 2, 0
	ds_load_b32 v7, v6
	s_wait_dscnt 0x0
	v_cmp_eq_u32_e32 vcc_lo, v7, v5
	s_or_not1_b32 s14, vcc_lo, exec_lo
	s_branch .LBB165_45
.LBB165_52:
	s_or_b32 exec_lo, exec_lo, s4
	s_wait_kmcnt 0x0
	s_ashr_i32 s29, s28, 31
	s_delay_alu instid0(SALU_CYCLE_1) | instskip(NEXT) | instid1(SALU_CYCLE_1)
	s_lshl_b64 s[0:1], s[28:29], 3
	s_add_nc_u64 s[4:5], s[10:11], s[0:1]
	s_load_b128 s[0:3], s[4:5], 0x0
	s_wait_xcnt 0x0
	s_mov_b32 s4, exec_lo
	s_wait_kmcnt 0x0
	s_sub_co_i32 s3, s2, s0
	s_delay_alu instid0(SALU_CYCLE_1)
	v_cmpx_gt_i32_e64 s3, v0
	s_cbranch_execz .LBB165_62
; %bb.53:
	s_sub_co_i32 s4, s0, s2
	s_and_b32 s2, s3, 7
	s_cmp_lt_u32 s4, -7
	s_mov_b32 s23, 0
	s_cselect_b32 s4, -1, 0
	s_and_b32 s5, s3, -8
	s_cmp_lg_u32 s2, 0
	s_sub_nc_u64 s[0:1], s[0:1], s[22:23]
	s_cselect_b32 s6, -1, 0
	s_mov_b32 s7, 0
	s_branch .LBB165_55
.LBB165_54:                             ;   in Loop: Header=BB165_55 Depth=1
	v_add_nc_u32_e32 v0, 0x100, v0
	s_delay_alu instid0(VALU_DEP_2) | instskip(NEXT) | instid1(VALU_DEP_2)
	v_lshl_add_u64 v[4:5], v[4:5], 2, s[34:35]
	v_cmp_le_i32_e32 vcc_lo, s3, v0
	s_wait_dscnt 0x0
	global_store_b32 v[4:5], v3, off
	s_or_b32 s7, vcc_lo, s7
	s_wait_xcnt 0x0
	s_and_not1_b32 exec_lo, exec_lo, s7
	s_cbranch_execz .LBB165_62
.LBB165_55:                             ; =>This Loop Header: Depth=1
                                        ;     Child Loop BB165_57 Depth 2
                                        ;     Child Loop BB165_61 Depth 2
	v_lshl_add_u32 v1, v0, 2, 0
	v_mov_b64_e32 v[4:5], s[0:1]
	s_and_not1_b32 vcc_lo, exec_lo, s4
	s_mov_b32 s8, 0
	ds_load_2addr_stride64_b32 v[2:3], v1 offset1:8
	s_cbranch_vccnz .LBB165_59
; %bb.56:                               ;   in Loop: Header=BB165_55 Depth=1
	v_mov_b64_e32 v[4:5], s[0:1]
	s_mov_b32 s9, 0
.LBB165_57:                             ;   Parent Loop BB165_55 Depth=1
                                        ; =>  This Inner Loop Header: Depth=2
	s_delay_alu instid0(SALU_CYCLE_1)
	v_dual_mov_b32 v1, s9 :: v_dual_mov_b32 v11, s23
	v_mov_b32_e32 v17, s23
	s_add_co_i32 s8, s8, 8
	s_add_co_i32 s9, s9, 32
	ds_load_2addr_b32 v[6:7], v1 offset1:1
	ds_load_2addr_b32 v[8:9], v1 offset0:2 offset1:3
	ds_load_2addr_b32 v[12:13], v1 offset0:4 offset1:5
	;; [unrolled: 1-line block ×3, first 2 shown]
	s_cmp_eq_u32 s5, s8
	s_wait_dscnt 0x3
	v_cmp_gt_i32_e32 vcc_lo, v2, v6
	v_cndmask_b32_e64 v10, 0, 1, vcc_lo
	v_cmp_gt_i32_e32 vcc_lo, v2, v7
	v_mov_b32_e32 v7, s23
	s_delay_alu instid0(VALU_DEP_3) | instskip(SKIP_4) | instid1(VALU_DEP_3)
	v_add_nc_u64_e32 v[4:5], v[4:5], v[10:11]
	v_cndmask_b32_e64 v16, 0, 1, vcc_lo
	s_wait_dscnt 0x2
	v_cmp_gt_i32_e32 vcc_lo, v2, v8
	v_cndmask_b32_e64 v6, 0, 1, vcc_lo
	v_add_nc_u64_e32 v[4:5], v[4:5], v[16:17]
	v_cmp_gt_i32_e32 vcc_lo, v2, v9
	v_mov_b32_e32 v9, s23
	v_cndmask_b32_e64 v10, 0, 1, vcc_lo
	s_delay_alu instid0(VALU_DEP_4) | instskip(SKIP_3) | instid1(VALU_DEP_3)
	v_add_nc_u64_e32 v[4:5], v[4:5], v[6:7]
	s_wait_dscnt 0x1
	v_cmp_gt_i32_e32 vcc_lo, v2, v12
	v_cndmask_b32_e64 v6, 0, 1, vcc_lo
	v_add_nc_u64_e32 v[4:5], v[4:5], v[10:11]
	v_cmp_gt_i32_e32 vcc_lo, v2, v13
	v_cndmask_b32_e64 v8, 0, 1, vcc_lo
	s_delay_alu instid0(VALU_DEP_3) | instskip(SKIP_3) | instid1(VALU_DEP_3)
	v_add_nc_u64_e32 v[4:5], v[4:5], v[6:7]
	s_wait_dscnt 0x0
	v_cmp_gt_i32_e32 vcc_lo, v2, v14
	v_cndmask_b32_e64 v6, 0, 1, vcc_lo
	v_add_nc_u64_e32 v[4:5], v[4:5], v[8:9]
	v_cmp_gt_i32_e32 vcc_lo, v2, v15
	v_cndmask_b32_e64 v8, 0, 1, vcc_lo
	s_delay_alu instid0(VALU_DEP_3) | instskip(NEXT) | instid1(VALU_DEP_1)
	v_add_nc_u64_e32 v[4:5], v[4:5], v[6:7]
	v_add_nc_u64_e32 v[4:5], v[4:5], v[8:9]
	s_cbranch_scc0 .LBB165_57
; %bb.58:                               ;   in Loop: Header=BB165_55 Depth=1
	s_mov_b32 s8, s5
.LBB165_59:                             ;   in Loop: Header=BB165_55 Depth=1
	s_and_not1_b32 vcc_lo, exec_lo, s6
	s_cbranch_vccnz .LBB165_54
; %bb.60:                               ;   in Loop: Header=BB165_55 Depth=1
	s_lshl_b32 s8, s8, 2
	s_mov_b32 s9, s2
	s_add_co_i32 s8, s8, 0
.LBB165_61:                             ;   Parent Loop BB165_55 Depth=1
                                        ; =>  This Inner Loop Header: Depth=2
	s_delay_alu instid0(SALU_CYCLE_1)
	v_dual_mov_b32 v1, s8 :: v_dual_mov_b32 v7, s23
	s_add_co_i32 s9, s9, -1
	s_add_co_i32 s8, s8, 4
	s_cmp_lg_u32 s9, 0
	ds_load_b32 v1, v1
	s_wait_dscnt 0x0
	v_cmp_gt_i32_e32 vcc_lo, v2, v1
	v_cndmask_b32_e64 v6, 0, 1, vcc_lo
	s_delay_alu instid0(VALU_DEP_1)
	v_add_nc_u64_e32 v[4:5], v[4:5], v[6:7]
	s_cbranch_scc1 .LBB165_61
	s_branch .LBB165_54
.LBB165_62:
	s_endpgm
	.section	.rodata,"a",@progbits
	.p2align	6, 0x0
	.amdhsa_kernel _ZN9rocsparseL41csrgemm_numeric_fill_block_per_row_kernelILj256ELj32ELj512ELj137ELj64ElifEEvT5_PKS1_S3_NS_24const_host_device_scalarIT6_EEPKT4_S3_PKS5_S9_S3_SB_S6_S9_S3_SB_S9_S3_PS5_21rocsparse_index_base_SD_SD_SD_bbb
		.amdhsa_group_segment_fixed_size 0
		.amdhsa_private_segment_fixed_size 0
		.amdhsa_kernarg_size 156
		.amdhsa_user_sgpr_count 2
		.amdhsa_user_sgpr_dispatch_ptr 0
		.amdhsa_user_sgpr_queue_ptr 0
		.amdhsa_user_sgpr_kernarg_segment_ptr 1
		.amdhsa_user_sgpr_dispatch_id 0
		.amdhsa_user_sgpr_kernarg_preload_length 0
		.amdhsa_user_sgpr_kernarg_preload_offset 0
		.amdhsa_user_sgpr_private_segment_size 0
		.amdhsa_wavefront_size32 1
		.amdhsa_uses_dynamic_stack 0
		.amdhsa_enable_private_segment 0
		.amdhsa_system_sgpr_workgroup_id_x 1
		.amdhsa_system_sgpr_workgroup_id_y 0
		.amdhsa_system_sgpr_workgroup_id_z 0
		.amdhsa_system_sgpr_workgroup_info 0
		.amdhsa_system_vgpr_workitem_id 0
		.amdhsa_next_free_vgpr 18
		.amdhsa_next_free_sgpr 44
		.amdhsa_named_barrier_count 0
		.amdhsa_reserve_vcc 1
		.amdhsa_float_round_mode_32 0
		.amdhsa_float_round_mode_16_64 0
		.amdhsa_float_denorm_mode_32 3
		.amdhsa_float_denorm_mode_16_64 3
		.amdhsa_fp16_overflow 0
		.amdhsa_memory_ordered 1
		.amdhsa_forward_progress 1
		.amdhsa_inst_pref_size 21
		.amdhsa_round_robin_scheduling 0
		.amdhsa_exception_fp_ieee_invalid_op 0
		.amdhsa_exception_fp_denorm_src 0
		.amdhsa_exception_fp_ieee_div_zero 0
		.amdhsa_exception_fp_ieee_overflow 0
		.amdhsa_exception_fp_ieee_underflow 0
		.amdhsa_exception_fp_ieee_inexact 0
		.amdhsa_exception_int_div_zero 0
	.end_amdhsa_kernel
	.section	.text._ZN9rocsparseL41csrgemm_numeric_fill_block_per_row_kernelILj256ELj32ELj512ELj137ELj64ElifEEvT5_PKS1_S3_NS_24const_host_device_scalarIT6_EEPKT4_S3_PKS5_S9_S3_SB_S6_S9_S3_SB_S9_S3_PS5_21rocsparse_index_base_SD_SD_SD_bbb,"axG",@progbits,_ZN9rocsparseL41csrgemm_numeric_fill_block_per_row_kernelILj256ELj32ELj512ELj137ELj64ElifEEvT5_PKS1_S3_NS_24const_host_device_scalarIT6_EEPKT4_S3_PKS5_S9_S3_SB_S6_S9_S3_SB_S9_S3_PS5_21rocsparse_index_base_SD_SD_SD_bbb,comdat
.Lfunc_end165:
	.size	_ZN9rocsparseL41csrgemm_numeric_fill_block_per_row_kernelILj256ELj32ELj512ELj137ELj64ElifEEvT5_PKS1_S3_NS_24const_host_device_scalarIT6_EEPKT4_S3_PKS5_S9_S3_SB_S6_S9_S3_SB_S9_S3_PS5_21rocsparse_index_base_SD_SD_SD_bbb, .Lfunc_end165-_ZN9rocsparseL41csrgemm_numeric_fill_block_per_row_kernelILj256ELj32ELj512ELj137ELj64ElifEEvT5_PKS1_S3_NS_24const_host_device_scalarIT6_EEPKT4_S3_PKS5_S9_S3_SB_S6_S9_S3_SB_S9_S3_PS5_21rocsparse_index_base_SD_SD_SD_bbb
                                        ; -- End function
	.set _ZN9rocsparseL41csrgemm_numeric_fill_block_per_row_kernelILj256ELj32ELj512ELj137ELj64ElifEEvT5_PKS1_S3_NS_24const_host_device_scalarIT6_EEPKT4_S3_PKS5_S9_S3_SB_S6_S9_S3_SB_S9_S3_PS5_21rocsparse_index_base_SD_SD_SD_bbb.num_vgpr, 18
	.set _ZN9rocsparseL41csrgemm_numeric_fill_block_per_row_kernelILj256ELj32ELj512ELj137ELj64ElifEEvT5_PKS1_S3_NS_24const_host_device_scalarIT6_EEPKT4_S3_PKS5_S9_S3_SB_S6_S9_S3_SB_S9_S3_PS5_21rocsparse_index_base_SD_SD_SD_bbb.num_agpr, 0
	.set _ZN9rocsparseL41csrgemm_numeric_fill_block_per_row_kernelILj256ELj32ELj512ELj137ELj64ElifEEvT5_PKS1_S3_NS_24const_host_device_scalarIT6_EEPKT4_S3_PKS5_S9_S3_SB_S6_S9_S3_SB_S9_S3_PS5_21rocsparse_index_base_SD_SD_SD_bbb.numbered_sgpr, 44
	.set _ZN9rocsparseL41csrgemm_numeric_fill_block_per_row_kernelILj256ELj32ELj512ELj137ELj64ElifEEvT5_PKS1_S3_NS_24const_host_device_scalarIT6_EEPKT4_S3_PKS5_S9_S3_SB_S6_S9_S3_SB_S9_S3_PS5_21rocsparse_index_base_SD_SD_SD_bbb.num_named_barrier, 0
	.set _ZN9rocsparseL41csrgemm_numeric_fill_block_per_row_kernelILj256ELj32ELj512ELj137ELj64ElifEEvT5_PKS1_S3_NS_24const_host_device_scalarIT6_EEPKT4_S3_PKS5_S9_S3_SB_S6_S9_S3_SB_S9_S3_PS5_21rocsparse_index_base_SD_SD_SD_bbb.private_seg_size, 0
	.set _ZN9rocsparseL41csrgemm_numeric_fill_block_per_row_kernelILj256ELj32ELj512ELj137ELj64ElifEEvT5_PKS1_S3_NS_24const_host_device_scalarIT6_EEPKT4_S3_PKS5_S9_S3_SB_S6_S9_S3_SB_S9_S3_PS5_21rocsparse_index_base_SD_SD_SD_bbb.uses_vcc, 1
	.set _ZN9rocsparseL41csrgemm_numeric_fill_block_per_row_kernelILj256ELj32ELj512ELj137ELj64ElifEEvT5_PKS1_S3_NS_24const_host_device_scalarIT6_EEPKT4_S3_PKS5_S9_S3_SB_S6_S9_S3_SB_S9_S3_PS5_21rocsparse_index_base_SD_SD_SD_bbb.uses_flat_scratch, 0
	.set _ZN9rocsparseL41csrgemm_numeric_fill_block_per_row_kernelILj256ELj32ELj512ELj137ELj64ElifEEvT5_PKS1_S3_NS_24const_host_device_scalarIT6_EEPKT4_S3_PKS5_S9_S3_SB_S6_S9_S3_SB_S9_S3_PS5_21rocsparse_index_base_SD_SD_SD_bbb.has_dyn_sized_stack, 0
	.set _ZN9rocsparseL41csrgemm_numeric_fill_block_per_row_kernelILj256ELj32ELj512ELj137ELj64ElifEEvT5_PKS1_S3_NS_24const_host_device_scalarIT6_EEPKT4_S3_PKS5_S9_S3_SB_S6_S9_S3_SB_S9_S3_PS5_21rocsparse_index_base_SD_SD_SD_bbb.has_recursion, 0
	.set _ZN9rocsparseL41csrgemm_numeric_fill_block_per_row_kernelILj256ELj32ELj512ELj137ELj64ElifEEvT5_PKS1_S3_NS_24const_host_device_scalarIT6_EEPKT4_S3_PKS5_S9_S3_SB_S6_S9_S3_SB_S9_S3_PS5_21rocsparse_index_base_SD_SD_SD_bbb.has_indirect_call, 0
	.section	.AMDGPU.csdata,"",@progbits
; Kernel info:
; codeLenInByte = 2572
; TotalNumSgprs: 46
; NumVgprs: 18
; ScratchSize: 0
; MemoryBound: 0
; FloatMode: 240
; IeeeMode: 1
; LDSByteSize: 0 bytes/workgroup (compile time only)
; SGPRBlocks: 0
; VGPRBlocks: 1
; NumSGPRsForWavesPerEU: 46
; NumVGPRsForWavesPerEU: 18
; NamedBarCnt: 0
; Occupancy: 16
; WaveLimiterHint : 1
; COMPUTE_PGM_RSRC2:SCRATCH_EN: 0
; COMPUTE_PGM_RSRC2:USER_SGPR: 2
; COMPUTE_PGM_RSRC2:TRAP_HANDLER: 0
; COMPUTE_PGM_RSRC2:TGID_X_EN: 1
; COMPUTE_PGM_RSRC2:TGID_Y_EN: 0
; COMPUTE_PGM_RSRC2:TGID_Z_EN: 0
; COMPUTE_PGM_RSRC2:TIDIG_COMP_CNT: 0
	.section	.text._ZN9rocsparseL41csrgemm_numeric_fill_block_per_row_kernelILj512ELj32ELj1024ELj137ELj32ElifEEvT5_PKS1_S3_NS_24const_host_device_scalarIT6_EEPKT4_S3_PKS5_S9_S3_SB_S6_S9_S3_SB_S9_S3_PS5_21rocsparse_index_base_SD_SD_SD_bbb,"axG",@progbits,_ZN9rocsparseL41csrgemm_numeric_fill_block_per_row_kernelILj512ELj32ELj1024ELj137ELj32ElifEEvT5_PKS1_S3_NS_24const_host_device_scalarIT6_EEPKT4_S3_PKS5_S9_S3_SB_S6_S9_S3_SB_S9_S3_PS5_21rocsparse_index_base_SD_SD_SD_bbb,comdat
	.globl	_ZN9rocsparseL41csrgemm_numeric_fill_block_per_row_kernelILj512ELj32ELj1024ELj137ELj32ElifEEvT5_PKS1_S3_NS_24const_host_device_scalarIT6_EEPKT4_S3_PKS5_S9_S3_SB_S6_S9_S3_SB_S9_S3_PS5_21rocsparse_index_base_SD_SD_SD_bbb ; -- Begin function _ZN9rocsparseL41csrgemm_numeric_fill_block_per_row_kernelILj512ELj32ELj1024ELj137ELj32ElifEEvT5_PKS1_S3_NS_24const_host_device_scalarIT6_EEPKT4_S3_PKS5_S9_S3_SB_S6_S9_S3_SB_S9_S3_PS5_21rocsparse_index_base_SD_SD_SD_bbb
	.p2align	8
	.type	_ZN9rocsparseL41csrgemm_numeric_fill_block_per_row_kernelILj512ELj32ELj1024ELj137ELj32ElifEEvT5_PKS1_S3_NS_24const_host_device_scalarIT6_EEPKT4_S3_PKS5_S9_S3_SB_S6_S9_S3_SB_S9_S3_PS5_21rocsparse_index_base_SD_SD_SD_bbb,@function
_ZN9rocsparseL41csrgemm_numeric_fill_block_per_row_kernelILj512ELj32ELj1024ELj137ELj32ElifEEvT5_PKS1_S3_NS_24const_host_device_scalarIT6_EEPKT4_S3_PKS5_S9_S3_SB_S6_S9_S3_SB_S9_S3_PS5_21rocsparse_index_base_SD_SD_SD_bbb: ; @_ZN9rocsparseL41csrgemm_numeric_fill_block_per_row_kernelILj512ELj32ELj1024ELj137ELj32ElifEEvT5_PKS1_S3_NS_24const_host_device_scalarIT6_EEPKT4_S3_PKS5_S9_S3_SB_S6_S9_S3_SB_S9_S3_PS5_21rocsparse_index_base_SD_SD_SD_bbb
; %bb.0:
	s_clause 0x3
	s_load_b32 s6, s[0:1], 0x98
	s_load_b64 s[4:5], s[0:1], 0x18
	s_load_b128 s[20:23], s[0:1], 0x88
	s_load_b64 s[2:3], s[0:1], 0x50
	s_wait_kmcnt 0x0
	s_and_b32 s8, 1, s6
	s_bitcmp1_b32 s6, 16
	s_cselect_b32 s7, -1, 0
	s_cmp_eq_u32 s8, 1
	s_cselect_b32 s39, -1, 0
	s_delay_alu instid0(SALU_CYCLE_1) | instskip(SKIP_2) | instid1(SALU_CYCLE_1)
	s_and_b32 s8, s39, exec_lo
	s_cselect_b32 s37, s4, 0
	s_xor_b32 s8, s39, -1
	s_or_b32 s8, s7, s8
	s_delay_alu instid0(SALU_CYCLE_1)
	s_and_b32 vcc_lo, exec_lo, s8
	s_cbranch_vccnz .LBB166_2
; %bb.1:
	s_load_b32 s37, s[4:5], 0x0
.LBB166_2:
	s_load_b128 s[28:31], s[0:1], 0x8
	s_bitcmp1_b32 s6, 8
	s_cselect_b32 s38, -1, 0
	s_wait_xcnt 0x0
	s_and_b32 s4, s38, exec_lo
	s_cselect_b32 s36, s2, 0
	s_xor_b32 s4, s38, -1
	s_delay_alu instid0(SALU_CYCLE_1) | instskip(NEXT) | instid1(SALU_CYCLE_1)
	s_or_b32 s4, s7, s4
	s_and_b32 vcc_lo, exec_lo, s4
	s_cbranch_vccnz .LBB166_4
; %bb.3:
	s_load_b32 s36, s[2:3], 0x0
.LBB166_4:
	s_clause 0x4
	s_load_b32 s33, s[0:1], 0x0
	s_load_b64 s[34:35], s[0:1], 0x80
	s_load_b256 s[12:19], s[0:1], 0x58
	s_load_b128 s[24:27], s[0:1], 0x40
	s_load_b256 s[4:11], s[0:1], 0x20
	v_lshl_add_u32 v12, v0, 2, 0
	v_or_b32_e32 v13, 0xfffffe00, v0
	v_mov_b32_e32 v1, 0
	s_wait_xcnt 0x0
	s_mov_b32 s0, 0
	s_delay_alu instid0(VALU_DEP_2)
	v_dual_mov_b32 v2, v12 :: v_dual_mov_b32 v4, v13
	s_wait_kmcnt 0x0
	v_mov_b32_e32 v3, s33
.LBB166_5:                              ; =>This Inner Loop Header: Depth=1
	s_delay_alu instid0(VALU_DEP_2) | instskip(SKIP_4) | instid1(SALU_CYCLE_1)
	v_add_co_u32 v4, s1, 0x200, v4
	s_xor_b32 s1, s1, -1
	ds_store_2addr_stride64_b32 v2, v3, v1 offset1:16
	v_add_nc_u32_e32 v2, 0x800, v2
	s_and_b32 s1, exec_lo, s1
	s_or_b32 s0, s1, s0
	s_delay_alu instid0(SALU_CYCLE_1)
	s_and_not1_b32 exec_lo, exec_lo, s0
	s_cbranch_execnz .LBB166_5
; %bb.6:
	s_or_b32 exec_lo, exec_lo, s0
	s_wait_dscnt 0x0
	s_barrier_signal -1
	s_barrier_wait -1
	s_load_b32 s0, s[28:29], 0x0
	s_bfe_u32 s1, ttmp6, 0x4000c
	s_and_b32 s2, ttmp6, 15
	s_add_co_i32 s1, s1, 1
	s_getreg_b32 s3, hwreg(HW_REG_IB_STS2, 6, 4)
	s_mul_i32 s1, ttmp9, s1
	v_lshrrev_b32_e32 v2, 5, v0
	s_add_co_i32 s2, s2, s1
	s_cmp_eq_u32 s3, 0
	s_cselect_b32 s1, ttmp9, s2
	s_and_b32 vcc_lo, s39, exec_lo
	s_wait_kmcnt 0x0
	s_add_co_i32 s0, s0, s1
	s_mov_b32 s1, 0
	s_load_b32 s28, s[30:31], s0 offset:0x0 scale_offset
	s_cbranch_vccz .LBB166_24
; %bb.7:
	s_wait_kmcnt 0x0
	s_ashr_i32 s29, s28, 31
	v_mov_b32_e32 v3, 0
	s_lshl_b64 s[2:3], s[28:29], 3
	s_mov_b32 s0, s20
	s_add_nc_u64 s[2:3], s[4:5], s[2:3]
	s_mov_b32 s4, exec_lo
	s_load_b128 s[40:43], s[2:3], 0x0
	v_sub_nc_u64_e64 v[4:5], v[2:3], s[0:1]
	s_wait_kmcnt 0x0
	s_delay_alu instid0(VALU_DEP_1)
	v_add_nc_u64_e32 v[4:5], s[40:41], v[4:5]
	s_sub_nc_u64 s[0:1], s[42:43], s[0:1]
	s_delay_alu instid0(VALU_DEP_1) | instid1(SALU_CYCLE_1)
	v_cmpx_gt_i64_e64 s[0:1], v[4:5]
	s_cbranch_execz .LBB166_23
; %bb.8:
	v_dual_mov_b32 v7, v3 :: v_dual_bitop2_b32 v6, 31, v0 bitop3:0x40
	s_mov_b32 s3, 0
	s_mov_b32 s2, s21
	;; [unrolled: 1-line block ×3, first 2 shown]
	s_delay_alu instid0(VALU_DEP_1)
	v_sub_nc_u64_e64 v[6:7], v[6:7], s[2:3]
	s_branch .LBB166_10
.LBB166_9:                              ;   in Loop: Header=BB166_10 Depth=1
	s_or_b32 exec_lo, exec_lo, s29
	v_add_nc_u64_e32 v[4:5], 16, v[4:5]
	s_delay_alu instid0(VALU_DEP_1) | instskip(SKIP_1) | instid1(SALU_CYCLE_1)
	v_cmp_le_i64_e32 vcc_lo, s[0:1], v[4:5]
	s_or_b32 s5, vcc_lo, s5
	s_and_not1_b32 exec_lo, exec_lo, s5
	s_cbranch_execz .LBB166_23
.LBB166_10:                             ; =>This Loop Header: Depth=1
                                        ;     Child Loop BB166_14 Depth 2
                                        ;       Child Loop BB166_17 Depth 3
	v_lshl_add_u64 v[8:9], v[4:5], 2, s[6:7]
	s_mov_b32 s29, exec_lo
	global_load_b32 v1, v[8:9], off
	s_wait_loadcnt 0x0
	s_wait_xcnt 0x0
	v_subrev_nc_u32_e32 v8, s20, v1
	s_delay_alu instid0(VALU_DEP_1) | instskip(NEXT) | instid1(VALU_DEP_1)
	v_ashrrev_i32_e32 v9, 31, v8
	v_lshl_add_u64 v[8:9], v[8:9], 3, s[10:11]
	global_load_b128 v[14:17], v[8:9], off
	s_wait_loadcnt 0x0
	s_wait_xcnt 0x0
	v_sub_nc_u64_e64 v[8:9], v[16:17], s[2:3]
	v_add_nc_u64_e32 v[10:11], v[14:15], v[6:7]
	s_delay_alu instid0(VALU_DEP_1)
	v_cmpx_lt_i64_e64 v[10:11], v[8:9]
	s_cbranch_execz .LBB166_9
; %bb.11:                               ;   in Loop: Header=BB166_10 Depth=1
	v_lshl_add_u64 v[14:15], v[4:5], 2, s[8:9]
	s_mov_b32 s30, 0
	global_load_b32 v1, v[14:15], off
	s_wait_loadcnt 0x0
	v_mul_f32_e32 v1, s37, v1
	s_branch .LBB166_14
.LBB166_12:                             ;   in Loop: Header=BB166_14 Depth=2
	s_or_b32 exec_lo, exec_lo, s39
.LBB166_13:                             ;   in Loop: Header=BB166_14 Depth=2
	s_delay_alu instid0(SALU_CYCLE_1)
	s_or_b32 exec_lo, exec_lo, s31
	s_wait_loadcnt 0x0
	v_mul_f32_e32 v3, v1, v3
	v_lshl_add_u32 v14, v14, 2, 0
	v_add_nc_u64_e32 v[10:11], 32, v[10:11]
	ds_add_f32 v14, v3 offset:4096
	v_cmp_ge_i64_e32 vcc_lo, v[10:11], v[8:9]
	s_or_b32 s30, vcc_lo, s30
	s_delay_alu instid0(SALU_CYCLE_1)
	s_and_not1_b32 exec_lo, exec_lo, s30
	s_cbranch_execz .LBB166_9
.LBB166_14:                             ;   Parent Loop BB166_10 Depth=1
                                        ; =>  This Loop Header: Depth=2
                                        ;       Child Loop BB166_17 Depth 3
	s_wait_xcnt 0x0
	v_lshlrev_b64_e32 v[14:15], 2, v[10:11]
	s_mov_b32 s31, exec_lo
	s_delay_alu instid0(VALU_DEP_1)
	v_add_nc_u64_e32 v[16:17], s[24:25], v[14:15]
	v_add_nc_u64_e32 v[14:15], s[26:27], v[14:15]
	global_load_b32 v16, v[16:17], off
	global_load_b32 v3, v[14:15], off
	s_wait_loadcnt 0x1
	s_wait_xcnt 0x0
	v_subrev_nc_u32_e32 v15, s21, v16
	s_delay_alu instid0(VALU_DEP_1) | instskip(NEXT) | instid1(VALU_DEP_1)
	v_mul_lo_u32 v14, 0x89, v15
	v_and_b32_e32 v14, 0x3ff, v14
	s_delay_alu instid0(VALU_DEP_1)
	v_lshl_add_u32 v16, v14, 2, 0
	ds_load_b32 v17, v16
	s_wait_dscnt 0x0
	v_cmpx_ne_u32_e64 v17, v15
	s_cbranch_execz .LBB166_13
; %bb.15:                               ;   in Loop: Header=BB166_14 Depth=2
	s_mov_b32 s39, 0
	s_branch .LBB166_17
.LBB166_16:                             ;   in Loop: Header=BB166_17 Depth=3
	s_or_b32 exec_lo, exec_lo, s42
	s_delay_alu instid0(SALU_CYCLE_1) | instskip(NEXT) | instid1(SALU_CYCLE_1)
	s_and_b32 s40, exec_lo, s41
	s_or_b32 s39, s40, s39
	s_delay_alu instid0(SALU_CYCLE_1)
	s_and_not1_b32 exec_lo, exec_lo, s39
	s_cbranch_execz .LBB166_12
.LBB166_17:                             ;   Parent Loop BB166_10 Depth=1
                                        ;     Parent Loop BB166_14 Depth=2
                                        ; =>    This Inner Loop Header: Depth=3
	s_mov_b32 s40, 0
	s_mov_b32 s41, exec_lo
	v_cmpx_ne_u32_e64 s33, v17
	s_xor_b32 s41, exec_lo, s41
	s_cbranch_execz .LBB166_19
; %bb.18:                               ;   in Loop: Header=BB166_17 Depth=3
	v_add_nc_u32_e32 v14, 1, v14
	s_mov_b32 s40, exec_lo
                                        ; implicit-def: $vgpr16
	s_delay_alu instid0(VALU_DEP_1)
	v_and_b32_e32 v14, 0x3ff, v14
	s_and_not1_saveexec_b32 s41, s41
	s_cbranch_execz .LBB166_21
	s_branch .LBB166_20
.LBB166_19:                             ;   in Loop: Header=BB166_17 Depth=3
	s_and_not1_saveexec_b32 s41, s41
	s_cbranch_execz .LBB166_21
.LBB166_20:                             ;   in Loop: Header=BB166_17 Depth=3
	v_mov_b32_e32 v17, s33
	s_and_not1_b32 s40, s40, exec_lo
	ds_cmpstore_rtn_b32 v16, v16, v15, v17
	s_wait_dscnt 0x0
	v_cmp_ne_u32_e32 vcc_lo, s33, v16
	s_and_b32 s42, vcc_lo, exec_lo
	s_delay_alu instid0(SALU_CYCLE_1)
	s_or_b32 s40, s40, s42
.LBB166_21:                             ;   in Loop: Header=BB166_17 Depth=3
	s_or_b32 exec_lo, exec_lo, s41
	s_mov_b32 s41, -1
                                        ; implicit-def: $vgpr16
                                        ; implicit-def: $vgpr17
	s_and_saveexec_b32 s42, s40
	s_cbranch_execz .LBB166_16
; %bb.22:                               ;   in Loop: Header=BB166_17 Depth=3
	v_lshl_add_u32 v16, v14, 2, 0
	ds_load_b32 v17, v16
	s_wait_dscnt 0x0
	v_cmp_eq_u32_e32 vcc_lo, v17, v15
	s_or_not1_b32 s41, vcc_lo, exec_lo
	s_branch .LBB166_16
.LBB166_23:
	s_or_b32 exec_lo, exec_lo, s4
.LBB166_24:
	s_delay_alu instid0(SALU_CYCLE_1)
	s_and_not1_b32 vcc_lo, exec_lo, s38
	s_cbranch_vccnz .LBB166_27
; %bb.25:
	s_wait_kmcnt 0x0
	s_ashr_i32 s29, s28, 31
	v_mov_b32_e32 v1, 0
	s_lshl_b64 s[0:1], s[28:29], 3
	s_delay_alu instid0(SALU_CYCLE_1) | instskip(SKIP_4) | instid1(SALU_CYCLE_1)
	s_add_nc_u64 s[0:1], s[12:13], s[0:1]
	s_load_b128 s[4:7], s[0:1], 0x0
	s_wait_xcnt 0x0
	s_mov_b32 s1, 0
	s_mov_b32 s0, s23
	v_sub_nc_u64_e64 v[4:5], v[0:1], s[0:1]
	s_wait_kmcnt 0x0
	s_delay_alu instid0(VALU_DEP_1) | instskip(SKIP_2) | instid1(VALU_DEP_1)
	v_add_nc_u64_e32 v[4:5], s[4:5], v[4:5]
	s_sub_nc_u64 s[2:3], s[6:7], s[0:1]
	s_mov_b32 s0, exec_lo
	v_cmpx_gt_i64_e64 s[2:3], v[4:5]
	s_cbranch_execnz .LBB166_65
.LBB166_26:
	s_or_b32 exec_lo, exec_lo, s0
.LBB166_27:
	v_mbcnt_lo_u32_b32 v4, -1, 0
	v_mov_b32_e32 v1, 0
	v_lshl_add_u32 v3, v2, 2, 0
	s_wait_xcnt 0x0
	v_cmp_lt_u32_e64 s0, 31, v0
	v_cmp_lt_u32_e64 s1, 63, v0
	v_xor_b32_e32 v2, 31, v4
	v_cmp_lt_u32_e64 s2, 0x5f, v0
	v_cmp_lt_u32_e64 s3, 0x7f, v0
	;; [unrolled: 1-line block ×4, first 2 shown]
	v_lshrrev_b32_e64 v2, v2, -1
	v_cmp_lt_u32_e64 s6, 0xdf, v0
	v_cmp_lt_u32_e64 s7, 0xff, v0
	;; [unrolled: 1-line block ×9, first 2 shown]
	v_mov_b32_e32 v6, 0
	s_mov_b32 s16, 0
	s_wait_dscnt 0x0
	v_cmp_eq_u32_e32 vcc_lo, 0x1ff, v0
	s_barrier_signal -1
	s_barrier_wait -1
	s_branch .LBB166_29
.LBB166_28:                             ;   in Loop: Header=BB166_29 Depth=1
	s_or_b32 exec_lo, exec_lo, s15
	s_wait_dscnt 0x0
	s_barrier_signal -1
	s_barrier_wait -1
	ds_load_b32 v4, v1 offset:8252
	v_add_co_u32 v13, s15, 0x200, v13
	s_xor_b32 s15, s15, -1
	v_add_nc_u32_e32 v12, 0x800, v12
	s_and_b32 s15, exec_lo, s15
	s_delay_alu instid0(SALU_CYCLE_1)
	s_or_b32 s16, s15, s16
	s_wait_dscnt 0x0
	v_add_nc_u32_e32 v6, v4, v6
	s_and_not1_b32 exec_lo, exec_lo, s16
	s_cbranch_execz .LBB166_74
.LBB166_29:                             ; =>This Inner Loop Header: Depth=1
	ds_load_2addr_stride64_b32 v[4:5], v12 offset1:16
	s_wait_dscnt 0x0
	s_barrier_signal -1
	s_barrier_wait -1
	v_cmp_gt_i32_e64 s15, s33, v4
	s_bcnt1_i32_b32 s17, s15
	s_delay_alu instid0(SALU_CYCLE_1) | instskip(NEXT) | instid1(VALU_DEP_1)
	v_dual_mov_b32 v8, s17 :: v_dual_bitop2_b32 v7, s15, v2 bitop3:0x40
	v_bcnt_u32_b32 v7, v7, 0
	ds_store_b32 v3, v8 offset:8192
	s_wait_dscnt 0x0
	s_barrier_signal -1
	s_barrier_wait -1
	s_and_saveexec_b32 s17, s0
	s_cbranch_execz .LBB166_46
; %bb.30:                               ;   in Loop: Header=BB166_29 Depth=1
	ds_load_b32 v8, v1 offset:8192
	s_wait_dscnt 0x0
	v_add_nc_u32_e32 v7, v8, v7
	s_or_b32 exec_lo, exec_lo, s17
	s_and_saveexec_b32 s17, s1
	s_cbranch_execnz .LBB166_47
.LBB166_31:                             ;   in Loop: Header=BB166_29 Depth=1
	s_or_b32 exec_lo, exec_lo, s17
	s_and_saveexec_b32 s17, s2
	s_cbranch_execz .LBB166_48
.LBB166_32:                             ;   in Loop: Header=BB166_29 Depth=1
	ds_load_b32 v8, v1 offset:8200
	s_wait_dscnt 0x0
	v_add_nc_u32_e32 v7, v8, v7
	s_or_b32 exec_lo, exec_lo, s17
	s_and_saveexec_b32 s17, s3
	s_cbranch_execnz .LBB166_49
.LBB166_33:                             ;   in Loop: Header=BB166_29 Depth=1
	s_or_b32 exec_lo, exec_lo, s17
	s_and_saveexec_b32 s17, s4
	s_cbranch_execz .LBB166_50
.LBB166_34:                             ;   in Loop: Header=BB166_29 Depth=1
	ds_load_b32 v8, v1 offset:8208
	s_wait_dscnt 0x0
	v_add_nc_u32_e32 v7, v8, v7
	s_or_b32 exec_lo, exec_lo, s17
	s_and_saveexec_b32 s17, s5
	s_cbranch_execnz .LBB166_51
.LBB166_35:                             ;   in Loop: Header=BB166_29 Depth=1
	s_or_b32 exec_lo, exec_lo, s17
	s_and_saveexec_b32 s17, s6
	s_cbranch_execz .LBB166_52
.LBB166_36:                             ;   in Loop: Header=BB166_29 Depth=1
	ds_load_b32 v8, v1 offset:8216
	s_wait_dscnt 0x0
	v_add_nc_u32_e32 v7, v8, v7
	s_or_b32 exec_lo, exec_lo, s17
	s_and_saveexec_b32 s17, s7
	s_cbranch_execnz .LBB166_53
.LBB166_37:                             ;   in Loop: Header=BB166_29 Depth=1
	s_or_b32 exec_lo, exec_lo, s17
	s_and_saveexec_b32 s17, s8
	s_cbranch_execz .LBB166_54
.LBB166_38:                             ;   in Loop: Header=BB166_29 Depth=1
	ds_load_b32 v8, v1 offset:8224
	s_wait_dscnt 0x0
	v_add_nc_u32_e32 v7, v8, v7
	s_or_b32 exec_lo, exec_lo, s17
	s_and_saveexec_b32 s17, s9
	s_cbranch_execnz .LBB166_55
.LBB166_39:                             ;   in Loop: Header=BB166_29 Depth=1
	s_or_b32 exec_lo, exec_lo, s17
	s_and_saveexec_b32 s17, s10
	s_cbranch_execz .LBB166_56
.LBB166_40:                             ;   in Loop: Header=BB166_29 Depth=1
	ds_load_b32 v8, v1 offset:8232
	s_wait_dscnt 0x0
	v_add_nc_u32_e32 v7, v8, v7
	s_or_b32 exec_lo, exec_lo, s17
	s_and_saveexec_b32 s17, s11
	s_cbranch_execnz .LBB166_57
.LBB166_41:                             ;   in Loop: Header=BB166_29 Depth=1
	s_or_b32 exec_lo, exec_lo, s17
	s_and_saveexec_b32 s17, s12
	s_cbranch_execz .LBB166_58
.LBB166_42:                             ;   in Loop: Header=BB166_29 Depth=1
	ds_load_b32 v8, v1 offset:8240
	s_wait_dscnt 0x0
	v_add_nc_u32_e32 v7, v8, v7
	s_or_b32 exec_lo, exec_lo, s17
	s_and_saveexec_b32 s17, s13
	s_cbranch_execnz .LBB166_59
.LBB166_43:                             ;   in Loop: Header=BB166_29 Depth=1
	s_or_b32 exec_lo, exec_lo, s17
	s_and_saveexec_b32 s17, s14
	s_cbranch_execz .LBB166_60
.LBB166_44:                             ;   in Loop: Header=BB166_29 Depth=1
	ds_load_b32 v8, v1 offset:8248
	s_wait_dscnt 0x0
	v_add_nc_u32_e32 v7, v8, v7
	s_or_b32 exec_lo, exec_lo, s17
	s_and_saveexec_b32 s17, s15
	s_cbranch_execnz .LBB166_61
.LBB166_45:                             ;   in Loop: Header=BB166_29 Depth=1
	s_or_b32 exec_lo, exec_lo, s17
	s_and_saveexec_b32 s15, vcc_lo
	s_cbranch_execz .LBB166_28
	s_branch .LBB166_62
.LBB166_46:                             ;   in Loop: Header=BB166_29 Depth=1
	s_or_b32 exec_lo, exec_lo, s17
	s_and_saveexec_b32 s17, s1
	s_cbranch_execz .LBB166_31
.LBB166_47:                             ;   in Loop: Header=BB166_29 Depth=1
	ds_load_b32 v8, v1 offset:8196
	s_wait_dscnt 0x0
	v_add_nc_u32_e32 v7, v8, v7
	s_or_b32 exec_lo, exec_lo, s17
	s_and_saveexec_b32 s17, s2
	s_cbranch_execnz .LBB166_32
.LBB166_48:                             ;   in Loop: Header=BB166_29 Depth=1
	s_or_b32 exec_lo, exec_lo, s17
	s_and_saveexec_b32 s17, s3
	s_cbranch_execz .LBB166_33
.LBB166_49:                             ;   in Loop: Header=BB166_29 Depth=1
	ds_load_b32 v8, v1 offset:8204
	s_wait_dscnt 0x0
	v_add_nc_u32_e32 v7, v8, v7
	s_or_b32 exec_lo, exec_lo, s17
	s_and_saveexec_b32 s17, s4
	s_cbranch_execnz .LBB166_34
.LBB166_50:                             ;   in Loop: Header=BB166_29 Depth=1
	s_or_b32 exec_lo, exec_lo, s17
	s_and_saveexec_b32 s17, s5
	s_cbranch_execz .LBB166_35
.LBB166_51:                             ;   in Loop: Header=BB166_29 Depth=1
	ds_load_b32 v8, v1 offset:8212
	s_wait_dscnt 0x0
	v_add_nc_u32_e32 v7, v8, v7
	s_or_b32 exec_lo, exec_lo, s17
	s_and_saveexec_b32 s17, s6
	s_cbranch_execnz .LBB166_36
.LBB166_52:                             ;   in Loop: Header=BB166_29 Depth=1
	s_or_b32 exec_lo, exec_lo, s17
	s_and_saveexec_b32 s17, s7
	s_cbranch_execz .LBB166_37
.LBB166_53:                             ;   in Loop: Header=BB166_29 Depth=1
	ds_load_b32 v8, v1 offset:8220
	s_wait_dscnt 0x0
	v_add_nc_u32_e32 v7, v8, v7
	s_or_b32 exec_lo, exec_lo, s17
	s_and_saveexec_b32 s17, s8
	s_cbranch_execnz .LBB166_38
.LBB166_54:                             ;   in Loop: Header=BB166_29 Depth=1
	s_or_b32 exec_lo, exec_lo, s17
	s_and_saveexec_b32 s17, s9
	s_cbranch_execz .LBB166_39
.LBB166_55:                             ;   in Loop: Header=BB166_29 Depth=1
	ds_load_b32 v8, v1 offset:8228
	s_wait_dscnt 0x0
	v_add_nc_u32_e32 v7, v8, v7
	s_or_b32 exec_lo, exec_lo, s17
	s_and_saveexec_b32 s17, s10
	s_cbranch_execnz .LBB166_40
.LBB166_56:                             ;   in Loop: Header=BB166_29 Depth=1
	s_or_b32 exec_lo, exec_lo, s17
	s_and_saveexec_b32 s17, s11
	s_cbranch_execz .LBB166_41
.LBB166_57:                             ;   in Loop: Header=BB166_29 Depth=1
	ds_load_b32 v8, v1 offset:8236
	s_wait_dscnt 0x0
	v_add_nc_u32_e32 v7, v8, v7
	s_or_b32 exec_lo, exec_lo, s17
	s_and_saveexec_b32 s17, s12
	s_cbranch_execnz .LBB166_42
.LBB166_58:                             ;   in Loop: Header=BB166_29 Depth=1
	s_or_b32 exec_lo, exec_lo, s17
	s_and_saveexec_b32 s17, s13
	s_cbranch_execz .LBB166_43
.LBB166_59:                             ;   in Loop: Header=BB166_29 Depth=1
	ds_load_b32 v8, v1 offset:8244
	s_wait_dscnt 0x0
	v_add_nc_u32_e32 v7, v8, v7
	s_or_b32 exec_lo, exec_lo, s17
	s_and_saveexec_b32 s17, s14
	s_cbranch_execnz .LBB166_44
.LBB166_60:                             ;   in Loop: Header=BB166_29 Depth=1
	s_or_b32 exec_lo, exec_lo, s17
	s_and_saveexec_b32 s17, s15
	s_cbranch_execz .LBB166_45
.LBB166_61:                             ;   in Loop: Header=BB166_29 Depth=1
	s_delay_alu instid0(VALU_DEP_1) | instskip(SKIP_1) | instid1(VALU_DEP_2)
	v_add3_u32 v8, v6, -1, v7
	v_add_nc_u32_e32 v9, v6, v7
	v_lshl_add_u32 v8, v8, 2, 0
	s_delay_alu instid0(VALU_DEP_2)
	v_lshl_add_u32 v9, v9, 2, 0
	ds_store_b32 v8, v4
	ds_store_b32 v9, v5 offset:4092
	s_or_b32 exec_lo, exec_lo, s17
	s_and_saveexec_b32 s15, vcc_lo
	s_cbranch_execz .LBB166_28
.LBB166_62:                             ;   in Loop: Header=BB166_29 Depth=1
	ds_store_b32 v1, v7 offset:8252
	s_branch .LBB166_28
.LBB166_63:                             ;   in Loop: Header=BB166_65 Depth=1
	s_or_b32 exec_lo, exec_lo, s5
.LBB166_64:                             ;   in Loop: Header=BB166_65 Depth=1
	s_delay_alu instid0(SALU_CYCLE_1)
	s_or_b32 exec_lo, exec_lo, s4
	s_wait_loadcnt 0x0
	v_mul_f32_e32 v1, s36, v1
	v_lshl_add_u32 v3, v3, 2, 0
	v_add_nc_u64_e32 v[4:5], 0x200, v[4:5]
	ds_add_f32 v3, v1 offset:4096
	v_cmp_le_i64_e32 vcc_lo, s[2:3], v[4:5]
	s_or_b32 s1, vcc_lo, s1
	s_delay_alu instid0(SALU_CYCLE_1)
	s_and_not1_b32 exec_lo, exec_lo, s1
	s_cbranch_execz .LBB166_26
.LBB166_65:                             ; =>This Loop Header: Depth=1
                                        ;     Child Loop BB166_68 Depth 2
	v_lshlrev_b64_e32 v[6:7], 2, v[4:5]
	s_mov_b32 s4, exec_lo
	s_delay_alu instid0(VALU_DEP_1)
	v_add_nc_u64_e32 v[8:9], s[14:15], v[6:7]
	v_add_nc_u64_e32 v[6:7], s[16:17], v[6:7]
	global_load_b32 v3, v[8:9], off
	global_load_b32 v1, v[6:7], off
	s_wait_loadcnt 0x1
	s_wait_xcnt 0x0
	v_subrev_nc_u32_e32 v6, s23, v3
	s_delay_alu instid0(VALU_DEP_1) | instskip(NEXT) | instid1(VALU_DEP_1)
	v_mul_lo_u32 v3, 0x89, v6
	v_and_b32_e32 v3, 0x3ff, v3
	s_delay_alu instid0(VALU_DEP_1)
	v_lshl_add_u32 v7, v3, 2, 0
	ds_load_b32 v8, v7
	s_wait_dscnt 0x0
	v_cmpx_ne_u32_e64 v8, v6
	s_cbranch_execz .LBB166_64
; %bb.66:                               ;   in Loop: Header=BB166_65 Depth=1
	s_mov_b32 s5, 0
	s_branch .LBB166_68
.LBB166_67:                             ;   in Loop: Header=BB166_68 Depth=2
	s_or_b32 exec_lo, exec_lo, s8
	s_delay_alu instid0(SALU_CYCLE_1) | instskip(NEXT) | instid1(SALU_CYCLE_1)
	s_and_b32 s6, exec_lo, s7
	s_or_b32 s5, s6, s5
	s_delay_alu instid0(SALU_CYCLE_1)
	s_and_not1_b32 exec_lo, exec_lo, s5
	s_cbranch_execz .LBB166_63
.LBB166_68:                             ;   Parent Loop BB166_65 Depth=1
                                        ; =>  This Inner Loop Header: Depth=2
	s_mov_b32 s6, 0
	s_mov_b32 s7, exec_lo
	v_cmpx_ne_u32_e64 s33, v8
	s_xor_b32 s7, exec_lo, s7
	s_cbranch_execz .LBB166_70
; %bb.69:                               ;   in Loop: Header=BB166_68 Depth=2
	v_add_nc_u32_e32 v3, 1, v3
	s_mov_b32 s6, exec_lo
                                        ; implicit-def: $vgpr7
	s_delay_alu instid0(VALU_DEP_1)
	v_and_b32_e32 v3, 0x3ff, v3
	s_and_not1_saveexec_b32 s7, s7
	s_cbranch_execz .LBB166_72
	s_branch .LBB166_71
.LBB166_70:                             ;   in Loop: Header=BB166_68 Depth=2
	s_and_not1_saveexec_b32 s7, s7
	s_cbranch_execz .LBB166_72
.LBB166_71:                             ;   in Loop: Header=BB166_68 Depth=2
	v_mov_b32_e32 v8, s33
	s_and_not1_b32 s6, s6, exec_lo
	ds_cmpstore_rtn_b32 v7, v7, v6, v8
	s_wait_dscnt 0x0
	v_cmp_ne_u32_e32 vcc_lo, s33, v7
	s_and_b32 s8, vcc_lo, exec_lo
	s_delay_alu instid0(SALU_CYCLE_1)
	s_or_b32 s6, s6, s8
.LBB166_72:                             ;   in Loop: Header=BB166_68 Depth=2
	s_or_b32 exec_lo, exec_lo, s7
	s_mov_b32 s7, -1
                                        ; implicit-def: $vgpr7
                                        ; implicit-def: $vgpr8
	s_and_saveexec_b32 s8, s6
	s_cbranch_execz .LBB166_67
; %bb.73:                               ;   in Loop: Header=BB166_68 Depth=2
	v_lshl_add_u32 v7, v3, 2, 0
	ds_load_b32 v8, v7
	s_wait_dscnt 0x0
	v_cmp_eq_u32_e32 vcc_lo, v8, v6
	s_or_not1_b32 s7, vcc_lo, exec_lo
	s_branch .LBB166_67
.LBB166_74:
	s_or_b32 exec_lo, exec_lo, s16
	s_wait_kmcnt 0x0
	s_ashr_i32 s29, s28, 31
	s_delay_alu instid0(SALU_CYCLE_1) | instskip(NEXT) | instid1(SALU_CYCLE_1)
	s_lshl_b64 s[0:1], s[28:29], 3
	s_add_nc_u64 s[4:5], s[18:19], s[0:1]
	s_load_b128 s[0:3], s[4:5], 0x0
	s_wait_xcnt 0x0
	s_mov_b32 s4, exec_lo
	s_wait_kmcnt 0x0
	s_sub_co_i32 s3, s2, s0
	s_delay_alu instid0(SALU_CYCLE_1)
	v_cmpx_gt_i32_e64 s3, v0
	s_cbranch_execz .LBB166_84
; %bb.75:
	s_sub_co_i32 s4, s0, s2
	s_and_b32 s2, s3, 7
	s_cmp_lt_u32 s4, -7
	s_mov_b32 s23, 0
	s_cselect_b32 s4, -1, 0
	s_and_b32 s5, s3, -8
	s_cmp_lg_u32 s2, 0
	s_sub_nc_u64 s[0:1], s[0:1], s[22:23]
	s_cselect_b32 s6, -1, 0
	s_mov_b32 s7, 0
	s_branch .LBB166_77
.LBB166_76:                             ;   in Loop: Header=BB166_77 Depth=1
	v_add_nc_u32_e32 v0, 0x200, v0
	s_delay_alu instid0(VALU_DEP_2) | instskip(NEXT) | instid1(VALU_DEP_2)
	v_lshl_add_u64 v[4:5], v[4:5], 2, s[34:35]
	v_cmp_le_i32_e32 vcc_lo, s3, v0
	s_wait_dscnt 0x0
	global_store_b32 v[4:5], v3, off
	s_or_b32 s7, vcc_lo, s7
	s_wait_xcnt 0x0
	s_and_not1_b32 exec_lo, exec_lo, s7
	s_cbranch_execz .LBB166_84
.LBB166_77:                             ; =>This Loop Header: Depth=1
                                        ;     Child Loop BB166_79 Depth 2
                                        ;     Child Loop BB166_83 Depth 2
	v_lshl_add_u32 v1, v0, 2, 0
	v_mov_b64_e32 v[4:5], s[0:1]
	s_and_not1_b32 vcc_lo, exec_lo, s4
	s_mov_b32 s8, 0
	ds_load_2addr_stride64_b32 v[2:3], v1 offset1:16
	s_cbranch_vccnz .LBB166_81
; %bb.78:                               ;   in Loop: Header=BB166_77 Depth=1
	v_mov_b64_e32 v[4:5], s[0:1]
	s_mov_b32 s9, 0
.LBB166_79:                             ;   Parent Loop BB166_77 Depth=1
                                        ; =>  This Inner Loop Header: Depth=2
	s_delay_alu instid0(SALU_CYCLE_1)
	v_dual_mov_b32 v1, s9 :: v_dual_mov_b32 v11, s23
	v_mov_b32_e32 v17, s23
	s_add_co_i32 s8, s8, 8
	s_add_co_i32 s9, s9, 32
	ds_load_2addr_b32 v[6:7], v1 offset1:1
	ds_load_2addr_b32 v[8:9], v1 offset0:2 offset1:3
	ds_load_2addr_b32 v[12:13], v1 offset0:4 offset1:5
	;; [unrolled: 1-line block ×3, first 2 shown]
	s_cmp_eq_u32 s5, s8
	s_wait_dscnt 0x3
	v_cmp_gt_i32_e32 vcc_lo, v2, v6
	v_cndmask_b32_e64 v10, 0, 1, vcc_lo
	v_cmp_gt_i32_e32 vcc_lo, v2, v7
	v_mov_b32_e32 v7, s23
	s_delay_alu instid0(VALU_DEP_3) | instskip(SKIP_4) | instid1(VALU_DEP_3)
	v_add_nc_u64_e32 v[4:5], v[4:5], v[10:11]
	v_cndmask_b32_e64 v16, 0, 1, vcc_lo
	s_wait_dscnt 0x2
	v_cmp_gt_i32_e32 vcc_lo, v2, v8
	v_cndmask_b32_e64 v6, 0, 1, vcc_lo
	v_add_nc_u64_e32 v[4:5], v[4:5], v[16:17]
	v_cmp_gt_i32_e32 vcc_lo, v2, v9
	v_mov_b32_e32 v9, s23
	v_cndmask_b32_e64 v10, 0, 1, vcc_lo
	s_delay_alu instid0(VALU_DEP_4) | instskip(SKIP_3) | instid1(VALU_DEP_3)
	v_add_nc_u64_e32 v[4:5], v[4:5], v[6:7]
	s_wait_dscnt 0x1
	v_cmp_gt_i32_e32 vcc_lo, v2, v12
	v_cndmask_b32_e64 v6, 0, 1, vcc_lo
	v_add_nc_u64_e32 v[4:5], v[4:5], v[10:11]
	v_cmp_gt_i32_e32 vcc_lo, v2, v13
	v_cndmask_b32_e64 v8, 0, 1, vcc_lo
	s_delay_alu instid0(VALU_DEP_3) | instskip(SKIP_3) | instid1(VALU_DEP_3)
	v_add_nc_u64_e32 v[4:5], v[4:5], v[6:7]
	s_wait_dscnt 0x0
	v_cmp_gt_i32_e32 vcc_lo, v2, v14
	v_cndmask_b32_e64 v6, 0, 1, vcc_lo
	v_add_nc_u64_e32 v[4:5], v[4:5], v[8:9]
	v_cmp_gt_i32_e32 vcc_lo, v2, v15
	v_cndmask_b32_e64 v8, 0, 1, vcc_lo
	s_delay_alu instid0(VALU_DEP_3) | instskip(NEXT) | instid1(VALU_DEP_1)
	v_add_nc_u64_e32 v[4:5], v[4:5], v[6:7]
	v_add_nc_u64_e32 v[4:5], v[4:5], v[8:9]
	s_cbranch_scc0 .LBB166_79
; %bb.80:                               ;   in Loop: Header=BB166_77 Depth=1
	s_mov_b32 s8, s5
.LBB166_81:                             ;   in Loop: Header=BB166_77 Depth=1
	s_and_not1_b32 vcc_lo, exec_lo, s6
	s_cbranch_vccnz .LBB166_76
; %bb.82:                               ;   in Loop: Header=BB166_77 Depth=1
	s_lshl_b32 s8, s8, 2
	s_mov_b32 s9, s2
	s_add_co_i32 s8, s8, 0
.LBB166_83:                             ;   Parent Loop BB166_77 Depth=1
                                        ; =>  This Inner Loop Header: Depth=2
	s_delay_alu instid0(SALU_CYCLE_1)
	v_dual_mov_b32 v1, s8 :: v_dual_mov_b32 v7, s23
	s_add_co_i32 s9, s9, -1
	s_add_co_i32 s8, s8, 4
	s_cmp_lg_u32 s9, 0
	ds_load_b32 v1, v1
	s_wait_dscnt 0x0
	v_cmp_gt_i32_e32 vcc_lo, v2, v1
	v_cndmask_b32_e64 v6, 0, 1, vcc_lo
	s_delay_alu instid0(VALU_DEP_1)
	v_add_nc_u64_e32 v[4:5], v[4:5], v[6:7]
	s_cbranch_scc1 .LBB166_83
	s_branch .LBB166_76
.LBB166_84:
	s_endpgm
	.section	.rodata,"a",@progbits
	.p2align	6, 0x0
	.amdhsa_kernel _ZN9rocsparseL41csrgemm_numeric_fill_block_per_row_kernelILj512ELj32ELj1024ELj137ELj32ElifEEvT5_PKS1_S3_NS_24const_host_device_scalarIT6_EEPKT4_S3_PKS5_S9_S3_SB_S6_S9_S3_SB_S9_S3_PS5_21rocsparse_index_base_SD_SD_SD_bbb
		.amdhsa_group_segment_fixed_size 0
		.amdhsa_private_segment_fixed_size 0
		.amdhsa_kernarg_size 156
		.amdhsa_user_sgpr_count 2
		.amdhsa_user_sgpr_dispatch_ptr 0
		.amdhsa_user_sgpr_queue_ptr 0
		.amdhsa_user_sgpr_kernarg_segment_ptr 1
		.amdhsa_user_sgpr_dispatch_id 0
		.amdhsa_user_sgpr_kernarg_preload_length 0
		.amdhsa_user_sgpr_kernarg_preload_offset 0
		.amdhsa_user_sgpr_private_segment_size 0
		.amdhsa_wavefront_size32 1
		.amdhsa_uses_dynamic_stack 0
		.amdhsa_enable_private_segment 0
		.amdhsa_system_sgpr_workgroup_id_x 1
		.amdhsa_system_sgpr_workgroup_id_y 0
		.amdhsa_system_sgpr_workgroup_id_z 0
		.amdhsa_system_sgpr_workgroup_info 0
		.amdhsa_system_vgpr_workitem_id 0
		.amdhsa_next_free_vgpr 18
		.amdhsa_next_free_sgpr 44
		.amdhsa_named_barrier_count 0
		.amdhsa_reserve_vcc 1
		.amdhsa_float_round_mode_32 0
		.amdhsa_float_round_mode_16_64 0
		.amdhsa_float_denorm_mode_32 3
		.amdhsa_float_denorm_mode_16_64 3
		.amdhsa_fp16_overflow 0
		.amdhsa_memory_ordered 1
		.amdhsa_forward_progress 1
		.amdhsa_inst_pref_size 25
		.amdhsa_round_robin_scheduling 0
		.amdhsa_exception_fp_ieee_invalid_op 0
		.amdhsa_exception_fp_denorm_src 0
		.amdhsa_exception_fp_ieee_div_zero 0
		.amdhsa_exception_fp_ieee_overflow 0
		.amdhsa_exception_fp_ieee_underflow 0
		.amdhsa_exception_fp_ieee_inexact 0
		.amdhsa_exception_int_div_zero 0
	.end_amdhsa_kernel
	.section	.text._ZN9rocsparseL41csrgemm_numeric_fill_block_per_row_kernelILj512ELj32ELj1024ELj137ELj32ElifEEvT5_PKS1_S3_NS_24const_host_device_scalarIT6_EEPKT4_S3_PKS5_S9_S3_SB_S6_S9_S3_SB_S9_S3_PS5_21rocsparse_index_base_SD_SD_SD_bbb,"axG",@progbits,_ZN9rocsparseL41csrgemm_numeric_fill_block_per_row_kernelILj512ELj32ELj1024ELj137ELj32ElifEEvT5_PKS1_S3_NS_24const_host_device_scalarIT6_EEPKT4_S3_PKS5_S9_S3_SB_S6_S9_S3_SB_S9_S3_PS5_21rocsparse_index_base_SD_SD_SD_bbb,comdat
.Lfunc_end166:
	.size	_ZN9rocsparseL41csrgemm_numeric_fill_block_per_row_kernelILj512ELj32ELj1024ELj137ELj32ElifEEvT5_PKS1_S3_NS_24const_host_device_scalarIT6_EEPKT4_S3_PKS5_S9_S3_SB_S6_S9_S3_SB_S9_S3_PS5_21rocsparse_index_base_SD_SD_SD_bbb, .Lfunc_end166-_ZN9rocsparseL41csrgemm_numeric_fill_block_per_row_kernelILj512ELj32ELj1024ELj137ELj32ElifEEvT5_PKS1_S3_NS_24const_host_device_scalarIT6_EEPKT4_S3_PKS5_S9_S3_SB_S6_S9_S3_SB_S9_S3_PS5_21rocsparse_index_base_SD_SD_SD_bbb
                                        ; -- End function
	.set _ZN9rocsparseL41csrgemm_numeric_fill_block_per_row_kernelILj512ELj32ELj1024ELj137ELj32ElifEEvT5_PKS1_S3_NS_24const_host_device_scalarIT6_EEPKT4_S3_PKS5_S9_S3_SB_S6_S9_S3_SB_S9_S3_PS5_21rocsparse_index_base_SD_SD_SD_bbb.num_vgpr, 18
	.set _ZN9rocsparseL41csrgemm_numeric_fill_block_per_row_kernelILj512ELj32ELj1024ELj137ELj32ElifEEvT5_PKS1_S3_NS_24const_host_device_scalarIT6_EEPKT4_S3_PKS5_S9_S3_SB_S6_S9_S3_SB_S9_S3_PS5_21rocsparse_index_base_SD_SD_SD_bbb.num_agpr, 0
	.set _ZN9rocsparseL41csrgemm_numeric_fill_block_per_row_kernelILj512ELj32ELj1024ELj137ELj32ElifEEvT5_PKS1_S3_NS_24const_host_device_scalarIT6_EEPKT4_S3_PKS5_S9_S3_SB_S6_S9_S3_SB_S9_S3_PS5_21rocsparse_index_base_SD_SD_SD_bbb.numbered_sgpr, 44
	.set _ZN9rocsparseL41csrgemm_numeric_fill_block_per_row_kernelILj512ELj32ELj1024ELj137ELj32ElifEEvT5_PKS1_S3_NS_24const_host_device_scalarIT6_EEPKT4_S3_PKS5_S9_S3_SB_S6_S9_S3_SB_S9_S3_PS5_21rocsparse_index_base_SD_SD_SD_bbb.num_named_barrier, 0
	.set _ZN9rocsparseL41csrgemm_numeric_fill_block_per_row_kernelILj512ELj32ELj1024ELj137ELj32ElifEEvT5_PKS1_S3_NS_24const_host_device_scalarIT6_EEPKT4_S3_PKS5_S9_S3_SB_S6_S9_S3_SB_S9_S3_PS5_21rocsparse_index_base_SD_SD_SD_bbb.private_seg_size, 0
	.set _ZN9rocsparseL41csrgemm_numeric_fill_block_per_row_kernelILj512ELj32ELj1024ELj137ELj32ElifEEvT5_PKS1_S3_NS_24const_host_device_scalarIT6_EEPKT4_S3_PKS5_S9_S3_SB_S6_S9_S3_SB_S9_S3_PS5_21rocsparse_index_base_SD_SD_SD_bbb.uses_vcc, 1
	.set _ZN9rocsparseL41csrgemm_numeric_fill_block_per_row_kernelILj512ELj32ELj1024ELj137ELj32ElifEEvT5_PKS1_S3_NS_24const_host_device_scalarIT6_EEPKT4_S3_PKS5_S9_S3_SB_S6_S9_S3_SB_S9_S3_PS5_21rocsparse_index_base_SD_SD_SD_bbb.uses_flat_scratch, 0
	.set _ZN9rocsparseL41csrgemm_numeric_fill_block_per_row_kernelILj512ELj32ELj1024ELj137ELj32ElifEEvT5_PKS1_S3_NS_24const_host_device_scalarIT6_EEPKT4_S3_PKS5_S9_S3_SB_S6_S9_S3_SB_S9_S3_PS5_21rocsparse_index_base_SD_SD_SD_bbb.has_dyn_sized_stack, 0
	.set _ZN9rocsparseL41csrgemm_numeric_fill_block_per_row_kernelILj512ELj32ELj1024ELj137ELj32ElifEEvT5_PKS1_S3_NS_24const_host_device_scalarIT6_EEPKT4_S3_PKS5_S9_S3_SB_S6_S9_S3_SB_S9_S3_PS5_21rocsparse_index_base_SD_SD_SD_bbb.has_recursion, 0
	.set _ZN9rocsparseL41csrgemm_numeric_fill_block_per_row_kernelILj512ELj32ELj1024ELj137ELj32ElifEEvT5_PKS1_S3_NS_24const_host_device_scalarIT6_EEPKT4_S3_PKS5_S9_S3_SB_S6_S9_S3_SB_S9_S3_PS5_21rocsparse_index_base_SD_SD_SD_bbb.has_indirect_call, 0
	.section	.AMDGPU.csdata,"",@progbits
; Kernel info:
; codeLenInByte = 3140
; TotalNumSgprs: 46
; NumVgprs: 18
; ScratchSize: 0
; MemoryBound: 0
; FloatMode: 240
; IeeeMode: 1
; LDSByteSize: 0 bytes/workgroup (compile time only)
; SGPRBlocks: 0
; VGPRBlocks: 1
; NumSGPRsForWavesPerEU: 46
; NumVGPRsForWavesPerEU: 18
; NamedBarCnt: 0
; Occupancy: 16
; WaveLimiterHint : 1
; COMPUTE_PGM_RSRC2:SCRATCH_EN: 0
; COMPUTE_PGM_RSRC2:USER_SGPR: 2
; COMPUTE_PGM_RSRC2:TRAP_HANDLER: 0
; COMPUTE_PGM_RSRC2:TGID_X_EN: 1
; COMPUTE_PGM_RSRC2:TGID_Y_EN: 0
; COMPUTE_PGM_RSRC2:TGID_Z_EN: 0
; COMPUTE_PGM_RSRC2:TIDIG_COMP_CNT: 0
	.section	.text._ZN9rocsparseL41csrgemm_numeric_fill_block_per_row_kernelILj512ELj32ELj1024ELj137ELj64ElifEEvT5_PKS1_S3_NS_24const_host_device_scalarIT6_EEPKT4_S3_PKS5_S9_S3_SB_S6_S9_S3_SB_S9_S3_PS5_21rocsparse_index_base_SD_SD_SD_bbb,"axG",@progbits,_ZN9rocsparseL41csrgemm_numeric_fill_block_per_row_kernelILj512ELj32ELj1024ELj137ELj64ElifEEvT5_PKS1_S3_NS_24const_host_device_scalarIT6_EEPKT4_S3_PKS5_S9_S3_SB_S6_S9_S3_SB_S9_S3_PS5_21rocsparse_index_base_SD_SD_SD_bbb,comdat
	.globl	_ZN9rocsparseL41csrgemm_numeric_fill_block_per_row_kernelILj512ELj32ELj1024ELj137ELj64ElifEEvT5_PKS1_S3_NS_24const_host_device_scalarIT6_EEPKT4_S3_PKS5_S9_S3_SB_S6_S9_S3_SB_S9_S3_PS5_21rocsparse_index_base_SD_SD_SD_bbb ; -- Begin function _ZN9rocsparseL41csrgemm_numeric_fill_block_per_row_kernelILj512ELj32ELj1024ELj137ELj64ElifEEvT5_PKS1_S3_NS_24const_host_device_scalarIT6_EEPKT4_S3_PKS5_S9_S3_SB_S6_S9_S3_SB_S9_S3_PS5_21rocsparse_index_base_SD_SD_SD_bbb
	.p2align	8
	.type	_ZN9rocsparseL41csrgemm_numeric_fill_block_per_row_kernelILj512ELj32ELj1024ELj137ELj64ElifEEvT5_PKS1_S3_NS_24const_host_device_scalarIT6_EEPKT4_S3_PKS5_S9_S3_SB_S6_S9_S3_SB_S9_S3_PS5_21rocsparse_index_base_SD_SD_SD_bbb,@function
_ZN9rocsparseL41csrgemm_numeric_fill_block_per_row_kernelILj512ELj32ELj1024ELj137ELj64ElifEEvT5_PKS1_S3_NS_24const_host_device_scalarIT6_EEPKT4_S3_PKS5_S9_S3_SB_S6_S9_S3_SB_S9_S3_PS5_21rocsparse_index_base_SD_SD_SD_bbb: ; @_ZN9rocsparseL41csrgemm_numeric_fill_block_per_row_kernelILj512ELj32ELj1024ELj137ELj64ElifEEvT5_PKS1_S3_NS_24const_host_device_scalarIT6_EEPKT4_S3_PKS5_S9_S3_SB_S6_S9_S3_SB_S9_S3_PS5_21rocsparse_index_base_SD_SD_SD_bbb
; %bb.0:
	s_clause 0x3
	s_load_b32 s6, s[0:1], 0x98
	s_load_b64 s[4:5], s[0:1], 0x18
	s_load_b128 s[20:23], s[0:1], 0x88
	s_load_b64 s[2:3], s[0:1], 0x50
	s_wait_kmcnt 0x0
	s_and_b32 s8, 1, s6
	s_bitcmp1_b32 s6, 16
	s_cselect_b32 s7, -1, 0
	s_cmp_eq_u32 s8, 1
	s_cselect_b32 s39, -1, 0
	s_delay_alu instid0(SALU_CYCLE_1) | instskip(SKIP_2) | instid1(SALU_CYCLE_1)
	s_and_b32 s8, s39, exec_lo
	s_cselect_b32 s37, s4, 0
	s_xor_b32 s8, s39, -1
	s_or_b32 s8, s7, s8
	s_delay_alu instid0(SALU_CYCLE_1)
	s_and_b32 vcc_lo, exec_lo, s8
	s_cbranch_vccnz .LBB167_2
; %bb.1:
	s_load_b32 s37, s[4:5], 0x0
.LBB167_2:
	s_load_b128 s[28:31], s[0:1], 0x8
	s_bitcmp1_b32 s6, 8
	s_cselect_b32 s38, -1, 0
	s_wait_xcnt 0x0
	s_and_b32 s4, s38, exec_lo
	s_cselect_b32 s36, s2, 0
	s_xor_b32 s4, s38, -1
	s_delay_alu instid0(SALU_CYCLE_1) | instskip(NEXT) | instid1(SALU_CYCLE_1)
	s_or_b32 s4, s7, s4
	s_and_b32 vcc_lo, exec_lo, s4
	s_cbranch_vccnz .LBB167_4
; %bb.3:
	s_load_b32 s36, s[2:3], 0x0
.LBB167_4:
	s_clause 0x4
	s_load_b32 s33, s[0:1], 0x0
	s_load_b64 s[34:35], s[0:1], 0x80
	s_load_b256 s[4:11], s[0:1], 0x58
	s_load_b128 s[24:27], s[0:1], 0x40
	s_load_b256 s[12:19], s[0:1], 0x20
	v_lshl_add_u32 v10, v0, 2, 0
	v_or_b32_e32 v11, 0xfffffe00, v0
	v_mov_b32_e32 v1, 0
	s_wait_xcnt 0x0
	s_mov_b32 s0, 0
	s_delay_alu instid0(VALU_DEP_2)
	v_dual_mov_b32 v2, v10 :: v_dual_mov_b32 v4, v11
	s_wait_kmcnt 0x0
	v_mov_b32_e32 v3, s33
.LBB167_5:                              ; =>This Inner Loop Header: Depth=1
	s_delay_alu instid0(VALU_DEP_2) | instskip(SKIP_4) | instid1(SALU_CYCLE_1)
	v_add_co_u32 v4, s1, 0x200, v4
	s_xor_b32 s1, s1, -1
	ds_store_2addr_stride64_b32 v2, v3, v1 offset1:16
	v_add_nc_u32_e32 v2, 0x800, v2
	s_and_b32 s1, exec_lo, s1
	s_or_b32 s0, s1, s0
	s_delay_alu instid0(SALU_CYCLE_1)
	s_and_not1_b32 exec_lo, exec_lo, s0
	s_cbranch_execnz .LBB167_5
; %bb.6:
	s_or_b32 exec_lo, exec_lo, s0
	s_wait_dscnt 0x0
	s_barrier_signal -1
	s_barrier_wait -1
	s_load_b32 s0, s[28:29], 0x0
	s_bfe_u32 s1, ttmp6, 0x4000c
	s_and_b32 s2, ttmp6, 15
	s_add_co_i32 s1, s1, 1
	s_getreg_b32 s3, hwreg(HW_REG_IB_STS2, 6, 4)
	s_mul_i32 s1, ttmp9, s1
	s_delay_alu instid0(SALU_CYCLE_1)
	s_add_co_i32 s2, s2, s1
	s_cmp_eq_u32 s3, 0
	s_cselect_b32 s1, ttmp9, s2
	s_and_b32 vcc_lo, s39, exec_lo
	s_wait_kmcnt 0x0
	s_add_co_i32 s0, s0, s1
	s_mov_b32 s1, 0
	s_load_b32 s28, s[30:31], s0 offset:0x0 scale_offset
	s_cbranch_vccz .LBB167_24
; %bb.7:
	s_wait_kmcnt 0x0
	s_ashr_i32 s29, s28, 31
	v_dual_mov_b32 v5, 0 :: v_dual_lshrrev_b32 v4, 5, v0
	s_lshl_b64 s[2:3], s[28:29], 3
	s_mov_b32 s0, s20
	s_add_nc_u64 s[2:3], s[12:13], s[2:3]
	s_mov_b32 s12, exec_lo
	s_load_b128 s[40:43], s[2:3], 0x0
	v_sub_nc_u64_e64 v[2:3], v[4:5], s[0:1]
	s_wait_kmcnt 0x0
	s_delay_alu instid0(VALU_DEP_1)
	v_add_nc_u64_e32 v[2:3], s[40:41], v[2:3]
	s_sub_nc_u64 s[0:1], s[42:43], s[0:1]
	s_delay_alu instid0(VALU_DEP_1) | instid1(SALU_CYCLE_1)
	v_cmpx_gt_i64_e64 s[0:1], v[2:3]
	s_cbranch_execz .LBB167_23
; %bb.8:
	v_and_b32_e32 v4, 31, v0
	s_mov_b32 s3, 0
	s_mov_b32 s2, s21
	;; [unrolled: 1-line block ×3, first 2 shown]
	s_delay_alu instid0(VALU_DEP_1)
	v_sub_nc_u64_e64 v[4:5], v[4:5], s[2:3]
	s_branch .LBB167_10
.LBB167_9:                              ;   in Loop: Header=BB167_10 Depth=1
	s_or_b32 exec_lo, exec_lo, s29
	v_add_nc_u64_e32 v[2:3], 16, v[2:3]
	s_delay_alu instid0(VALU_DEP_1) | instskip(SKIP_1) | instid1(SALU_CYCLE_1)
	v_cmp_le_i64_e32 vcc_lo, s[0:1], v[2:3]
	s_or_b32 s13, vcc_lo, s13
	s_and_not1_b32 exec_lo, exec_lo, s13
	s_cbranch_execz .LBB167_23
.LBB167_10:                             ; =>This Loop Header: Depth=1
                                        ;     Child Loop BB167_14 Depth 2
                                        ;       Child Loop BB167_17 Depth 3
	v_lshl_add_u64 v[6:7], v[2:3], 2, s[14:15]
	s_mov_b32 s29, exec_lo
	global_load_b32 v1, v[6:7], off
	s_wait_loadcnt 0x0
	s_wait_xcnt 0x0
	v_subrev_nc_u32_e32 v6, s20, v1
	s_delay_alu instid0(VALU_DEP_1) | instskip(NEXT) | instid1(VALU_DEP_1)
	v_ashrrev_i32_e32 v7, 31, v6
	v_lshl_add_u64 v[6:7], v[6:7], 3, s[18:19]
	global_load_b128 v[12:15], v[6:7], off
	s_wait_loadcnt 0x0
	s_wait_xcnt 0x0
	v_sub_nc_u64_e64 v[6:7], v[14:15], s[2:3]
	v_add_nc_u64_e32 v[8:9], v[12:13], v[4:5]
	s_delay_alu instid0(VALU_DEP_1)
	v_cmpx_lt_i64_e64 v[8:9], v[6:7]
	s_cbranch_execz .LBB167_9
; %bb.11:                               ;   in Loop: Header=BB167_10 Depth=1
	v_lshl_add_u64 v[12:13], v[2:3], 2, s[16:17]
	s_mov_b32 s30, 0
	global_load_b32 v1, v[12:13], off
	s_wait_loadcnt 0x0
	v_mul_f32_e32 v1, s37, v1
	s_branch .LBB167_14
.LBB167_12:                             ;   in Loop: Header=BB167_14 Depth=2
	s_or_b32 exec_lo, exec_lo, s39
.LBB167_13:                             ;   in Loop: Header=BB167_14 Depth=2
	s_delay_alu instid0(SALU_CYCLE_1)
	s_or_b32 exec_lo, exec_lo, s31
	s_wait_loadcnt 0x0
	v_mul_f32_e32 v12, v1, v12
	v_lshl_add_u32 v13, v13, 2, 0
	v_add_nc_u64_e32 v[8:9], 32, v[8:9]
	ds_add_f32 v13, v12 offset:4096
	v_cmp_ge_i64_e32 vcc_lo, v[8:9], v[6:7]
	s_or_b32 s30, vcc_lo, s30
	s_delay_alu instid0(SALU_CYCLE_1)
	s_and_not1_b32 exec_lo, exec_lo, s30
	s_cbranch_execz .LBB167_9
.LBB167_14:                             ;   Parent Loop BB167_10 Depth=1
                                        ; =>  This Loop Header: Depth=2
                                        ;       Child Loop BB167_17 Depth 3
	s_wait_xcnt 0x0
	v_lshlrev_b64_e32 v[12:13], 2, v[8:9]
	s_mov_b32 s31, exec_lo
	s_delay_alu instid0(VALU_DEP_1)
	v_add_nc_u64_e32 v[14:15], s[24:25], v[12:13]
	v_add_nc_u64_e32 v[12:13], s[26:27], v[12:13]
	global_load_b32 v14, v[14:15], off
	global_load_b32 v12, v[12:13], off
	s_wait_loadcnt 0x1
	s_wait_xcnt 0x1
	v_subrev_nc_u32_e32 v14, s21, v14
	s_wait_xcnt 0x0
	s_delay_alu instid0(VALU_DEP_1) | instskip(NEXT) | instid1(VALU_DEP_1)
	v_mul_lo_u32 v13, 0x89, v14
	v_and_b32_e32 v13, 0x3ff, v13
	s_delay_alu instid0(VALU_DEP_1)
	v_lshl_add_u32 v15, v13, 2, 0
	ds_load_b32 v16, v15
	s_wait_dscnt 0x0
	v_cmpx_ne_u32_e64 v16, v14
	s_cbranch_execz .LBB167_13
; %bb.15:                               ;   in Loop: Header=BB167_14 Depth=2
	s_mov_b32 s39, 0
	s_branch .LBB167_17
.LBB167_16:                             ;   in Loop: Header=BB167_17 Depth=3
	s_or_b32 exec_lo, exec_lo, s42
	s_delay_alu instid0(SALU_CYCLE_1) | instskip(NEXT) | instid1(SALU_CYCLE_1)
	s_and_b32 s40, exec_lo, s41
	s_or_b32 s39, s40, s39
	s_delay_alu instid0(SALU_CYCLE_1)
	s_and_not1_b32 exec_lo, exec_lo, s39
	s_cbranch_execz .LBB167_12
.LBB167_17:                             ;   Parent Loop BB167_10 Depth=1
                                        ;     Parent Loop BB167_14 Depth=2
                                        ; =>    This Inner Loop Header: Depth=3
	s_mov_b32 s40, 0
	s_mov_b32 s41, exec_lo
	v_cmpx_ne_u32_e64 s33, v16
	s_xor_b32 s41, exec_lo, s41
	s_cbranch_execz .LBB167_19
; %bb.18:                               ;   in Loop: Header=BB167_17 Depth=3
	v_add_nc_u32_e32 v13, 1, v13
	s_mov_b32 s40, exec_lo
                                        ; implicit-def: $vgpr15
	s_delay_alu instid0(VALU_DEP_1)
	v_and_b32_e32 v13, 0x3ff, v13
	s_and_not1_saveexec_b32 s41, s41
	s_cbranch_execz .LBB167_21
	s_branch .LBB167_20
.LBB167_19:                             ;   in Loop: Header=BB167_17 Depth=3
	s_and_not1_saveexec_b32 s41, s41
	s_cbranch_execz .LBB167_21
.LBB167_20:                             ;   in Loop: Header=BB167_17 Depth=3
	v_mov_b32_e32 v16, s33
	s_and_not1_b32 s40, s40, exec_lo
	ds_cmpstore_rtn_b32 v15, v15, v14, v16
	s_wait_dscnt 0x0
	v_cmp_ne_u32_e32 vcc_lo, s33, v15
	s_and_b32 s42, vcc_lo, exec_lo
	s_delay_alu instid0(SALU_CYCLE_1)
	s_or_b32 s40, s40, s42
.LBB167_21:                             ;   in Loop: Header=BB167_17 Depth=3
	s_or_b32 exec_lo, exec_lo, s41
	s_mov_b32 s41, -1
                                        ; implicit-def: $vgpr15
                                        ; implicit-def: $vgpr16
	s_and_saveexec_b32 s42, s40
	s_cbranch_execz .LBB167_16
; %bb.22:                               ;   in Loop: Header=BB167_17 Depth=3
	v_lshl_add_u32 v15, v13, 2, 0
	ds_load_b32 v16, v15
	s_wait_dscnt 0x0
	v_cmp_eq_u32_e32 vcc_lo, v16, v14
	s_or_not1_b32 s41, vcc_lo, exec_lo
	s_branch .LBB167_16
.LBB167_23:
	s_or_b32 exec_lo, exec_lo, s12
.LBB167_24:
	s_delay_alu instid0(SALU_CYCLE_1)
	s_and_not1_b32 vcc_lo, exec_lo, s38
	s_cbranch_vccnz .LBB167_27
; %bb.25:
	s_wait_kmcnt 0x0
	s_ashr_i32 s29, s28, 31
	v_mov_b32_e32 v1, 0
	s_lshl_b64 s[0:1], s[28:29], 3
	s_delay_alu instid0(SALU_CYCLE_1) | instskip(SKIP_4) | instid1(SALU_CYCLE_1)
	s_add_nc_u64 s[0:1], s[4:5], s[0:1]
	s_load_b128 s[12:15], s[0:1], 0x0
	s_wait_xcnt 0x0
	s_mov_b32 s1, 0
	s_mov_b32 s0, s23
	v_sub_nc_u64_e64 v[2:3], v[0:1], s[0:1]
	s_wait_kmcnt 0x0
	s_delay_alu instid0(VALU_DEP_1) | instskip(SKIP_2) | instid1(VALU_DEP_1)
	v_add_nc_u64_e32 v[2:3], s[12:13], v[2:3]
	s_sub_nc_u64 s[2:3], s[14:15], s[0:1]
	s_mov_b32 s0, exec_lo
	v_cmpx_gt_i64_e64 s[2:3], v[2:3]
	s_cbranch_execnz .LBB167_49
.LBB167_26:
	s_or_b32 exec_lo, exec_lo, s0
.LBB167_27:
	v_mbcnt_lo_u32_b32 v2, -1, 0
	v_dual_lshrrev_b32 v3, 4, v0 :: v_dual_mov_b32 v1, 0
	s_wait_xcnt 0x0
	v_cmp_lt_u32_e64 s0, 63, v0
	v_cmp_lt_u32_e64 s1, 0x7f, v0
	s_delay_alu instid0(VALU_DEP_3)
	v_dual_mov_b32 v6, 0 :: v_dual_bitop2_b32 v3, 28, v3 bitop3:0x40
	v_xor_b32_e32 v2, 31, v2
	v_cmp_lt_u32_e64 s2, 0xbf, v0
	v_cmp_lt_u32_e64 s3, 0xff, v0
	v_cmp_lt_u32_e64 s4, 0x13f, v0
	v_add_nc_u32_e32 v3, 0, v3
	v_lshrrev_b32_e64 v2, v2, -1
	v_cmp_lt_u32_e64 s5, 0x17f, v0
	v_cmp_lt_u32_e64 s6, 0x1bf, v0
	s_mov_b32 s8, 0
	s_wait_dscnt 0x0
	v_cmp_eq_u32_e32 vcc_lo, 0x1ff, v0
	s_barrier_signal -1
	s_barrier_wait -1
	s_branch .LBB167_29
.LBB167_28:                             ;   in Loop: Header=BB167_29 Depth=1
	s_or_b32 exec_lo, exec_lo, s7
	s_wait_dscnt 0x0
	s_barrier_signal -1
	s_barrier_wait -1
	ds_load_b32 v4, v1 offset:8220
	v_add_co_u32 v11, s7, 0x200, v11
	s_xor_b32 s7, s7, -1
	v_add_nc_u32_e32 v10, 0x800, v10
	s_and_b32 s7, exec_lo, s7
	s_delay_alu instid0(SALU_CYCLE_1)
	s_or_b32 s8, s7, s8
	s_wait_dscnt 0x0
	v_add_nc_u32_e32 v6, v4, v6
	s_and_not1_b32 exec_lo, exec_lo, s8
	s_cbranch_execz .LBB167_58
.LBB167_29:                             ; =>This Inner Loop Header: Depth=1
	ds_load_2addr_stride64_b32 v[4:5], v10 offset1:16
	s_wait_dscnt 0x0
	s_barrier_signal -1
	s_barrier_wait -1
	v_cmp_gt_i32_e64 s7, s33, v4
	s_bcnt1_i32_b32 s9, s7
	s_delay_alu instid0(SALU_CYCLE_1) | instskip(NEXT) | instid1(VALU_DEP_1)
	v_dual_mov_b32 v8, s9 :: v_dual_bitop2_b32 v7, s7, v2 bitop3:0x40
	v_bcnt_u32_b32 v7, v7, 0
	ds_store_b32 v3, v8 offset:8192
	s_wait_dscnt 0x0
	s_barrier_signal -1
	s_barrier_wait -1
	s_and_saveexec_b32 s9, s0
	s_cbranch_execz .LBB167_38
; %bb.30:                               ;   in Loop: Header=BB167_29 Depth=1
	ds_load_b32 v8, v1 offset:8192
	s_wait_dscnt 0x0
	v_add_nc_u32_e32 v7, v8, v7
	s_or_b32 exec_lo, exec_lo, s9
	s_and_saveexec_b32 s9, s1
	s_cbranch_execnz .LBB167_39
.LBB167_31:                             ;   in Loop: Header=BB167_29 Depth=1
	s_or_b32 exec_lo, exec_lo, s9
	s_and_saveexec_b32 s9, s2
	s_cbranch_execz .LBB167_40
.LBB167_32:                             ;   in Loop: Header=BB167_29 Depth=1
	ds_load_b32 v8, v1 offset:8200
	s_wait_dscnt 0x0
	v_add_nc_u32_e32 v7, v8, v7
	s_or_b32 exec_lo, exec_lo, s9
	s_and_saveexec_b32 s9, s3
	s_cbranch_execnz .LBB167_41
.LBB167_33:                             ;   in Loop: Header=BB167_29 Depth=1
	s_or_b32 exec_lo, exec_lo, s9
	s_and_saveexec_b32 s9, s4
	s_cbranch_execz .LBB167_42
.LBB167_34:                             ;   in Loop: Header=BB167_29 Depth=1
	ds_load_b32 v8, v1 offset:8208
	s_wait_dscnt 0x0
	v_add_nc_u32_e32 v7, v8, v7
	s_or_b32 exec_lo, exec_lo, s9
	s_and_saveexec_b32 s9, s5
	s_cbranch_execnz .LBB167_43
.LBB167_35:                             ;   in Loop: Header=BB167_29 Depth=1
	s_or_b32 exec_lo, exec_lo, s9
	s_and_saveexec_b32 s9, s6
	s_cbranch_execz .LBB167_44
.LBB167_36:                             ;   in Loop: Header=BB167_29 Depth=1
	ds_load_b32 v8, v1 offset:8216
	s_wait_dscnt 0x0
	v_add_nc_u32_e32 v7, v8, v7
	s_or_b32 exec_lo, exec_lo, s9
	s_and_saveexec_b32 s9, s7
	s_cbranch_execnz .LBB167_45
.LBB167_37:                             ;   in Loop: Header=BB167_29 Depth=1
	s_or_b32 exec_lo, exec_lo, s9
	s_and_saveexec_b32 s7, vcc_lo
	s_cbranch_execz .LBB167_28
	s_branch .LBB167_46
.LBB167_38:                             ;   in Loop: Header=BB167_29 Depth=1
	s_or_b32 exec_lo, exec_lo, s9
	s_and_saveexec_b32 s9, s1
	s_cbranch_execz .LBB167_31
.LBB167_39:                             ;   in Loop: Header=BB167_29 Depth=1
	ds_load_b32 v8, v1 offset:8196
	s_wait_dscnt 0x0
	v_add_nc_u32_e32 v7, v8, v7
	s_or_b32 exec_lo, exec_lo, s9
	s_and_saveexec_b32 s9, s2
	s_cbranch_execnz .LBB167_32
.LBB167_40:                             ;   in Loop: Header=BB167_29 Depth=1
	s_or_b32 exec_lo, exec_lo, s9
	s_and_saveexec_b32 s9, s3
	s_cbranch_execz .LBB167_33
.LBB167_41:                             ;   in Loop: Header=BB167_29 Depth=1
	ds_load_b32 v8, v1 offset:8204
	s_wait_dscnt 0x0
	v_add_nc_u32_e32 v7, v8, v7
	s_or_b32 exec_lo, exec_lo, s9
	s_and_saveexec_b32 s9, s4
	s_cbranch_execnz .LBB167_34
.LBB167_42:                             ;   in Loop: Header=BB167_29 Depth=1
	s_or_b32 exec_lo, exec_lo, s9
	s_and_saveexec_b32 s9, s5
	s_cbranch_execz .LBB167_35
.LBB167_43:                             ;   in Loop: Header=BB167_29 Depth=1
	ds_load_b32 v8, v1 offset:8212
	s_wait_dscnt 0x0
	v_add_nc_u32_e32 v7, v8, v7
	s_or_b32 exec_lo, exec_lo, s9
	s_and_saveexec_b32 s9, s6
	s_cbranch_execnz .LBB167_36
.LBB167_44:                             ;   in Loop: Header=BB167_29 Depth=1
	s_or_b32 exec_lo, exec_lo, s9
	s_and_saveexec_b32 s9, s7
	s_cbranch_execz .LBB167_37
.LBB167_45:                             ;   in Loop: Header=BB167_29 Depth=1
	s_delay_alu instid0(VALU_DEP_1) | instskip(SKIP_1) | instid1(VALU_DEP_2)
	v_add3_u32 v8, v6, -1, v7
	v_add_nc_u32_e32 v9, v6, v7
	v_lshl_add_u32 v8, v8, 2, 0
	s_delay_alu instid0(VALU_DEP_2)
	v_lshl_add_u32 v9, v9, 2, 0
	ds_store_b32 v8, v4
	ds_store_b32 v9, v5 offset:4092
	s_or_b32 exec_lo, exec_lo, s9
	s_and_saveexec_b32 s7, vcc_lo
	s_cbranch_execz .LBB167_28
.LBB167_46:                             ;   in Loop: Header=BB167_29 Depth=1
	ds_store_b32 v1, v7 offset:8220
	s_branch .LBB167_28
.LBB167_47:                             ;   in Loop: Header=BB167_49 Depth=1
	s_or_b32 exec_lo, exec_lo, s5
.LBB167_48:                             ;   in Loop: Header=BB167_49 Depth=1
	s_delay_alu instid0(SALU_CYCLE_1)
	s_or_b32 exec_lo, exec_lo, s4
	s_wait_loadcnt 0x0
	v_mul_f32_e32 v1, s36, v1
	v_lshl_add_u32 v4, v4, 2, 0
	v_add_nc_u64_e32 v[2:3], 0x200, v[2:3]
	ds_add_f32 v4, v1 offset:4096
	v_cmp_le_i64_e32 vcc_lo, s[2:3], v[2:3]
	s_or_b32 s1, vcc_lo, s1
	s_delay_alu instid0(SALU_CYCLE_1)
	s_and_not1_b32 exec_lo, exec_lo, s1
	s_cbranch_execz .LBB167_26
.LBB167_49:                             ; =>This Loop Header: Depth=1
                                        ;     Child Loop BB167_52 Depth 2
	v_lshlrev_b64_e32 v[4:5], 2, v[2:3]
	s_mov_b32 s4, exec_lo
	s_delay_alu instid0(VALU_DEP_1)
	v_add_nc_u64_e32 v[6:7], s[6:7], v[4:5]
	v_add_nc_u64_e32 v[4:5], s[8:9], v[4:5]
	global_load_b32 v6, v[6:7], off
	global_load_b32 v1, v[4:5], off
	s_wait_loadcnt 0x1
	s_wait_xcnt 0x0
	v_subrev_nc_u32_e32 v5, s23, v6
	s_delay_alu instid0(VALU_DEP_1) | instskip(NEXT) | instid1(VALU_DEP_1)
	v_mul_lo_u32 v4, 0x89, v5
	v_and_b32_e32 v4, 0x3ff, v4
	s_delay_alu instid0(VALU_DEP_1)
	v_lshl_add_u32 v6, v4, 2, 0
	ds_load_b32 v7, v6
	s_wait_dscnt 0x0
	v_cmpx_ne_u32_e64 v7, v5
	s_cbranch_execz .LBB167_48
; %bb.50:                               ;   in Loop: Header=BB167_49 Depth=1
	s_mov_b32 s5, 0
	s_branch .LBB167_52
.LBB167_51:                             ;   in Loop: Header=BB167_52 Depth=2
	s_or_b32 exec_lo, exec_lo, s14
	s_delay_alu instid0(SALU_CYCLE_1) | instskip(NEXT) | instid1(SALU_CYCLE_1)
	s_and_b32 s12, exec_lo, s13
	s_or_b32 s5, s12, s5
	s_delay_alu instid0(SALU_CYCLE_1)
	s_and_not1_b32 exec_lo, exec_lo, s5
	s_cbranch_execz .LBB167_47
.LBB167_52:                             ;   Parent Loop BB167_49 Depth=1
                                        ; =>  This Inner Loop Header: Depth=2
	s_mov_b32 s12, 0
	s_mov_b32 s13, exec_lo
	v_cmpx_ne_u32_e64 s33, v7
	s_xor_b32 s13, exec_lo, s13
	s_cbranch_execz .LBB167_54
; %bb.53:                               ;   in Loop: Header=BB167_52 Depth=2
	v_add_nc_u32_e32 v4, 1, v4
	s_mov_b32 s12, exec_lo
                                        ; implicit-def: $vgpr6
	s_delay_alu instid0(VALU_DEP_1)
	v_and_b32_e32 v4, 0x3ff, v4
	s_and_not1_saveexec_b32 s13, s13
	s_cbranch_execz .LBB167_56
	s_branch .LBB167_55
.LBB167_54:                             ;   in Loop: Header=BB167_52 Depth=2
	s_and_not1_saveexec_b32 s13, s13
	s_cbranch_execz .LBB167_56
.LBB167_55:                             ;   in Loop: Header=BB167_52 Depth=2
	v_mov_b32_e32 v7, s33
	s_and_not1_b32 s12, s12, exec_lo
	ds_cmpstore_rtn_b32 v6, v6, v5, v7
	s_wait_dscnt 0x0
	v_cmp_ne_u32_e32 vcc_lo, s33, v6
	s_and_b32 s14, vcc_lo, exec_lo
	s_delay_alu instid0(SALU_CYCLE_1)
	s_or_b32 s12, s12, s14
.LBB167_56:                             ;   in Loop: Header=BB167_52 Depth=2
	s_or_b32 exec_lo, exec_lo, s13
	s_mov_b32 s13, -1
                                        ; implicit-def: $vgpr6
                                        ; implicit-def: $vgpr7
	s_and_saveexec_b32 s14, s12
	s_cbranch_execz .LBB167_51
; %bb.57:                               ;   in Loop: Header=BB167_52 Depth=2
	v_lshl_add_u32 v6, v4, 2, 0
	ds_load_b32 v7, v6
	s_wait_dscnt 0x0
	v_cmp_eq_u32_e32 vcc_lo, v7, v5
	s_or_not1_b32 s13, vcc_lo, exec_lo
	s_branch .LBB167_51
.LBB167_58:
	s_or_b32 exec_lo, exec_lo, s8
	s_wait_kmcnt 0x0
	s_ashr_i32 s29, s28, 31
	s_delay_alu instid0(SALU_CYCLE_1) | instskip(NEXT) | instid1(SALU_CYCLE_1)
	s_lshl_b64 s[0:1], s[28:29], 3
	s_add_nc_u64 s[4:5], s[10:11], s[0:1]
	s_load_b128 s[0:3], s[4:5], 0x0
	s_wait_xcnt 0x0
	s_mov_b32 s4, exec_lo
	s_wait_kmcnt 0x0
	s_sub_co_i32 s3, s2, s0
	s_delay_alu instid0(SALU_CYCLE_1)
	v_cmpx_gt_i32_e64 s3, v0
	s_cbranch_execz .LBB167_68
; %bb.59:
	s_sub_co_i32 s4, s0, s2
	s_and_b32 s2, s3, 7
	s_cmp_lt_u32 s4, -7
	s_mov_b32 s23, 0
	s_cselect_b32 s4, -1, 0
	s_and_b32 s5, s3, -8
	s_cmp_lg_u32 s2, 0
	s_sub_nc_u64 s[0:1], s[0:1], s[22:23]
	s_cselect_b32 s6, -1, 0
	s_mov_b32 s7, 0
	s_branch .LBB167_61
.LBB167_60:                             ;   in Loop: Header=BB167_61 Depth=1
	v_add_nc_u32_e32 v0, 0x200, v0
	s_delay_alu instid0(VALU_DEP_2) | instskip(NEXT) | instid1(VALU_DEP_2)
	v_lshl_add_u64 v[4:5], v[4:5], 2, s[34:35]
	v_cmp_le_i32_e32 vcc_lo, s3, v0
	s_wait_dscnt 0x0
	global_store_b32 v[4:5], v3, off
	s_or_b32 s7, vcc_lo, s7
	s_wait_xcnt 0x0
	s_and_not1_b32 exec_lo, exec_lo, s7
	s_cbranch_execz .LBB167_68
.LBB167_61:                             ; =>This Loop Header: Depth=1
                                        ;     Child Loop BB167_63 Depth 2
                                        ;     Child Loop BB167_67 Depth 2
	v_lshl_add_u32 v1, v0, 2, 0
	v_mov_b64_e32 v[4:5], s[0:1]
	s_and_not1_b32 vcc_lo, exec_lo, s4
	s_mov_b32 s8, 0
	ds_load_2addr_stride64_b32 v[2:3], v1 offset1:16
	s_cbranch_vccnz .LBB167_65
; %bb.62:                               ;   in Loop: Header=BB167_61 Depth=1
	v_mov_b64_e32 v[4:5], s[0:1]
	s_mov_b32 s9, 0
.LBB167_63:                             ;   Parent Loop BB167_61 Depth=1
                                        ; =>  This Inner Loop Header: Depth=2
	s_delay_alu instid0(SALU_CYCLE_1)
	v_dual_mov_b32 v1, s9 :: v_dual_mov_b32 v11, s23
	v_mov_b32_e32 v17, s23
	s_add_co_i32 s8, s8, 8
	s_add_co_i32 s9, s9, 32
	ds_load_2addr_b32 v[6:7], v1 offset1:1
	ds_load_2addr_b32 v[8:9], v1 offset0:2 offset1:3
	ds_load_2addr_b32 v[12:13], v1 offset0:4 offset1:5
	;; [unrolled: 1-line block ×3, first 2 shown]
	s_cmp_eq_u32 s5, s8
	s_wait_dscnt 0x3
	v_cmp_gt_i32_e32 vcc_lo, v2, v6
	v_cndmask_b32_e64 v10, 0, 1, vcc_lo
	v_cmp_gt_i32_e32 vcc_lo, v2, v7
	v_mov_b32_e32 v7, s23
	s_delay_alu instid0(VALU_DEP_3) | instskip(SKIP_4) | instid1(VALU_DEP_3)
	v_add_nc_u64_e32 v[4:5], v[4:5], v[10:11]
	v_cndmask_b32_e64 v16, 0, 1, vcc_lo
	s_wait_dscnt 0x2
	v_cmp_gt_i32_e32 vcc_lo, v2, v8
	v_cndmask_b32_e64 v6, 0, 1, vcc_lo
	v_add_nc_u64_e32 v[4:5], v[4:5], v[16:17]
	v_cmp_gt_i32_e32 vcc_lo, v2, v9
	v_mov_b32_e32 v9, s23
	v_cndmask_b32_e64 v10, 0, 1, vcc_lo
	s_delay_alu instid0(VALU_DEP_4) | instskip(SKIP_3) | instid1(VALU_DEP_3)
	v_add_nc_u64_e32 v[4:5], v[4:5], v[6:7]
	s_wait_dscnt 0x1
	v_cmp_gt_i32_e32 vcc_lo, v2, v12
	v_cndmask_b32_e64 v6, 0, 1, vcc_lo
	v_add_nc_u64_e32 v[4:5], v[4:5], v[10:11]
	v_cmp_gt_i32_e32 vcc_lo, v2, v13
	v_cndmask_b32_e64 v8, 0, 1, vcc_lo
	s_delay_alu instid0(VALU_DEP_3) | instskip(SKIP_3) | instid1(VALU_DEP_3)
	v_add_nc_u64_e32 v[4:5], v[4:5], v[6:7]
	s_wait_dscnt 0x0
	v_cmp_gt_i32_e32 vcc_lo, v2, v14
	v_cndmask_b32_e64 v6, 0, 1, vcc_lo
	v_add_nc_u64_e32 v[4:5], v[4:5], v[8:9]
	v_cmp_gt_i32_e32 vcc_lo, v2, v15
	v_cndmask_b32_e64 v8, 0, 1, vcc_lo
	s_delay_alu instid0(VALU_DEP_3) | instskip(NEXT) | instid1(VALU_DEP_1)
	v_add_nc_u64_e32 v[4:5], v[4:5], v[6:7]
	v_add_nc_u64_e32 v[4:5], v[4:5], v[8:9]
	s_cbranch_scc0 .LBB167_63
; %bb.64:                               ;   in Loop: Header=BB167_61 Depth=1
	s_mov_b32 s8, s5
.LBB167_65:                             ;   in Loop: Header=BB167_61 Depth=1
	s_and_not1_b32 vcc_lo, exec_lo, s6
	s_cbranch_vccnz .LBB167_60
; %bb.66:                               ;   in Loop: Header=BB167_61 Depth=1
	s_lshl_b32 s8, s8, 2
	s_mov_b32 s9, s2
	s_add_co_i32 s8, s8, 0
.LBB167_67:                             ;   Parent Loop BB167_61 Depth=1
                                        ; =>  This Inner Loop Header: Depth=2
	s_delay_alu instid0(SALU_CYCLE_1)
	v_dual_mov_b32 v1, s8 :: v_dual_mov_b32 v7, s23
	s_add_co_i32 s9, s9, -1
	s_add_co_i32 s8, s8, 4
	s_cmp_lg_u32 s9, 0
	ds_load_b32 v1, v1
	s_wait_dscnt 0x0
	v_cmp_gt_i32_e32 vcc_lo, v2, v1
	v_cndmask_b32_e64 v6, 0, 1, vcc_lo
	s_delay_alu instid0(VALU_DEP_1)
	v_add_nc_u64_e32 v[4:5], v[4:5], v[6:7]
	s_cbranch_scc1 .LBB167_67
	s_branch .LBB167_60
.LBB167_68:
	s_endpgm
	.section	.rodata,"a",@progbits
	.p2align	6, 0x0
	.amdhsa_kernel _ZN9rocsparseL41csrgemm_numeric_fill_block_per_row_kernelILj512ELj32ELj1024ELj137ELj64ElifEEvT5_PKS1_S3_NS_24const_host_device_scalarIT6_EEPKT4_S3_PKS5_S9_S3_SB_S6_S9_S3_SB_S9_S3_PS5_21rocsparse_index_base_SD_SD_SD_bbb
		.amdhsa_group_segment_fixed_size 0
		.amdhsa_private_segment_fixed_size 0
		.amdhsa_kernarg_size 156
		.amdhsa_user_sgpr_count 2
		.amdhsa_user_sgpr_dispatch_ptr 0
		.amdhsa_user_sgpr_queue_ptr 0
		.amdhsa_user_sgpr_kernarg_segment_ptr 1
		.amdhsa_user_sgpr_dispatch_id 0
		.amdhsa_user_sgpr_kernarg_preload_length 0
		.amdhsa_user_sgpr_kernarg_preload_offset 0
		.amdhsa_user_sgpr_private_segment_size 0
		.amdhsa_wavefront_size32 1
		.amdhsa_uses_dynamic_stack 0
		.amdhsa_enable_private_segment 0
		.amdhsa_system_sgpr_workgroup_id_x 1
		.amdhsa_system_sgpr_workgroup_id_y 0
		.amdhsa_system_sgpr_workgroup_id_z 0
		.amdhsa_system_sgpr_workgroup_info 0
		.amdhsa_system_vgpr_workitem_id 0
		.amdhsa_next_free_vgpr 18
		.amdhsa_next_free_sgpr 44
		.amdhsa_named_barrier_count 0
		.amdhsa_reserve_vcc 1
		.amdhsa_float_round_mode_32 0
		.amdhsa_float_round_mode_16_64 0
		.amdhsa_float_denorm_mode_32 3
		.amdhsa_float_denorm_mode_16_64 3
		.amdhsa_fp16_overflow 0
		.amdhsa_memory_ordered 1
		.amdhsa_forward_progress 1
		.amdhsa_inst_pref_size 22
		.amdhsa_round_robin_scheduling 0
		.amdhsa_exception_fp_ieee_invalid_op 0
		.amdhsa_exception_fp_denorm_src 0
		.amdhsa_exception_fp_ieee_div_zero 0
		.amdhsa_exception_fp_ieee_overflow 0
		.amdhsa_exception_fp_ieee_underflow 0
		.amdhsa_exception_fp_ieee_inexact 0
		.amdhsa_exception_int_div_zero 0
	.end_amdhsa_kernel
	.section	.text._ZN9rocsparseL41csrgemm_numeric_fill_block_per_row_kernelILj512ELj32ELj1024ELj137ELj64ElifEEvT5_PKS1_S3_NS_24const_host_device_scalarIT6_EEPKT4_S3_PKS5_S9_S3_SB_S6_S9_S3_SB_S9_S3_PS5_21rocsparse_index_base_SD_SD_SD_bbb,"axG",@progbits,_ZN9rocsparseL41csrgemm_numeric_fill_block_per_row_kernelILj512ELj32ELj1024ELj137ELj64ElifEEvT5_PKS1_S3_NS_24const_host_device_scalarIT6_EEPKT4_S3_PKS5_S9_S3_SB_S6_S9_S3_SB_S9_S3_PS5_21rocsparse_index_base_SD_SD_SD_bbb,comdat
.Lfunc_end167:
	.size	_ZN9rocsparseL41csrgemm_numeric_fill_block_per_row_kernelILj512ELj32ELj1024ELj137ELj64ElifEEvT5_PKS1_S3_NS_24const_host_device_scalarIT6_EEPKT4_S3_PKS5_S9_S3_SB_S6_S9_S3_SB_S9_S3_PS5_21rocsparse_index_base_SD_SD_SD_bbb, .Lfunc_end167-_ZN9rocsparseL41csrgemm_numeric_fill_block_per_row_kernelILj512ELj32ELj1024ELj137ELj64ElifEEvT5_PKS1_S3_NS_24const_host_device_scalarIT6_EEPKT4_S3_PKS5_S9_S3_SB_S6_S9_S3_SB_S9_S3_PS5_21rocsparse_index_base_SD_SD_SD_bbb
                                        ; -- End function
	.set _ZN9rocsparseL41csrgemm_numeric_fill_block_per_row_kernelILj512ELj32ELj1024ELj137ELj64ElifEEvT5_PKS1_S3_NS_24const_host_device_scalarIT6_EEPKT4_S3_PKS5_S9_S3_SB_S6_S9_S3_SB_S9_S3_PS5_21rocsparse_index_base_SD_SD_SD_bbb.num_vgpr, 18
	.set _ZN9rocsparseL41csrgemm_numeric_fill_block_per_row_kernelILj512ELj32ELj1024ELj137ELj64ElifEEvT5_PKS1_S3_NS_24const_host_device_scalarIT6_EEPKT4_S3_PKS5_S9_S3_SB_S6_S9_S3_SB_S9_S3_PS5_21rocsparse_index_base_SD_SD_SD_bbb.num_agpr, 0
	.set _ZN9rocsparseL41csrgemm_numeric_fill_block_per_row_kernelILj512ELj32ELj1024ELj137ELj64ElifEEvT5_PKS1_S3_NS_24const_host_device_scalarIT6_EEPKT4_S3_PKS5_S9_S3_SB_S6_S9_S3_SB_S9_S3_PS5_21rocsparse_index_base_SD_SD_SD_bbb.numbered_sgpr, 44
	.set _ZN9rocsparseL41csrgemm_numeric_fill_block_per_row_kernelILj512ELj32ELj1024ELj137ELj64ElifEEvT5_PKS1_S3_NS_24const_host_device_scalarIT6_EEPKT4_S3_PKS5_S9_S3_SB_S6_S9_S3_SB_S9_S3_PS5_21rocsparse_index_base_SD_SD_SD_bbb.num_named_barrier, 0
	.set _ZN9rocsparseL41csrgemm_numeric_fill_block_per_row_kernelILj512ELj32ELj1024ELj137ELj64ElifEEvT5_PKS1_S3_NS_24const_host_device_scalarIT6_EEPKT4_S3_PKS5_S9_S3_SB_S6_S9_S3_SB_S9_S3_PS5_21rocsparse_index_base_SD_SD_SD_bbb.private_seg_size, 0
	.set _ZN9rocsparseL41csrgemm_numeric_fill_block_per_row_kernelILj512ELj32ELj1024ELj137ELj64ElifEEvT5_PKS1_S3_NS_24const_host_device_scalarIT6_EEPKT4_S3_PKS5_S9_S3_SB_S6_S9_S3_SB_S9_S3_PS5_21rocsparse_index_base_SD_SD_SD_bbb.uses_vcc, 1
	.set _ZN9rocsparseL41csrgemm_numeric_fill_block_per_row_kernelILj512ELj32ELj1024ELj137ELj64ElifEEvT5_PKS1_S3_NS_24const_host_device_scalarIT6_EEPKT4_S3_PKS5_S9_S3_SB_S6_S9_S3_SB_S9_S3_PS5_21rocsparse_index_base_SD_SD_SD_bbb.uses_flat_scratch, 0
	.set _ZN9rocsparseL41csrgemm_numeric_fill_block_per_row_kernelILj512ELj32ELj1024ELj137ELj64ElifEEvT5_PKS1_S3_NS_24const_host_device_scalarIT6_EEPKT4_S3_PKS5_S9_S3_SB_S6_S9_S3_SB_S9_S3_PS5_21rocsparse_index_base_SD_SD_SD_bbb.has_dyn_sized_stack, 0
	.set _ZN9rocsparseL41csrgemm_numeric_fill_block_per_row_kernelILj512ELj32ELj1024ELj137ELj64ElifEEvT5_PKS1_S3_NS_24const_host_device_scalarIT6_EEPKT4_S3_PKS5_S9_S3_SB_S6_S9_S3_SB_S9_S3_PS5_21rocsparse_index_base_SD_SD_SD_bbb.has_recursion, 0
	.set _ZN9rocsparseL41csrgemm_numeric_fill_block_per_row_kernelILj512ELj32ELj1024ELj137ELj64ElifEEvT5_PKS1_S3_NS_24const_host_device_scalarIT6_EEPKT4_S3_PKS5_S9_S3_SB_S6_S9_S3_SB_S9_S3_PS5_21rocsparse_index_base_SD_SD_SD_bbb.has_indirect_call, 0
	.section	.AMDGPU.csdata,"",@progbits
; Kernel info:
; codeLenInByte = 2744
; TotalNumSgprs: 46
; NumVgprs: 18
; ScratchSize: 0
; MemoryBound: 0
; FloatMode: 240
; IeeeMode: 1
; LDSByteSize: 0 bytes/workgroup (compile time only)
; SGPRBlocks: 0
; VGPRBlocks: 1
; NumSGPRsForWavesPerEU: 46
; NumVGPRsForWavesPerEU: 18
; NamedBarCnt: 0
; Occupancy: 16
; WaveLimiterHint : 1
; COMPUTE_PGM_RSRC2:SCRATCH_EN: 0
; COMPUTE_PGM_RSRC2:USER_SGPR: 2
; COMPUTE_PGM_RSRC2:TRAP_HANDLER: 0
; COMPUTE_PGM_RSRC2:TGID_X_EN: 1
; COMPUTE_PGM_RSRC2:TGID_Y_EN: 0
; COMPUTE_PGM_RSRC2:TGID_Z_EN: 0
; COMPUTE_PGM_RSRC2:TIDIG_COMP_CNT: 0
	.section	.text._ZN9rocsparseL41csrgemm_numeric_fill_block_per_row_kernelILj1024ELj32ELj2048ELj137ELj32ElifEEvT5_PKS1_S3_NS_24const_host_device_scalarIT6_EEPKT4_S3_PKS5_S9_S3_SB_S6_S9_S3_SB_S9_S3_PS5_21rocsparse_index_base_SD_SD_SD_bbb,"axG",@progbits,_ZN9rocsparseL41csrgemm_numeric_fill_block_per_row_kernelILj1024ELj32ELj2048ELj137ELj32ElifEEvT5_PKS1_S3_NS_24const_host_device_scalarIT6_EEPKT4_S3_PKS5_S9_S3_SB_S6_S9_S3_SB_S9_S3_PS5_21rocsparse_index_base_SD_SD_SD_bbb,comdat
	.globl	_ZN9rocsparseL41csrgemm_numeric_fill_block_per_row_kernelILj1024ELj32ELj2048ELj137ELj32ElifEEvT5_PKS1_S3_NS_24const_host_device_scalarIT6_EEPKT4_S3_PKS5_S9_S3_SB_S6_S9_S3_SB_S9_S3_PS5_21rocsparse_index_base_SD_SD_SD_bbb ; -- Begin function _ZN9rocsparseL41csrgemm_numeric_fill_block_per_row_kernelILj1024ELj32ELj2048ELj137ELj32ElifEEvT5_PKS1_S3_NS_24const_host_device_scalarIT6_EEPKT4_S3_PKS5_S9_S3_SB_S6_S9_S3_SB_S9_S3_PS5_21rocsparse_index_base_SD_SD_SD_bbb
	.p2align	8
	.type	_ZN9rocsparseL41csrgemm_numeric_fill_block_per_row_kernelILj1024ELj32ELj2048ELj137ELj32ElifEEvT5_PKS1_S3_NS_24const_host_device_scalarIT6_EEPKT4_S3_PKS5_S9_S3_SB_S6_S9_S3_SB_S9_S3_PS5_21rocsparse_index_base_SD_SD_SD_bbb,@function
_ZN9rocsparseL41csrgemm_numeric_fill_block_per_row_kernelILj1024ELj32ELj2048ELj137ELj32ElifEEvT5_PKS1_S3_NS_24const_host_device_scalarIT6_EEPKT4_S3_PKS5_S9_S3_SB_S6_S9_S3_SB_S9_S3_PS5_21rocsparse_index_base_SD_SD_SD_bbb: ; @_ZN9rocsparseL41csrgemm_numeric_fill_block_per_row_kernelILj1024ELj32ELj2048ELj137ELj32ElifEEvT5_PKS1_S3_NS_24const_host_device_scalarIT6_EEPKT4_S3_PKS5_S9_S3_SB_S6_S9_S3_SB_S9_S3_PS5_21rocsparse_index_base_SD_SD_SD_bbb
; %bb.0:
	s_clause 0x3
	s_load_b32 s6, s[0:1], 0x98
	s_load_b64 s[4:5], s[0:1], 0x18
	s_load_b128 s[44:47], s[0:1], 0x88
	s_load_b64 s[2:3], s[0:1], 0x50
	s_wait_kmcnt 0x0
	s_and_b32 s8, 1, s6
	s_bitcmp1_b32 s6, 16
	s_cselect_b32 s7, -1, 0
	s_cmp_eq_u32 s8, 1
	s_cselect_b32 s23, -1, 0
	s_delay_alu instid0(SALU_CYCLE_1) | instskip(SKIP_2) | instid1(SALU_CYCLE_1)
	s_and_b32 s8, s23, exec_lo
	s_cselect_b32 s21, s4, 0
	s_xor_b32 s8, s23, -1
	s_or_b32 s8, s7, s8
	s_delay_alu instid0(SALU_CYCLE_1)
	s_and_b32 vcc_lo, exec_lo, s8
	s_cbranch_vccnz .LBB168_2
; %bb.1:
	s_load_b32 s21, s[4:5], 0x0
.LBB168_2:
	s_load_b128 s[16:19], s[0:1], 0x8
	s_bitcmp1_b32 s6, 8
	s_cselect_b32 s22, -1, 0
	s_wait_xcnt 0x0
	s_and_b32 s4, s22, exec_lo
	s_cselect_b32 s20, s2, 0
	s_xor_b32 s4, s22, -1
	s_delay_alu instid0(SALU_CYCLE_1) | instskip(NEXT) | instid1(SALU_CYCLE_1)
	s_or_b32 s4, s7, s4
	s_and_b32 vcc_lo, exec_lo, s4
	s_cbranch_vccnz .LBB168_4
; %bb.3:
	s_load_b32 s20, s[2:3], 0x0
.LBB168_4:
	s_clause 0x4
	s_load_b32 s33, s[0:1], 0x0
	s_load_b64 s[34:35], s[0:1], 0x80
	s_load_b256 s[36:43], s[0:1], 0x58
	s_load_b128 s[12:15], s[0:1], 0x40
	s_load_b256 s[4:11], s[0:1], 0x20
	v_lshl_add_u32 v12, v0, 2, 0
	v_or_b32_e32 v13, 0xfffffc00, v0
	v_mov_b32_e32 v1, 0
	s_wait_xcnt 0x0
	s_mov_b32 s0, 0
	s_delay_alu instid0(VALU_DEP_2)
	v_dual_mov_b32 v2, v12 :: v_dual_mov_b32 v4, v13
	s_wait_kmcnt 0x0
	v_mov_b32_e32 v3, s33
.LBB168_5:                              ; =>This Inner Loop Header: Depth=1
	s_delay_alu instid0(VALU_DEP_2) | instskip(SKIP_4) | instid1(SALU_CYCLE_1)
	v_add_co_u32 v4, s1, 0x400, v4
	s_xor_b32 s1, s1, -1
	ds_store_2addr_stride64_b32 v2, v3, v1 offset1:32
	v_add_nc_u32_e32 v2, 0x1000, v2
	s_and_b32 s1, exec_lo, s1
	s_or_b32 s0, s1, s0
	s_delay_alu instid0(SALU_CYCLE_1)
	s_and_not1_b32 exec_lo, exec_lo, s0
	s_cbranch_execnz .LBB168_5
; %bb.6:
	s_or_b32 exec_lo, exec_lo, s0
	s_wait_dscnt 0x0
	s_barrier_signal -1
	s_barrier_wait -1
	s_load_b32 s0, s[16:17], 0x0
	s_bfe_u32 s1, ttmp6, 0x4000c
	s_and_b32 s2, ttmp6, 15
	s_add_co_i32 s1, s1, 1
	s_getreg_b32 s3, hwreg(HW_REG_IB_STS2, 6, 4)
	s_mul_i32 s1, ttmp9, s1
	v_lshrrev_b32_e32 v2, 5, v0
	s_add_co_i32 s2, s2, s1
	s_cmp_eq_u32 s3, 0
	s_cselect_b32 s1, ttmp9, s2
	s_and_b32 vcc_lo, s23, exec_lo
	s_wait_kmcnt 0x0
	s_add_co_i32 s0, s0, s1
	s_mov_b32 s1, 0
	s_load_b32 s48, s[18:19], s0 offset:0x0 scale_offset
	s_cbranch_vccz .LBB168_24
; %bb.7:
	s_wait_kmcnt 0x0
	s_ashr_i32 s49, s48, 31
	v_mov_b32_e32 v3, 0
	s_lshl_b64 s[2:3], s[48:49], 3
	s_mov_b32 s0, s44
	s_add_nc_u64 s[2:3], s[4:5], s[2:3]
	s_mov_b32 s4, exec_lo
	s_load_b128 s[16:19], s[2:3], 0x0
	v_sub_nc_u64_e64 v[4:5], v[2:3], s[0:1]
	s_wait_kmcnt 0x0
	s_delay_alu instid0(VALU_DEP_1)
	v_add_nc_u64_e32 v[4:5], s[16:17], v[4:5]
	s_sub_nc_u64 s[0:1], s[18:19], s[0:1]
	s_delay_alu instid0(VALU_DEP_1) | instid1(SALU_CYCLE_1)
	v_cmpx_gt_i64_e64 s[0:1], v[4:5]
	s_cbranch_execz .LBB168_23
; %bb.8:
	v_dual_mov_b32 v7, v3 :: v_dual_bitop2_b32 v6, 31, v0 bitop3:0x40
	s_mov_b32 s3, 0
	s_mov_b32 s2, s45
	;; [unrolled: 1-line block ×3, first 2 shown]
	s_delay_alu instid0(VALU_DEP_1)
	v_sub_nc_u64_e64 v[6:7], v[6:7], s[2:3]
	s_branch .LBB168_10
.LBB168_9:                              ;   in Loop: Header=BB168_10 Depth=1
	s_or_b32 exec_lo, exec_lo, s16
	v_add_nc_u64_e32 v[4:5], 32, v[4:5]
	s_delay_alu instid0(VALU_DEP_1) | instskip(SKIP_1) | instid1(SALU_CYCLE_1)
	v_cmp_le_i64_e32 vcc_lo, s[0:1], v[4:5]
	s_or_b32 s5, vcc_lo, s5
	s_and_not1_b32 exec_lo, exec_lo, s5
	s_cbranch_execz .LBB168_23
.LBB168_10:                             ; =>This Loop Header: Depth=1
                                        ;     Child Loop BB168_14 Depth 2
                                        ;       Child Loop BB168_17 Depth 3
	v_lshl_add_u64 v[8:9], v[4:5], 2, s[6:7]
	s_mov_b32 s16, exec_lo
	global_load_b32 v1, v[8:9], off
	s_wait_loadcnt 0x0
	s_wait_xcnt 0x0
	v_subrev_nc_u32_e32 v8, s44, v1
	s_delay_alu instid0(VALU_DEP_1) | instskip(NEXT) | instid1(VALU_DEP_1)
	v_ashrrev_i32_e32 v9, 31, v8
	v_lshl_add_u64 v[8:9], v[8:9], 3, s[10:11]
	global_load_b128 v[14:17], v[8:9], off
	s_wait_loadcnt 0x0
	s_wait_xcnt 0x0
	v_sub_nc_u64_e64 v[8:9], v[16:17], s[2:3]
	v_add_nc_u64_e32 v[10:11], v[14:15], v[6:7]
	s_delay_alu instid0(VALU_DEP_1)
	v_cmpx_lt_i64_e64 v[10:11], v[8:9]
	s_cbranch_execz .LBB168_9
; %bb.11:                               ;   in Loop: Header=BB168_10 Depth=1
	v_lshl_add_u64 v[14:15], v[4:5], 2, s[8:9]
	s_mov_b32 s17, 0
	global_load_b32 v1, v[14:15], off
	s_wait_loadcnt 0x0
	v_mul_f32_e32 v1, s21, v1
	s_branch .LBB168_14
.LBB168_12:                             ;   in Loop: Header=BB168_14 Depth=2
	s_or_b32 exec_lo, exec_lo, s19
.LBB168_13:                             ;   in Loop: Header=BB168_14 Depth=2
	s_delay_alu instid0(SALU_CYCLE_1)
	s_or_b32 exec_lo, exec_lo, s18
	s_wait_loadcnt 0x0
	v_mul_f32_e32 v3, v1, v3
	v_lshl_add_u32 v14, v14, 2, 0
	v_add_nc_u64_e32 v[10:11], 32, v[10:11]
	ds_add_f32 v14, v3 offset:8192
	v_cmp_ge_i64_e32 vcc_lo, v[10:11], v[8:9]
	s_or_b32 s17, vcc_lo, s17
	s_delay_alu instid0(SALU_CYCLE_1)
	s_and_not1_b32 exec_lo, exec_lo, s17
	s_cbranch_execz .LBB168_9
.LBB168_14:                             ;   Parent Loop BB168_10 Depth=1
                                        ; =>  This Loop Header: Depth=2
                                        ;       Child Loop BB168_17 Depth 3
	s_wait_xcnt 0x0
	v_lshlrev_b64_e32 v[14:15], 2, v[10:11]
	s_mov_b32 s18, exec_lo
	s_delay_alu instid0(VALU_DEP_1)
	v_add_nc_u64_e32 v[16:17], s[12:13], v[14:15]
	v_add_nc_u64_e32 v[14:15], s[14:15], v[14:15]
	global_load_b32 v16, v[16:17], off
	global_load_b32 v3, v[14:15], off
	s_wait_loadcnt 0x1
	s_wait_xcnt 0x0
	v_subrev_nc_u32_e32 v15, s45, v16
	s_delay_alu instid0(VALU_DEP_1) | instskip(NEXT) | instid1(VALU_DEP_1)
	v_mul_lo_u32 v14, 0x89, v15
	v_and_b32_e32 v14, 0x7ff, v14
	s_delay_alu instid0(VALU_DEP_1)
	v_lshl_add_u32 v16, v14, 2, 0
	ds_load_b32 v17, v16
	s_wait_dscnt 0x0
	v_cmpx_ne_u32_e64 v17, v15
	s_cbranch_execz .LBB168_13
; %bb.15:                               ;   in Loop: Header=BB168_14 Depth=2
	s_mov_b32 s19, 0
	s_branch .LBB168_17
.LBB168_16:                             ;   in Loop: Header=BB168_17 Depth=3
	s_or_b32 exec_lo, exec_lo, s25
	s_delay_alu instid0(SALU_CYCLE_1) | instskip(NEXT) | instid1(SALU_CYCLE_1)
	s_and_b32 s23, exec_lo, s24
	s_or_b32 s19, s23, s19
	s_delay_alu instid0(SALU_CYCLE_1)
	s_and_not1_b32 exec_lo, exec_lo, s19
	s_cbranch_execz .LBB168_12
.LBB168_17:                             ;   Parent Loop BB168_10 Depth=1
                                        ;     Parent Loop BB168_14 Depth=2
                                        ; =>    This Inner Loop Header: Depth=3
	s_mov_b32 s23, 0
	s_mov_b32 s24, exec_lo
	v_cmpx_ne_u32_e64 s33, v17
	s_xor_b32 s24, exec_lo, s24
	s_cbranch_execz .LBB168_19
; %bb.18:                               ;   in Loop: Header=BB168_17 Depth=3
	v_add_nc_u32_e32 v14, 1, v14
	s_mov_b32 s23, exec_lo
                                        ; implicit-def: $vgpr16
	s_delay_alu instid0(VALU_DEP_1)
	v_and_b32_e32 v14, 0x7ff, v14
	s_and_not1_saveexec_b32 s24, s24
	s_cbranch_execz .LBB168_21
	s_branch .LBB168_20
.LBB168_19:                             ;   in Loop: Header=BB168_17 Depth=3
	s_and_not1_saveexec_b32 s24, s24
	s_cbranch_execz .LBB168_21
.LBB168_20:                             ;   in Loop: Header=BB168_17 Depth=3
	v_mov_b32_e32 v17, s33
	s_and_not1_b32 s23, s23, exec_lo
	ds_cmpstore_rtn_b32 v16, v16, v15, v17
	s_wait_dscnt 0x0
	v_cmp_ne_u32_e32 vcc_lo, s33, v16
	s_and_b32 s25, vcc_lo, exec_lo
	s_delay_alu instid0(SALU_CYCLE_1)
	s_or_b32 s23, s23, s25
.LBB168_21:                             ;   in Loop: Header=BB168_17 Depth=3
	s_or_b32 exec_lo, exec_lo, s24
	s_mov_b32 s24, -1
                                        ; implicit-def: $vgpr16
                                        ; implicit-def: $vgpr17
	s_and_saveexec_b32 s25, s23
	s_cbranch_execz .LBB168_16
; %bb.22:                               ;   in Loop: Header=BB168_17 Depth=3
	v_lshl_add_u32 v16, v14, 2, 0
	ds_load_b32 v17, v16
	s_wait_dscnt 0x0
	v_cmp_eq_u32_e32 vcc_lo, v17, v15
	s_or_not1_b32 s24, vcc_lo, exec_lo
	s_branch .LBB168_16
.LBB168_23:
	s_or_b32 exec_lo, exec_lo, s4
.LBB168_24:
	s_delay_alu instid0(SALU_CYCLE_1)
	s_and_not1_b32 vcc_lo, exec_lo, s22
	s_cbranch_vccnz .LBB168_27
; %bb.25:
	s_wait_kmcnt 0x0
	s_ashr_i32 s49, s48, 31
	v_mov_b32_e32 v1, 0
	s_lshl_b64 s[0:1], s[48:49], 3
	s_delay_alu instid0(SALU_CYCLE_1) | instskip(SKIP_4) | instid1(SALU_CYCLE_1)
	s_add_nc_u64 s[0:1], s[36:37], s[0:1]
	s_load_b128 s[4:7], s[0:1], 0x0
	s_wait_xcnt 0x0
	s_mov_b32 s1, 0
	s_mov_b32 s0, s47
	v_sub_nc_u64_e64 v[4:5], v[0:1], s[0:1]
	s_wait_kmcnt 0x0
	s_delay_alu instid0(VALU_DEP_1) | instskip(SKIP_2) | instid1(VALU_DEP_1)
	v_add_nc_u64_e32 v[4:5], s[4:5], v[4:5]
	s_sub_nc_u64 s[2:3], s[6:7], s[0:1]
	s_mov_b32 s0, exec_lo
	v_cmpx_gt_i64_e64 s[2:3], v[4:5]
	s_cbranch_execnz .LBB168_97
.LBB168_26:
	s_or_b32 exec_lo, exec_lo, s0
.LBB168_27:
	v_mbcnt_lo_u32_b32 v4, -1, 0
	v_mov_b32_e32 v1, 0
	v_lshl_add_u32 v3, v2, 2, 0
	s_wait_xcnt 0x0
	v_cmp_lt_u32_e64 s0, 31, v0
	v_cmp_lt_u32_e64 s1, 63, v0
	v_xor_b32_e32 v2, 31, v4
	v_cmp_lt_u32_e64 s2, 0x5f, v0
	v_cmp_lt_u32_e64 s3, 0x7f, v0
	;; [unrolled: 1-line block ×4, first 2 shown]
	v_lshrrev_b32_e64 v2, v2, -1
	v_cmp_lt_u32_e64 s6, 0xdf, v0
	v_cmp_lt_u32_e64 s7, 0xff, v0
	;; [unrolled: 1-line block ×25, first 2 shown]
	v_mov_b32_e32 v6, 0
	s_mov_b32 s36, 0
	s_wait_dscnt 0x0
	v_cmp_eq_u32_e32 vcc_lo, 0x3ff, v0
	s_barrier_signal -1
	s_barrier_wait -1
	s_branch .LBB168_29
.LBB168_28:                             ;   in Loop: Header=BB168_29 Depth=1
	s_or_b32 exec_lo, exec_lo, s31
	s_wait_dscnt 0x0
	s_barrier_signal -1
	s_barrier_wait -1
	ds_load_b32 v4, v1 offset:16508
	v_add_co_u32 v13, s31, 0x400, v13
	s_xor_b32 s31, s31, -1
	v_add_nc_u32_e32 v12, 0x1000, v12
	s_and_b32 s31, exec_lo, s31
	s_delay_alu instid0(SALU_CYCLE_1)
	s_or_b32 s36, s31, s36
	s_wait_dscnt 0x0
	v_add_nc_u32_e32 v6, v4, v6
	s_and_not1_b32 exec_lo, exec_lo, s36
	s_cbranch_execz .LBB168_106
.LBB168_29:                             ; =>This Inner Loop Header: Depth=1
	ds_load_2addr_stride64_b32 v[4:5], v12 offset1:32
	s_wait_dscnt 0x0
	s_barrier_signal -1
	s_barrier_wait -1
	v_cmp_gt_i32_e64 s31, s33, v4
	s_bcnt1_i32_b32 s37, s31
	s_delay_alu instid0(SALU_CYCLE_1) | instskip(NEXT) | instid1(VALU_DEP_1)
	v_dual_mov_b32 v8, s37 :: v_dual_bitop2_b32 v7, s31, v2 bitop3:0x40
	v_bcnt_u32_b32 v7, v7, 0
	ds_store_b32 v3, v8 offset:16384
	s_wait_dscnt 0x0
	s_barrier_signal -1
	s_barrier_wait -1
	s_and_saveexec_b32 s37, s0
	s_cbranch_execz .LBB168_62
; %bb.30:                               ;   in Loop: Header=BB168_29 Depth=1
	ds_load_b32 v8, v1 offset:16384
	s_wait_dscnt 0x0
	v_add_nc_u32_e32 v7, v8, v7
	s_or_b32 exec_lo, exec_lo, s37
	s_and_saveexec_b32 s37, s1
	s_cbranch_execnz .LBB168_63
.LBB168_31:                             ;   in Loop: Header=BB168_29 Depth=1
	s_or_b32 exec_lo, exec_lo, s37
	s_and_saveexec_b32 s37, s2
	s_cbranch_execz .LBB168_64
.LBB168_32:                             ;   in Loop: Header=BB168_29 Depth=1
	ds_load_b32 v8, v1 offset:16392
	s_wait_dscnt 0x0
	v_add_nc_u32_e32 v7, v8, v7
	s_or_b32 exec_lo, exec_lo, s37
	s_and_saveexec_b32 s37, s3
	s_cbranch_execnz .LBB168_65
.LBB168_33:                             ;   in Loop: Header=BB168_29 Depth=1
	s_or_b32 exec_lo, exec_lo, s37
	s_and_saveexec_b32 s37, s4
	s_cbranch_execz .LBB168_66
.LBB168_34:                             ;   in Loop: Header=BB168_29 Depth=1
	ds_load_b32 v8, v1 offset:16400
	s_wait_dscnt 0x0
	v_add_nc_u32_e32 v7, v8, v7
	s_or_b32 exec_lo, exec_lo, s37
	s_and_saveexec_b32 s37, s5
	s_cbranch_execnz .LBB168_67
.LBB168_35:                             ;   in Loop: Header=BB168_29 Depth=1
	s_or_b32 exec_lo, exec_lo, s37
	s_and_saveexec_b32 s37, s6
	s_cbranch_execz .LBB168_68
.LBB168_36:                             ;   in Loop: Header=BB168_29 Depth=1
	ds_load_b32 v8, v1 offset:16408
	s_wait_dscnt 0x0
	v_add_nc_u32_e32 v7, v8, v7
	s_or_b32 exec_lo, exec_lo, s37
	s_and_saveexec_b32 s37, s7
	s_cbranch_execnz .LBB168_69
.LBB168_37:                             ;   in Loop: Header=BB168_29 Depth=1
	s_or_b32 exec_lo, exec_lo, s37
	s_and_saveexec_b32 s37, s8
	s_cbranch_execz .LBB168_70
.LBB168_38:                             ;   in Loop: Header=BB168_29 Depth=1
	ds_load_b32 v8, v1 offset:16416
	s_wait_dscnt 0x0
	v_add_nc_u32_e32 v7, v8, v7
	s_or_b32 exec_lo, exec_lo, s37
	s_and_saveexec_b32 s37, s9
	s_cbranch_execnz .LBB168_71
.LBB168_39:                             ;   in Loop: Header=BB168_29 Depth=1
	s_or_b32 exec_lo, exec_lo, s37
	s_and_saveexec_b32 s37, s10
	s_cbranch_execz .LBB168_72
.LBB168_40:                             ;   in Loop: Header=BB168_29 Depth=1
	ds_load_b32 v8, v1 offset:16424
	s_wait_dscnt 0x0
	v_add_nc_u32_e32 v7, v8, v7
	s_or_b32 exec_lo, exec_lo, s37
	s_and_saveexec_b32 s37, s11
	s_cbranch_execnz .LBB168_73
.LBB168_41:                             ;   in Loop: Header=BB168_29 Depth=1
	s_or_b32 exec_lo, exec_lo, s37
	s_and_saveexec_b32 s37, s12
	s_cbranch_execz .LBB168_74
.LBB168_42:                             ;   in Loop: Header=BB168_29 Depth=1
	ds_load_b32 v8, v1 offset:16432
	s_wait_dscnt 0x0
	v_add_nc_u32_e32 v7, v8, v7
	s_or_b32 exec_lo, exec_lo, s37
	s_and_saveexec_b32 s37, s13
	s_cbranch_execnz .LBB168_75
.LBB168_43:                             ;   in Loop: Header=BB168_29 Depth=1
	s_or_b32 exec_lo, exec_lo, s37
	s_and_saveexec_b32 s37, s14
	s_cbranch_execz .LBB168_76
.LBB168_44:                             ;   in Loop: Header=BB168_29 Depth=1
	ds_load_b32 v8, v1 offset:16440
	s_wait_dscnt 0x0
	v_add_nc_u32_e32 v7, v8, v7
	s_or_b32 exec_lo, exec_lo, s37
	s_and_saveexec_b32 s37, s15
	s_cbranch_execnz .LBB168_77
.LBB168_45:                             ;   in Loop: Header=BB168_29 Depth=1
	s_or_b32 exec_lo, exec_lo, s37
	s_and_saveexec_b32 s37, s16
	s_cbranch_execz .LBB168_78
.LBB168_46:                             ;   in Loop: Header=BB168_29 Depth=1
	ds_load_b32 v8, v1 offset:16448
	s_wait_dscnt 0x0
	v_add_nc_u32_e32 v7, v8, v7
	s_or_b32 exec_lo, exec_lo, s37
	s_and_saveexec_b32 s37, s17
	s_cbranch_execnz .LBB168_79
.LBB168_47:                             ;   in Loop: Header=BB168_29 Depth=1
	s_or_b32 exec_lo, exec_lo, s37
	s_and_saveexec_b32 s37, s18
	s_cbranch_execz .LBB168_80
.LBB168_48:                             ;   in Loop: Header=BB168_29 Depth=1
	ds_load_b32 v8, v1 offset:16456
	s_wait_dscnt 0x0
	v_add_nc_u32_e32 v7, v8, v7
	s_or_b32 exec_lo, exec_lo, s37
	s_and_saveexec_b32 s37, s19
	s_cbranch_execnz .LBB168_81
.LBB168_49:                             ;   in Loop: Header=BB168_29 Depth=1
	s_or_b32 exec_lo, exec_lo, s37
	s_and_saveexec_b32 s37, s20
	s_cbranch_execz .LBB168_82
.LBB168_50:                             ;   in Loop: Header=BB168_29 Depth=1
	ds_load_b32 v8, v1 offset:16464
	s_wait_dscnt 0x0
	v_add_nc_u32_e32 v7, v8, v7
	s_or_b32 exec_lo, exec_lo, s37
	s_and_saveexec_b32 s37, s21
	s_cbranch_execnz .LBB168_83
.LBB168_51:                             ;   in Loop: Header=BB168_29 Depth=1
	s_or_b32 exec_lo, exec_lo, s37
	s_and_saveexec_b32 s37, s22
	s_cbranch_execz .LBB168_84
.LBB168_52:                             ;   in Loop: Header=BB168_29 Depth=1
	ds_load_b32 v8, v1 offset:16472
	s_wait_dscnt 0x0
	v_add_nc_u32_e32 v7, v8, v7
	s_or_b32 exec_lo, exec_lo, s37
	s_and_saveexec_b32 s37, s23
	s_cbranch_execnz .LBB168_85
.LBB168_53:                             ;   in Loop: Header=BB168_29 Depth=1
	s_or_b32 exec_lo, exec_lo, s37
	s_and_saveexec_b32 s37, s24
	s_cbranch_execz .LBB168_86
.LBB168_54:                             ;   in Loop: Header=BB168_29 Depth=1
	ds_load_b32 v8, v1 offset:16480
	s_wait_dscnt 0x0
	v_add_nc_u32_e32 v7, v8, v7
	s_or_b32 exec_lo, exec_lo, s37
	s_and_saveexec_b32 s37, s25
	s_cbranch_execnz .LBB168_87
.LBB168_55:                             ;   in Loop: Header=BB168_29 Depth=1
	s_or_b32 exec_lo, exec_lo, s37
	s_and_saveexec_b32 s37, s26
	s_cbranch_execz .LBB168_88
.LBB168_56:                             ;   in Loop: Header=BB168_29 Depth=1
	ds_load_b32 v8, v1 offset:16488
	s_wait_dscnt 0x0
	v_add_nc_u32_e32 v7, v8, v7
	s_or_b32 exec_lo, exec_lo, s37
	s_and_saveexec_b32 s37, s27
	s_cbranch_execnz .LBB168_89
.LBB168_57:                             ;   in Loop: Header=BB168_29 Depth=1
	s_or_b32 exec_lo, exec_lo, s37
	s_and_saveexec_b32 s37, s28
	s_cbranch_execz .LBB168_90
.LBB168_58:                             ;   in Loop: Header=BB168_29 Depth=1
	ds_load_b32 v8, v1 offset:16496
	s_wait_dscnt 0x0
	v_add_nc_u32_e32 v7, v8, v7
	s_or_b32 exec_lo, exec_lo, s37
	s_and_saveexec_b32 s37, s29
	s_cbranch_execnz .LBB168_91
.LBB168_59:                             ;   in Loop: Header=BB168_29 Depth=1
	s_or_b32 exec_lo, exec_lo, s37
	s_and_saveexec_b32 s37, s30
	s_cbranch_execz .LBB168_92
.LBB168_60:                             ;   in Loop: Header=BB168_29 Depth=1
	ds_load_b32 v8, v1 offset:16504
	s_wait_dscnt 0x0
	v_add_nc_u32_e32 v7, v8, v7
	s_or_b32 exec_lo, exec_lo, s37
	s_and_saveexec_b32 s37, s31
	s_cbranch_execnz .LBB168_93
.LBB168_61:                             ;   in Loop: Header=BB168_29 Depth=1
	s_or_b32 exec_lo, exec_lo, s37
	s_and_saveexec_b32 s31, vcc_lo
	s_cbranch_execz .LBB168_28
	s_branch .LBB168_94
.LBB168_62:                             ;   in Loop: Header=BB168_29 Depth=1
	s_or_b32 exec_lo, exec_lo, s37
	s_and_saveexec_b32 s37, s1
	s_cbranch_execz .LBB168_31
.LBB168_63:                             ;   in Loop: Header=BB168_29 Depth=1
	ds_load_b32 v8, v1 offset:16388
	s_wait_dscnt 0x0
	v_add_nc_u32_e32 v7, v8, v7
	s_or_b32 exec_lo, exec_lo, s37
	s_and_saveexec_b32 s37, s2
	s_cbranch_execnz .LBB168_32
.LBB168_64:                             ;   in Loop: Header=BB168_29 Depth=1
	s_or_b32 exec_lo, exec_lo, s37
	s_and_saveexec_b32 s37, s3
	s_cbranch_execz .LBB168_33
.LBB168_65:                             ;   in Loop: Header=BB168_29 Depth=1
	ds_load_b32 v8, v1 offset:16396
	s_wait_dscnt 0x0
	v_add_nc_u32_e32 v7, v8, v7
	s_or_b32 exec_lo, exec_lo, s37
	s_and_saveexec_b32 s37, s4
	s_cbranch_execnz .LBB168_34
.LBB168_66:                             ;   in Loop: Header=BB168_29 Depth=1
	s_or_b32 exec_lo, exec_lo, s37
	s_and_saveexec_b32 s37, s5
	s_cbranch_execz .LBB168_35
.LBB168_67:                             ;   in Loop: Header=BB168_29 Depth=1
	ds_load_b32 v8, v1 offset:16404
	s_wait_dscnt 0x0
	v_add_nc_u32_e32 v7, v8, v7
	s_or_b32 exec_lo, exec_lo, s37
	s_and_saveexec_b32 s37, s6
	s_cbranch_execnz .LBB168_36
.LBB168_68:                             ;   in Loop: Header=BB168_29 Depth=1
	s_or_b32 exec_lo, exec_lo, s37
	s_and_saveexec_b32 s37, s7
	s_cbranch_execz .LBB168_37
.LBB168_69:                             ;   in Loop: Header=BB168_29 Depth=1
	ds_load_b32 v8, v1 offset:16412
	s_wait_dscnt 0x0
	v_add_nc_u32_e32 v7, v8, v7
	s_or_b32 exec_lo, exec_lo, s37
	s_and_saveexec_b32 s37, s8
	s_cbranch_execnz .LBB168_38
.LBB168_70:                             ;   in Loop: Header=BB168_29 Depth=1
	s_or_b32 exec_lo, exec_lo, s37
	s_and_saveexec_b32 s37, s9
	s_cbranch_execz .LBB168_39
.LBB168_71:                             ;   in Loop: Header=BB168_29 Depth=1
	ds_load_b32 v8, v1 offset:16420
	s_wait_dscnt 0x0
	v_add_nc_u32_e32 v7, v8, v7
	s_or_b32 exec_lo, exec_lo, s37
	s_and_saveexec_b32 s37, s10
	s_cbranch_execnz .LBB168_40
.LBB168_72:                             ;   in Loop: Header=BB168_29 Depth=1
	s_or_b32 exec_lo, exec_lo, s37
	s_and_saveexec_b32 s37, s11
	s_cbranch_execz .LBB168_41
.LBB168_73:                             ;   in Loop: Header=BB168_29 Depth=1
	ds_load_b32 v8, v1 offset:16428
	s_wait_dscnt 0x0
	v_add_nc_u32_e32 v7, v8, v7
	s_or_b32 exec_lo, exec_lo, s37
	s_and_saveexec_b32 s37, s12
	s_cbranch_execnz .LBB168_42
.LBB168_74:                             ;   in Loop: Header=BB168_29 Depth=1
	s_or_b32 exec_lo, exec_lo, s37
	s_and_saveexec_b32 s37, s13
	s_cbranch_execz .LBB168_43
.LBB168_75:                             ;   in Loop: Header=BB168_29 Depth=1
	ds_load_b32 v8, v1 offset:16436
	s_wait_dscnt 0x0
	v_add_nc_u32_e32 v7, v8, v7
	s_or_b32 exec_lo, exec_lo, s37
	s_and_saveexec_b32 s37, s14
	s_cbranch_execnz .LBB168_44
.LBB168_76:                             ;   in Loop: Header=BB168_29 Depth=1
	s_or_b32 exec_lo, exec_lo, s37
	s_and_saveexec_b32 s37, s15
	s_cbranch_execz .LBB168_45
.LBB168_77:                             ;   in Loop: Header=BB168_29 Depth=1
	ds_load_b32 v8, v1 offset:16444
	s_wait_dscnt 0x0
	v_add_nc_u32_e32 v7, v8, v7
	s_or_b32 exec_lo, exec_lo, s37
	s_and_saveexec_b32 s37, s16
	s_cbranch_execnz .LBB168_46
.LBB168_78:                             ;   in Loop: Header=BB168_29 Depth=1
	s_or_b32 exec_lo, exec_lo, s37
	s_and_saveexec_b32 s37, s17
	s_cbranch_execz .LBB168_47
.LBB168_79:                             ;   in Loop: Header=BB168_29 Depth=1
	ds_load_b32 v8, v1 offset:16452
	s_wait_dscnt 0x0
	v_add_nc_u32_e32 v7, v8, v7
	s_or_b32 exec_lo, exec_lo, s37
	s_and_saveexec_b32 s37, s18
	s_cbranch_execnz .LBB168_48
.LBB168_80:                             ;   in Loop: Header=BB168_29 Depth=1
	s_or_b32 exec_lo, exec_lo, s37
	s_and_saveexec_b32 s37, s19
	s_cbranch_execz .LBB168_49
.LBB168_81:                             ;   in Loop: Header=BB168_29 Depth=1
	ds_load_b32 v8, v1 offset:16460
	s_wait_dscnt 0x0
	v_add_nc_u32_e32 v7, v8, v7
	s_or_b32 exec_lo, exec_lo, s37
	s_and_saveexec_b32 s37, s20
	s_cbranch_execnz .LBB168_50
.LBB168_82:                             ;   in Loop: Header=BB168_29 Depth=1
	s_or_b32 exec_lo, exec_lo, s37
	s_and_saveexec_b32 s37, s21
	s_cbranch_execz .LBB168_51
.LBB168_83:                             ;   in Loop: Header=BB168_29 Depth=1
	ds_load_b32 v8, v1 offset:16468
	s_wait_dscnt 0x0
	v_add_nc_u32_e32 v7, v8, v7
	s_or_b32 exec_lo, exec_lo, s37
	s_and_saveexec_b32 s37, s22
	s_cbranch_execnz .LBB168_52
.LBB168_84:                             ;   in Loop: Header=BB168_29 Depth=1
	s_or_b32 exec_lo, exec_lo, s37
	s_and_saveexec_b32 s37, s23
	s_cbranch_execz .LBB168_53
.LBB168_85:                             ;   in Loop: Header=BB168_29 Depth=1
	ds_load_b32 v8, v1 offset:16476
	s_wait_dscnt 0x0
	v_add_nc_u32_e32 v7, v8, v7
	s_or_b32 exec_lo, exec_lo, s37
	s_and_saveexec_b32 s37, s24
	s_cbranch_execnz .LBB168_54
.LBB168_86:                             ;   in Loop: Header=BB168_29 Depth=1
	s_or_b32 exec_lo, exec_lo, s37
	s_and_saveexec_b32 s37, s25
	s_cbranch_execz .LBB168_55
.LBB168_87:                             ;   in Loop: Header=BB168_29 Depth=1
	ds_load_b32 v8, v1 offset:16484
	s_wait_dscnt 0x0
	v_add_nc_u32_e32 v7, v8, v7
	s_or_b32 exec_lo, exec_lo, s37
	s_and_saveexec_b32 s37, s26
	s_cbranch_execnz .LBB168_56
.LBB168_88:                             ;   in Loop: Header=BB168_29 Depth=1
	s_or_b32 exec_lo, exec_lo, s37
	s_and_saveexec_b32 s37, s27
	s_cbranch_execz .LBB168_57
.LBB168_89:                             ;   in Loop: Header=BB168_29 Depth=1
	ds_load_b32 v8, v1 offset:16492
	s_wait_dscnt 0x0
	v_add_nc_u32_e32 v7, v8, v7
	s_or_b32 exec_lo, exec_lo, s37
	s_and_saveexec_b32 s37, s28
	s_cbranch_execnz .LBB168_58
.LBB168_90:                             ;   in Loop: Header=BB168_29 Depth=1
	s_or_b32 exec_lo, exec_lo, s37
	s_and_saveexec_b32 s37, s29
	s_cbranch_execz .LBB168_59
.LBB168_91:                             ;   in Loop: Header=BB168_29 Depth=1
	ds_load_b32 v8, v1 offset:16500
	s_wait_dscnt 0x0
	v_add_nc_u32_e32 v7, v8, v7
	s_or_b32 exec_lo, exec_lo, s37
	s_and_saveexec_b32 s37, s30
	s_cbranch_execnz .LBB168_60
.LBB168_92:                             ;   in Loop: Header=BB168_29 Depth=1
	s_or_b32 exec_lo, exec_lo, s37
	s_and_saveexec_b32 s37, s31
	s_cbranch_execz .LBB168_61
.LBB168_93:                             ;   in Loop: Header=BB168_29 Depth=1
	s_delay_alu instid0(VALU_DEP_1) | instskip(SKIP_1) | instid1(VALU_DEP_2)
	v_add3_u32 v8, v6, -1, v7
	v_add_nc_u32_e32 v9, v6, v7
	v_lshl_add_u32 v8, v8, 2, 0
	s_delay_alu instid0(VALU_DEP_2)
	v_lshl_add_u32 v9, v9, 2, 0
	ds_store_b32 v8, v4
	ds_store_b32 v9, v5 offset:8188
	s_or_b32 exec_lo, exec_lo, s37
	s_and_saveexec_b32 s31, vcc_lo
	s_cbranch_execz .LBB168_28
.LBB168_94:                             ;   in Loop: Header=BB168_29 Depth=1
	ds_store_b32 v1, v7 offset:16508
	s_branch .LBB168_28
.LBB168_95:                             ;   in Loop: Header=BB168_97 Depth=1
	s_or_b32 exec_lo, exec_lo, s5
.LBB168_96:                             ;   in Loop: Header=BB168_97 Depth=1
	s_delay_alu instid0(SALU_CYCLE_1)
	s_or_b32 exec_lo, exec_lo, s4
	s_wait_loadcnt 0x0
	v_mul_f32_e32 v1, s20, v1
	v_lshl_add_u32 v3, v3, 2, 0
	v_add_nc_u64_e32 v[4:5], 0x400, v[4:5]
	ds_add_f32 v3, v1 offset:8192
	v_cmp_le_i64_e32 vcc_lo, s[2:3], v[4:5]
	s_or_b32 s1, vcc_lo, s1
	s_delay_alu instid0(SALU_CYCLE_1)
	s_and_not1_b32 exec_lo, exec_lo, s1
	s_cbranch_execz .LBB168_26
.LBB168_97:                             ; =>This Loop Header: Depth=1
                                        ;     Child Loop BB168_100 Depth 2
	v_lshlrev_b64_e32 v[6:7], 2, v[4:5]
	s_mov_b32 s4, exec_lo
	s_delay_alu instid0(VALU_DEP_1)
	v_add_nc_u64_e32 v[8:9], s[38:39], v[6:7]
	v_add_nc_u64_e32 v[6:7], s[40:41], v[6:7]
	global_load_b32 v3, v[8:9], off
	global_load_b32 v1, v[6:7], off
	s_wait_loadcnt 0x1
	s_wait_xcnt 0x0
	v_subrev_nc_u32_e32 v6, s47, v3
	s_delay_alu instid0(VALU_DEP_1) | instskip(NEXT) | instid1(VALU_DEP_1)
	v_mul_lo_u32 v3, 0x89, v6
	v_and_b32_e32 v3, 0x7ff, v3
	s_delay_alu instid0(VALU_DEP_1)
	v_lshl_add_u32 v7, v3, 2, 0
	ds_load_b32 v8, v7
	s_wait_dscnt 0x0
	v_cmpx_ne_u32_e64 v8, v6
	s_cbranch_execz .LBB168_96
; %bb.98:                               ;   in Loop: Header=BB168_97 Depth=1
	s_mov_b32 s5, 0
	s_branch .LBB168_100
.LBB168_99:                             ;   in Loop: Header=BB168_100 Depth=2
	s_or_b32 exec_lo, exec_lo, s8
	s_delay_alu instid0(SALU_CYCLE_1) | instskip(NEXT) | instid1(SALU_CYCLE_1)
	s_and_b32 s6, exec_lo, s7
	s_or_b32 s5, s6, s5
	s_delay_alu instid0(SALU_CYCLE_1)
	s_and_not1_b32 exec_lo, exec_lo, s5
	s_cbranch_execz .LBB168_95
.LBB168_100:                            ;   Parent Loop BB168_97 Depth=1
                                        ; =>  This Inner Loop Header: Depth=2
	s_mov_b32 s6, 0
	s_mov_b32 s7, exec_lo
	v_cmpx_ne_u32_e64 s33, v8
	s_xor_b32 s7, exec_lo, s7
	s_cbranch_execz .LBB168_102
; %bb.101:                              ;   in Loop: Header=BB168_100 Depth=2
	v_add_nc_u32_e32 v3, 1, v3
	s_mov_b32 s6, exec_lo
                                        ; implicit-def: $vgpr7
	s_delay_alu instid0(VALU_DEP_1)
	v_and_b32_e32 v3, 0x7ff, v3
	s_and_not1_saveexec_b32 s7, s7
	s_cbranch_execz .LBB168_104
	s_branch .LBB168_103
.LBB168_102:                            ;   in Loop: Header=BB168_100 Depth=2
	s_and_not1_saveexec_b32 s7, s7
	s_cbranch_execz .LBB168_104
.LBB168_103:                            ;   in Loop: Header=BB168_100 Depth=2
	v_mov_b32_e32 v8, s33
	s_and_not1_b32 s6, s6, exec_lo
	ds_cmpstore_rtn_b32 v7, v7, v6, v8
	s_wait_dscnt 0x0
	v_cmp_ne_u32_e32 vcc_lo, s33, v7
	s_and_b32 s8, vcc_lo, exec_lo
	s_delay_alu instid0(SALU_CYCLE_1)
	s_or_b32 s6, s6, s8
.LBB168_104:                            ;   in Loop: Header=BB168_100 Depth=2
	s_or_b32 exec_lo, exec_lo, s7
	s_mov_b32 s7, -1
                                        ; implicit-def: $vgpr7
                                        ; implicit-def: $vgpr8
	s_and_saveexec_b32 s8, s6
	s_cbranch_execz .LBB168_99
; %bb.105:                              ;   in Loop: Header=BB168_100 Depth=2
	v_lshl_add_u32 v7, v3, 2, 0
	ds_load_b32 v8, v7
	s_wait_dscnt 0x0
	v_cmp_eq_u32_e32 vcc_lo, v8, v6
	s_or_not1_b32 s7, vcc_lo, exec_lo
	s_branch .LBB168_99
.LBB168_106:
	s_or_b32 exec_lo, exec_lo, s36
	s_wait_kmcnt 0x0
	s_ashr_i32 s49, s48, 31
	s_delay_alu instid0(SALU_CYCLE_1) | instskip(NEXT) | instid1(SALU_CYCLE_1)
	s_lshl_b64 s[0:1], s[48:49], 3
	s_add_nc_u64 s[4:5], s[42:43], s[0:1]
	s_load_b128 s[0:3], s[4:5], 0x0
	s_wait_xcnt 0x0
	s_mov_b32 s4, exec_lo
	s_wait_kmcnt 0x0
	s_sub_co_i32 s3, s2, s0
	s_delay_alu instid0(SALU_CYCLE_1)
	v_cmpx_gt_i32_e64 s3, v0
	s_cbranch_execz .LBB168_116
; %bb.107:
	s_sub_co_i32 s4, s0, s2
	s_and_b32 s2, s3, 7
	s_cmp_lt_u32 s4, -7
	s_mov_b32 s47, 0
	s_cselect_b32 s4, -1, 0
	s_and_b32 s5, s3, -8
	s_cmp_lg_u32 s2, 0
	s_sub_nc_u64 s[0:1], s[0:1], s[46:47]
	s_cselect_b32 s6, -1, 0
	s_mov_b32 s7, 0
	s_branch .LBB168_109
.LBB168_108:                            ;   in Loop: Header=BB168_109 Depth=1
	v_add_nc_u32_e32 v0, 0x400, v0
	s_delay_alu instid0(VALU_DEP_2) | instskip(NEXT) | instid1(VALU_DEP_2)
	v_lshl_add_u64 v[4:5], v[4:5], 2, s[34:35]
	v_cmp_le_i32_e32 vcc_lo, s3, v0
	s_wait_dscnt 0x0
	global_store_b32 v[4:5], v3, off
	s_or_b32 s7, vcc_lo, s7
	s_wait_xcnt 0x0
	s_and_not1_b32 exec_lo, exec_lo, s7
	s_cbranch_execz .LBB168_116
.LBB168_109:                            ; =>This Loop Header: Depth=1
                                        ;     Child Loop BB168_111 Depth 2
                                        ;     Child Loop BB168_115 Depth 2
	v_lshl_add_u32 v1, v0, 2, 0
	v_mov_b64_e32 v[4:5], s[0:1]
	s_and_not1_b32 vcc_lo, exec_lo, s4
	s_mov_b32 s8, 0
	ds_load_2addr_stride64_b32 v[2:3], v1 offset1:32
	s_cbranch_vccnz .LBB168_113
; %bb.110:                              ;   in Loop: Header=BB168_109 Depth=1
	v_mov_b64_e32 v[4:5], s[0:1]
	s_mov_b32 s9, 0
.LBB168_111:                            ;   Parent Loop BB168_109 Depth=1
                                        ; =>  This Inner Loop Header: Depth=2
	s_delay_alu instid0(SALU_CYCLE_1)
	v_dual_mov_b32 v1, s9 :: v_dual_mov_b32 v11, s47
	v_mov_b32_e32 v17, s47
	s_add_co_i32 s8, s8, 8
	s_add_co_i32 s9, s9, 32
	ds_load_2addr_b32 v[6:7], v1 offset1:1
	ds_load_2addr_b32 v[8:9], v1 offset0:2 offset1:3
	ds_load_2addr_b32 v[12:13], v1 offset0:4 offset1:5
	;; [unrolled: 1-line block ×3, first 2 shown]
	s_cmp_eq_u32 s5, s8
	s_wait_dscnt 0x3
	v_cmp_gt_i32_e32 vcc_lo, v2, v6
	v_cndmask_b32_e64 v10, 0, 1, vcc_lo
	v_cmp_gt_i32_e32 vcc_lo, v2, v7
	v_mov_b32_e32 v7, s47
	s_delay_alu instid0(VALU_DEP_3) | instskip(SKIP_4) | instid1(VALU_DEP_3)
	v_add_nc_u64_e32 v[4:5], v[4:5], v[10:11]
	v_cndmask_b32_e64 v16, 0, 1, vcc_lo
	s_wait_dscnt 0x2
	v_cmp_gt_i32_e32 vcc_lo, v2, v8
	v_cndmask_b32_e64 v6, 0, 1, vcc_lo
	v_add_nc_u64_e32 v[4:5], v[4:5], v[16:17]
	v_cmp_gt_i32_e32 vcc_lo, v2, v9
	v_mov_b32_e32 v9, s47
	v_cndmask_b32_e64 v10, 0, 1, vcc_lo
	s_delay_alu instid0(VALU_DEP_4) | instskip(SKIP_3) | instid1(VALU_DEP_3)
	v_add_nc_u64_e32 v[4:5], v[4:5], v[6:7]
	s_wait_dscnt 0x1
	v_cmp_gt_i32_e32 vcc_lo, v2, v12
	v_cndmask_b32_e64 v6, 0, 1, vcc_lo
	v_add_nc_u64_e32 v[4:5], v[4:5], v[10:11]
	v_cmp_gt_i32_e32 vcc_lo, v2, v13
	v_cndmask_b32_e64 v8, 0, 1, vcc_lo
	s_delay_alu instid0(VALU_DEP_3) | instskip(SKIP_3) | instid1(VALU_DEP_3)
	v_add_nc_u64_e32 v[4:5], v[4:5], v[6:7]
	s_wait_dscnt 0x0
	v_cmp_gt_i32_e32 vcc_lo, v2, v14
	v_cndmask_b32_e64 v6, 0, 1, vcc_lo
	v_add_nc_u64_e32 v[4:5], v[4:5], v[8:9]
	v_cmp_gt_i32_e32 vcc_lo, v2, v15
	v_cndmask_b32_e64 v8, 0, 1, vcc_lo
	s_delay_alu instid0(VALU_DEP_3) | instskip(NEXT) | instid1(VALU_DEP_1)
	v_add_nc_u64_e32 v[4:5], v[4:5], v[6:7]
	v_add_nc_u64_e32 v[4:5], v[4:5], v[8:9]
	s_cbranch_scc0 .LBB168_111
; %bb.112:                              ;   in Loop: Header=BB168_109 Depth=1
	s_mov_b32 s8, s5
.LBB168_113:                            ;   in Loop: Header=BB168_109 Depth=1
	s_and_not1_b32 vcc_lo, exec_lo, s6
	s_cbranch_vccnz .LBB168_108
; %bb.114:                              ;   in Loop: Header=BB168_109 Depth=1
	s_lshl_b32 s8, s8, 2
	s_mov_b32 s9, s2
	s_add_co_i32 s8, s8, 0
.LBB168_115:                            ;   Parent Loop BB168_109 Depth=1
                                        ; =>  This Inner Loop Header: Depth=2
	s_delay_alu instid0(SALU_CYCLE_1)
	v_dual_mov_b32 v1, s8 :: v_dual_mov_b32 v7, s47
	s_add_co_i32 s9, s9, -1
	s_add_co_i32 s8, s8, 4
	s_cmp_lg_u32 s9, 0
	ds_load_b32 v1, v1
	s_wait_dscnt 0x0
	v_cmp_gt_i32_e32 vcc_lo, v2, v1
	v_cndmask_b32_e64 v6, 0, 1, vcc_lo
	s_delay_alu instid0(VALU_DEP_1)
	v_add_nc_u64_e32 v[4:5], v[4:5], v[6:7]
	s_cbranch_scc1 .LBB168_115
	s_branch .LBB168_108
.LBB168_116:
	s_endpgm
	.section	.rodata,"a",@progbits
	.p2align	6, 0x0
	.amdhsa_kernel _ZN9rocsparseL41csrgemm_numeric_fill_block_per_row_kernelILj1024ELj32ELj2048ELj137ELj32ElifEEvT5_PKS1_S3_NS_24const_host_device_scalarIT6_EEPKT4_S3_PKS5_S9_S3_SB_S6_S9_S3_SB_S9_S3_PS5_21rocsparse_index_base_SD_SD_SD_bbb
		.amdhsa_group_segment_fixed_size 0
		.amdhsa_private_segment_fixed_size 0
		.amdhsa_kernarg_size 156
		.amdhsa_user_sgpr_count 2
		.amdhsa_user_sgpr_dispatch_ptr 0
		.amdhsa_user_sgpr_queue_ptr 0
		.amdhsa_user_sgpr_kernarg_segment_ptr 1
		.amdhsa_user_sgpr_dispatch_id 0
		.amdhsa_user_sgpr_kernarg_preload_length 0
		.amdhsa_user_sgpr_kernarg_preload_offset 0
		.amdhsa_user_sgpr_private_segment_size 0
		.amdhsa_wavefront_size32 1
		.amdhsa_uses_dynamic_stack 0
		.amdhsa_enable_private_segment 0
		.amdhsa_system_sgpr_workgroup_id_x 1
		.amdhsa_system_sgpr_workgroup_id_y 0
		.amdhsa_system_sgpr_workgroup_id_z 0
		.amdhsa_system_sgpr_workgroup_info 0
		.amdhsa_system_vgpr_workitem_id 0
		.amdhsa_next_free_vgpr 18
		.amdhsa_next_free_sgpr 50
		.amdhsa_named_barrier_count 0
		.amdhsa_reserve_vcc 1
		.amdhsa_float_round_mode_32 0
		.amdhsa_float_round_mode_16_64 0
		.amdhsa_float_denorm_mode_32 3
		.amdhsa_float_denorm_mode_16_64 3
		.amdhsa_fp16_overflow 0
		.amdhsa_memory_ordered 1
		.amdhsa_forward_progress 1
		.amdhsa_inst_pref_size 32
		.amdhsa_round_robin_scheduling 0
		.amdhsa_exception_fp_ieee_invalid_op 0
		.amdhsa_exception_fp_denorm_src 0
		.amdhsa_exception_fp_ieee_div_zero 0
		.amdhsa_exception_fp_ieee_overflow 0
		.amdhsa_exception_fp_ieee_underflow 0
		.amdhsa_exception_fp_ieee_inexact 0
		.amdhsa_exception_int_div_zero 0
	.end_amdhsa_kernel
	.section	.text._ZN9rocsparseL41csrgemm_numeric_fill_block_per_row_kernelILj1024ELj32ELj2048ELj137ELj32ElifEEvT5_PKS1_S3_NS_24const_host_device_scalarIT6_EEPKT4_S3_PKS5_S9_S3_SB_S6_S9_S3_SB_S9_S3_PS5_21rocsparse_index_base_SD_SD_SD_bbb,"axG",@progbits,_ZN9rocsparseL41csrgemm_numeric_fill_block_per_row_kernelILj1024ELj32ELj2048ELj137ELj32ElifEEvT5_PKS1_S3_NS_24const_host_device_scalarIT6_EEPKT4_S3_PKS5_S9_S3_SB_S6_S9_S3_SB_S9_S3_PS5_21rocsparse_index_base_SD_SD_SD_bbb,comdat
.Lfunc_end168:
	.size	_ZN9rocsparseL41csrgemm_numeric_fill_block_per_row_kernelILj1024ELj32ELj2048ELj137ELj32ElifEEvT5_PKS1_S3_NS_24const_host_device_scalarIT6_EEPKT4_S3_PKS5_S9_S3_SB_S6_S9_S3_SB_S9_S3_PS5_21rocsparse_index_base_SD_SD_SD_bbb, .Lfunc_end168-_ZN9rocsparseL41csrgemm_numeric_fill_block_per_row_kernelILj1024ELj32ELj2048ELj137ELj32ElifEEvT5_PKS1_S3_NS_24const_host_device_scalarIT6_EEPKT4_S3_PKS5_S9_S3_SB_S6_S9_S3_SB_S9_S3_PS5_21rocsparse_index_base_SD_SD_SD_bbb
                                        ; -- End function
	.set _ZN9rocsparseL41csrgemm_numeric_fill_block_per_row_kernelILj1024ELj32ELj2048ELj137ELj32ElifEEvT5_PKS1_S3_NS_24const_host_device_scalarIT6_EEPKT4_S3_PKS5_S9_S3_SB_S6_S9_S3_SB_S9_S3_PS5_21rocsparse_index_base_SD_SD_SD_bbb.num_vgpr, 18
	.set _ZN9rocsparseL41csrgemm_numeric_fill_block_per_row_kernelILj1024ELj32ELj2048ELj137ELj32ElifEEvT5_PKS1_S3_NS_24const_host_device_scalarIT6_EEPKT4_S3_PKS5_S9_S3_SB_S6_S9_S3_SB_S9_S3_PS5_21rocsparse_index_base_SD_SD_SD_bbb.num_agpr, 0
	.set _ZN9rocsparseL41csrgemm_numeric_fill_block_per_row_kernelILj1024ELj32ELj2048ELj137ELj32ElifEEvT5_PKS1_S3_NS_24const_host_device_scalarIT6_EEPKT4_S3_PKS5_S9_S3_SB_S6_S9_S3_SB_S9_S3_PS5_21rocsparse_index_base_SD_SD_SD_bbb.numbered_sgpr, 50
	.set _ZN9rocsparseL41csrgemm_numeric_fill_block_per_row_kernelILj1024ELj32ELj2048ELj137ELj32ElifEEvT5_PKS1_S3_NS_24const_host_device_scalarIT6_EEPKT4_S3_PKS5_S9_S3_SB_S6_S9_S3_SB_S9_S3_PS5_21rocsparse_index_base_SD_SD_SD_bbb.num_named_barrier, 0
	.set _ZN9rocsparseL41csrgemm_numeric_fill_block_per_row_kernelILj1024ELj32ELj2048ELj137ELj32ElifEEvT5_PKS1_S3_NS_24const_host_device_scalarIT6_EEPKT4_S3_PKS5_S9_S3_SB_S6_S9_S3_SB_S9_S3_PS5_21rocsparse_index_base_SD_SD_SD_bbb.private_seg_size, 0
	.set _ZN9rocsparseL41csrgemm_numeric_fill_block_per_row_kernelILj1024ELj32ELj2048ELj137ELj32ElifEEvT5_PKS1_S3_NS_24const_host_device_scalarIT6_EEPKT4_S3_PKS5_S9_S3_SB_S6_S9_S3_SB_S9_S3_PS5_21rocsparse_index_base_SD_SD_SD_bbb.uses_vcc, 1
	.set _ZN9rocsparseL41csrgemm_numeric_fill_block_per_row_kernelILj1024ELj32ELj2048ELj137ELj32ElifEEvT5_PKS1_S3_NS_24const_host_device_scalarIT6_EEPKT4_S3_PKS5_S9_S3_SB_S6_S9_S3_SB_S9_S3_PS5_21rocsparse_index_base_SD_SD_SD_bbb.uses_flat_scratch, 0
	.set _ZN9rocsparseL41csrgemm_numeric_fill_block_per_row_kernelILj1024ELj32ELj2048ELj137ELj32ElifEEvT5_PKS1_S3_NS_24const_host_device_scalarIT6_EEPKT4_S3_PKS5_S9_S3_SB_S6_S9_S3_SB_S9_S3_PS5_21rocsparse_index_base_SD_SD_SD_bbb.has_dyn_sized_stack, 0
	.set _ZN9rocsparseL41csrgemm_numeric_fill_block_per_row_kernelILj1024ELj32ELj2048ELj137ELj32ElifEEvT5_PKS1_S3_NS_24const_host_device_scalarIT6_EEPKT4_S3_PKS5_S9_S3_SB_S6_S9_S3_SB_S9_S3_PS5_21rocsparse_index_base_SD_SD_SD_bbb.has_recursion, 0
	.set _ZN9rocsparseL41csrgemm_numeric_fill_block_per_row_kernelILj1024ELj32ELj2048ELj137ELj32ElifEEvT5_PKS1_S3_NS_24const_host_device_scalarIT6_EEPKT4_S3_PKS5_S9_S3_SB_S6_S9_S3_SB_S9_S3_PS5_21rocsparse_index_base_SD_SD_SD_bbb.has_indirect_call, 0
	.section	.AMDGPU.csdata,"",@progbits
; Kernel info:
; codeLenInByte = 3972
; TotalNumSgprs: 52
; NumVgprs: 18
; ScratchSize: 0
; MemoryBound: 0
; FloatMode: 240
; IeeeMode: 1
; LDSByteSize: 0 bytes/workgroup (compile time only)
; SGPRBlocks: 0
; VGPRBlocks: 1
; NumSGPRsForWavesPerEU: 52
; NumVGPRsForWavesPerEU: 18
; NamedBarCnt: 0
; Occupancy: 16
; WaveLimiterHint : 1
; COMPUTE_PGM_RSRC2:SCRATCH_EN: 0
; COMPUTE_PGM_RSRC2:USER_SGPR: 2
; COMPUTE_PGM_RSRC2:TRAP_HANDLER: 0
; COMPUTE_PGM_RSRC2:TGID_X_EN: 1
; COMPUTE_PGM_RSRC2:TGID_Y_EN: 0
; COMPUTE_PGM_RSRC2:TGID_Z_EN: 0
; COMPUTE_PGM_RSRC2:TIDIG_COMP_CNT: 0
	.section	.text._ZN9rocsparseL41csrgemm_numeric_fill_block_per_row_kernelILj1024ELj32ELj2048ELj137ELj64ElifEEvT5_PKS1_S3_NS_24const_host_device_scalarIT6_EEPKT4_S3_PKS5_S9_S3_SB_S6_S9_S3_SB_S9_S3_PS5_21rocsparse_index_base_SD_SD_SD_bbb,"axG",@progbits,_ZN9rocsparseL41csrgemm_numeric_fill_block_per_row_kernelILj1024ELj32ELj2048ELj137ELj64ElifEEvT5_PKS1_S3_NS_24const_host_device_scalarIT6_EEPKT4_S3_PKS5_S9_S3_SB_S6_S9_S3_SB_S9_S3_PS5_21rocsparse_index_base_SD_SD_SD_bbb,comdat
	.globl	_ZN9rocsparseL41csrgemm_numeric_fill_block_per_row_kernelILj1024ELj32ELj2048ELj137ELj64ElifEEvT5_PKS1_S3_NS_24const_host_device_scalarIT6_EEPKT4_S3_PKS5_S9_S3_SB_S6_S9_S3_SB_S9_S3_PS5_21rocsparse_index_base_SD_SD_SD_bbb ; -- Begin function _ZN9rocsparseL41csrgemm_numeric_fill_block_per_row_kernelILj1024ELj32ELj2048ELj137ELj64ElifEEvT5_PKS1_S3_NS_24const_host_device_scalarIT6_EEPKT4_S3_PKS5_S9_S3_SB_S6_S9_S3_SB_S9_S3_PS5_21rocsparse_index_base_SD_SD_SD_bbb
	.p2align	8
	.type	_ZN9rocsparseL41csrgemm_numeric_fill_block_per_row_kernelILj1024ELj32ELj2048ELj137ELj64ElifEEvT5_PKS1_S3_NS_24const_host_device_scalarIT6_EEPKT4_S3_PKS5_S9_S3_SB_S6_S9_S3_SB_S9_S3_PS5_21rocsparse_index_base_SD_SD_SD_bbb,@function
_ZN9rocsparseL41csrgemm_numeric_fill_block_per_row_kernelILj1024ELj32ELj2048ELj137ELj64ElifEEvT5_PKS1_S3_NS_24const_host_device_scalarIT6_EEPKT4_S3_PKS5_S9_S3_SB_S6_S9_S3_SB_S9_S3_PS5_21rocsparse_index_base_SD_SD_SD_bbb: ; @_ZN9rocsparseL41csrgemm_numeric_fill_block_per_row_kernelILj1024ELj32ELj2048ELj137ELj64ElifEEvT5_PKS1_S3_NS_24const_host_device_scalarIT6_EEPKT4_S3_PKS5_S9_S3_SB_S6_S9_S3_SB_S9_S3_PS5_21rocsparse_index_base_SD_SD_SD_bbb
; %bb.0:
	s_clause 0x3
	s_load_b32 s6, s[0:1], 0x98
	s_load_b64 s[4:5], s[0:1], 0x18
	s_load_b128 s[20:23], s[0:1], 0x88
	s_load_b64 s[2:3], s[0:1], 0x50
	s_wait_kmcnt 0x0
	s_and_b32 s8, 1, s6
	s_bitcmp1_b32 s6, 16
	s_cselect_b32 s7, -1, 0
	s_cmp_eq_u32 s8, 1
	s_cselect_b32 s39, -1, 0
	s_delay_alu instid0(SALU_CYCLE_1) | instskip(SKIP_2) | instid1(SALU_CYCLE_1)
	s_and_b32 s8, s39, exec_lo
	s_cselect_b32 s37, s4, 0
	s_xor_b32 s8, s39, -1
	s_or_b32 s8, s7, s8
	s_delay_alu instid0(SALU_CYCLE_1)
	s_and_b32 vcc_lo, exec_lo, s8
	s_cbranch_vccnz .LBB169_2
; %bb.1:
	s_load_b32 s37, s[4:5], 0x0
.LBB169_2:
	s_load_b128 s[28:31], s[0:1], 0x8
	s_bitcmp1_b32 s6, 8
	s_cselect_b32 s38, -1, 0
	s_wait_xcnt 0x0
	s_and_b32 s4, s38, exec_lo
	s_cselect_b32 s36, s2, 0
	s_xor_b32 s4, s38, -1
	s_delay_alu instid0(SALU_CYCLE_1) | instskip(NEXT) | instid1(SALU_CYCLE_1)
	s_or_b32 s4, s7, s4
	s_and_b32 vcc_lo, exec_lo, s4
	s_cbranch_vccnz .LBB169_4
; %bb.3:
	s_load_b32 s36, s[2:3], 0x0
.LBB169_4:
	s_clause 0x4
	s_load_b32 s33, s[0:1], 0x0
	s_load_b64 s[34:35], s[0:1], 0x80
	s_load_b256 s[12:19], s[0:1], 0x58
	s_load_b128 s[24:27], s[0:1], 0x40
	s_load_b256 s[4:11], s[0:1], 0x20
	v_lshl_add_u32 v10, v0, 2, 0
	v_or_b32_e32 v11, 0xfffffc00, v0
	v_mov_b32_e32 v1, 0
	s_wait_xcnt 0x0
	s_mov_b32 s0, 0
	s_delay_alu instid0(VALU_DEP_2)
	v_dual_mov_b32 v2, v10 :: v_dual_mov_b32 v4, v11
	s_wait_kmcnt 0x0
	v_mov_b32_e32 v3, s33
.LBB169_5:                              ; =>This Inner Loop Header: Depth=1
	s_delay_alu instid0(VALU_DEP_2) | instskip(SKIP_4) | instid1(SALU_CYCLE_1)
	v_add_co_u32 v4, s1, 0x400, v4
	s_xor_b32 s1, s1, -1
	ds_store_2addr_stride64_b32 v2, v3, v1 offset1:32
	v_add_nc_u32_e32 v2, 0x1000, v2
	s_and_b32 s1, exec_lo, s1
	s_or_b32 s0, s1, s0
	s_delay_alu instid0(SALU_CYCLE_1)
	s_and_not1_b32 exec_lo, exec_lo, s0
	s_cbranch_execnz .LBB169_5
; %bb.6:
	s_or_b32 exec_lo, exec_lo, s0
	s_wait_dscnt 0x0
	s_barrier_signal -1
	s_barrier_wait -1
	s_load_b32 s0, s[28:29], 0x0
	s_bfe_u32 s1, ttmp6, 0x4000c
	s_and_b32 s2, ttmp6, 15
	s_add_co_i32 s1, s1, 1
	s_getreg_b32 s3, hwreg(HW_REG_IB_STS2, 6, 4)
	s_mul_i32 s1, ttmp9, s1
	s_delay_alu instid0(SALU_CYCLE_1)
	s_add_co_i32 s2, s2, s1
	s_cmp_eq_u32 s3, 0
	s_cselect_b32 s1, ttmp9, s2
	s_and_b32 vcc_lo, s39, exec_lo
	s_wait_kmcnt 0x0
	s_add_co_i32 s0, s0, s1
	s_mov_b32 s1, 0
	s_load_b32 s28, s[30:31], s0 offset:0x0 scale_offset
	s_cbranch_vccz .LBB169_24
; %bb.7:
	s_wait_kmcnt 0x0
	s_ashr_i32 s29, s28, 31
	v_dual_mov_b32 v5, 0 :: v_dual_lshrrev_b32 v4, 5, v0
	s_lshl_b64 s[2:3], s[28:29], 3
	s_mov_b32 s0, s20
	s_add_nc_u64 s[2:3], s[4:5], s[2:3]
	s_mov_b32 s4, exec_lo
	s_load_b128 s[40:43], s[2:3], 0x0
	v_sub_nc_u64_e64 v[2:3], v[4:5], s[0:1]
	s_wait_kmcnt 0x0
	s_delay_alu instid0(VALU_DEP_1)
	v_add_nc_u64_e32 v[2:3], s[40:41], v[2:3]
	s_sub_nc_u64 s[0:1], s[42:43], s[0:1]
	s_delay_alu instid0(VALU_DEP_1) | instid1(SALU_CYCLE_1)
	v_cmpx_gt_i64_e64 s[0:1], v[2:3]
	s_cbranch_execz .LBB169_23
; %bb.8:
	v_and_b32_e32 v4, 31, v0
	s_mov_b32 s3, 0
	s_mov_b32 s2, s21
	s_mov_b32 s5, s3
	s_delay_alu instid0(VALU_DEP_1)
	v_sub_nc_u64_e64 v[4:5], v[4:5], s[2:3]
	s_branch .LBB169_10
.LBB169_9:                              ;   in Loop: Header=BB169_10 Depth=1
	s_or_b32 exec_lo, exec_lo, s29
	v_add_nc_u64_e32 v[2:3], 32, v[2:3]
	s_delay_alu instid0(VALU_DEP_1) | instskip(SKIP_1) | instid1(SALU_CYCLE_1)
	v_cmp_le_i64_e32 vcc_lo, s[0:1], v[2:3]
	s_or_b32 s5, vcc_lo, s5
	s_and_not1_b32 exec_lo, exec_lo, s5
	s_cbranch_execz .LBB169_23
.LBB169_10:                             ; =>This Loop Header: Depth=1
                                        ;     Child Loop BB169_14 Depth 2
                                        ;       Child Loop BB169_17 Depth 3
	v_lshl_add_u64 v[6:7], v[2:3], 2, s[6:7]
	s_mov_b32 s29, exec_lo
	global_load_b32 v1, v[6:7], off
	s_wait_loadcnt 0x0
	s_wait_xcnt 0x0
	v_subrev_nc_u32_e32 v6, s20, v1
	s_delay_alu instid0(VALU_DEP_1) | instskip(NEXT) | instid1(VALU_DEP_1)
	v_ashrrev_i32_e32 v7, 31, v6
	v_lshl_add_u64 v[6:7], v[6:7], 3, s[10:11]
	global_load_b128 v[12:15], v[6:7], off
	s_wait_loadcnt 0x0
	s_wait_xcnt 0x0
	v_sub_nc_u64_e64 v[6:7], v[14:15], s[2:3]
	v_add_nc_u64_e32 v[8:9], v[12:13], v[4:5]
	s_delay_alu instid0(VALU_DEP_1)
	v_cmpx_lt_i64_e64 v[8:9], v[6:7]
	s_cbranch_execz .LBB169_9
; %bb.11:                               ;   in Loop: Header=BB169_10 Depth=1
	v_lshl_add_u64 v[12:13], v[2:3], 2, s[8:9]
	s_mov_b32 s30, 0
	global_load_b32 v1, v[12:13], off
	s_wait_loadcnt 0x0
	v_mul_f32_e32 v1, s37, v1
	s_branch .LBB169_14
.LBB169_12:                             ;   in Loop: Header=BB169_14 Depth=2
	s_or_b32 exec_lo, exec_lo, s39
.LBB169_13:                             ;   in Loop: Header=BB169_14 Depth=2
	s_delay_alu instid0(SALU_CYCLE_1)
	s_or_b32 exec_lo, exec_lo, s31
	s_wait_loadcnt 0x0
	v_mul_f32_e32 v12, v1, v12
	v_lshl_add_u32 v13, v13, 2, 0
	v_add_nc_u64_e32 v[8:9], 32, v[8:9]
	ds_add_f32 v13, v12 offset:8192
	v_cmp_ge_i64_e32 vcc_lo, v[8:9], v[6:7]
	s_or_b32 s30, vcc_lo, s30
	s_delay_alu instid0(SALU_CYCLE_1)
	s_and_not1_b32 exec_lo, exec_lo, s30
	s_cbranch_execz .LBB169_9
.LBB169_14:                             ;   Parent Loop BB169_10 Depth=1
                                        ; =>  This Loop Header: Depth=2
                                        ;       Child Loop BB169_17 Depth 3
	s_wait_xcnt 0x0
	v_lshlrev_b64_e32 v[12:13], 2, v[8:9]
	s_mov_b32 s31, exec_lo
	s_delay_alu instid0(VALU_DEP_1)
	v_add_nc_u64_e32 v[14:15], s[24:25], v[12:13]
	v_add_nc_u64_e32 v[12:13], s[26:27], v[12:13]
	global_load_b32 v14, v[14:15], off
	global_load_b32 v12, v[12:13], off
	s_wait_loadcnt 0x1
	s_wait_xcnt 0x1
	v_subrev_nc_u32_e32 v14, s21, v14
	s_wait_xcnt 0x0
	s_delay_alu instid0(VALU_DEP_1) | instskip(NEXT) | instid1(VALU_DEP_1)
	v_mul_lo_u32 v13, 0x89, v14
	v_and_b32_e32 v13, 0x7ff, v13
	s_delay_alu instid0(VALU_DEP_1)
	v_lshl_add_u32 v15, v13, 2, 0
	ds_load_b32 v16, v15
	s_wait_dscnt 0x0
	v_cmpx_ne_u32_e64 v16, v14
	s_cbranch_execz .LBB169_13
; %bb.15:                               ;   in Loop: Header=BB169_14 Depth=2
	s_mov_b32 s39, 0
	s_branch .LBB169_17
.LBB169_16:                             ;   in Loop: Header=BB169_17 Depth=3
	s_or_b32 exec_lo, exec_lo, s42
	s_delay_alu instid0(SALU_CYCLE_1) | instskip(NEXT) | instid1(SALU_CYCLE_1)
	s_and_b32 s40, exec_lo, s41
	s_or_b32 s39, s40, s39
	s_delay_alu instid0(SALU_CYCLE_1)
	s_and_not1_b32 exec_lo, exec_lo, s39
	s_cbranch_execz .LBB169_12
.LBB169_17:                             ;   Parent Loop BB169_10 Depth=1
                                        ;     Parent Loop BB169_14 Depth=2
                                        ; =>    This Inner Loop Header: Depth=3
	s_mov_b32 s40, 0
	s_mov_b32 s41, exec_lo
	v_cmpx_ne_u32_e64 s33, v16
	s_xor_b32 s41, exec_lo, s41
	s_cbranch_execz .LBB169_19
; %bb.18:                               ;   in Loop: Header=BB169_17 Depth=3
	v_add_nc_u32_e32 v13, 1, v13
	s_mov_b32 s40, exec_lo
                                        ; implicit-def: $vgpr15
	s_delay_alu instid0(VALU_DEP_1)
	v_and_b32_e32 v13, 0x7ff, v13
	s_and_not1_saveexec_b32 s41, s41
	s_cbranch_execz .LBB169_21
	s_branch .LBB169_20
.LBB169_19:                             ;   in Loop: Header=BB169_17 Depth=3
	s_and_not1_saveexec_b32 s41, s41
	s_cbranch_execz .LBB169_21
.LBB169_20:                             ;   in Loop: Header=BB169_17 Depth=3
	v_mov_b32_e32 v16, s33
	s_and_not1_b32 s40, s40, exec_lo
	ds_cmpstore_rtn_b32 v15, v15, v14, v16
	s_wait_dscnt 0x0
	v_cmp_ne_u32_e32 vcc_lo, s33, v15
	s_and_b32 s42, vcc_lo, exec_lo
	s_delay_alu instid0(SALU_CYCLE_1)
	s_or_b32 s40, s40, s42
.LBB169_21:                             ;   in Loop: Header=BB169_17 Depth=3
	s_or_b32 exec_lo, exec_lo, s41
	s_mov_b32 s41, -1
                                        ; implicit-def: $vgpr15
                                        ; implicit-def: $vgpr16
	s_and_saveexec_b32 s42, s40
	s_cbranch_execz .LBB169_16
; %bb.22:                               ;   in Loop: Header=BB169_17 Depth=3
	v_lshl_add_u32 v15, v13, 2, 0
	ds_load_b32 v16, v15
	s_wait_dscnt 0x0
	v_cmp_eq_u32_e32 vcc_lo, v16, v14
	s_or_not1_b32 s41, vcc_lo, exec_lo
	s_branch .LBB169_16
.LBB169_23:
	s_or_b32 exec_lo, exec_lo, s4
.LBB169_24:
	s_delay_alu instid0(SALU_CYCLE_1)
	s_and_not1_b32 vcc_lo, exec_lo, s38
	s_cbranch_vccnz .LBB169_27
; %bb.25:
	s_wait_kmcnt 0x0
	s_ashr_i32 s29, s28, 31
	v_mov_b32_e32 v1, 0
	s_lshl_b64 s[0:1], s[28:29], 3
	s_delay_alu instid0(SALU_CYCLE_1) | instskip(SKIP_4) | instid1(SALU_CYCLE_1)
	s_add_nc_u64 s[0:1], s[12:13], s[0:1]
	s_load_b128 s[4:7], s[0:1], 0x0
	s_wait_xcnt 0x0
	s_mov_b32 s1, 0
	s_mov_b32 s0, s23
	v_sub_nc_u64_e64 v[2:3], v[0:1], s[0:1]
	s_wait_kmcnt 0x0
	s_delay_alu instid0(VALU_DEP_1) | instskip(SKIP_2) | instid1(VALU_DEP_1)
	v_add_nc_u64_e32 v[2:3], s[4:5], v[2:3]
	s_sub_nc_u64 s[2:3], s[6:7], s[0:1]
	s_mov_b32 s0, exec_lo
	v_cmpx_gt_i64_e64 s[2:3], v[2:3]
	s_cbranch_execnz .LBB169_65
.LBB169_26:
	s_or_b32 exec_lo, exec_lo, s0
.LBB169_27:
	v_mbcnt_lo_u32_b32 v2, -1, 0
	v_dual_lshrrev_b32 v3, 4, v0 :: v_dual_mov_b32 v1, 0
	s_wait_xcnt 0x0
	v_cmp_lt_u32_e64 s0, 63, v0
	v_cmp_lt_u32_e64 s1, 0x7f, v0
	s_delay_alu instid0(VALU_DEP_3)
	v_dual_mov_b32 v6, 0 :: v_dual_bitop2_b32 v3, 60, v3 bitop3:0x40
	v_xor_b32_e32 v2, 31, v2
	v_cmp_lt_u32_e64 s2, 0xbf, v0
	v_cmp_lt_u32_e64 s3, 0xff, v0
	;; [unrolled: 1-line block ×3, first 2 shown]
	v_add_nc_u32_e32 v3, 0, v3
	v_lshrrev_b32_e64 v2, v2, -1
	v_cmp_lt_u32_e64 s5, 0x17f, v0
	v_cmp_lt_u32_e64 s6, 0x1bf, v0
	;; [unrolled: 1-line block ×10, first 2 shown]
	s_mov_b32 s16, 0
	s_wait_dscnt 0x0
	v_cmp_eq_u32_e32 vcc_lo, 0x3ff, v0
	s_barrier_signal -1
	s_barrier_wait -1
	s_branch .LBB169_29
.LBB169_28:                             ;   in Loop: Header=BB169_29 Depth=1
	s_or_b32 exec_lo, exec_lo, s15
	s_wait_dscnt 0x0
	s_barrier_signal -1
	s_barrier_wait -1
	ds_load_b32 v4, v1 offset:16444
	v_add_co_u32 v11, s15, 0x400, v11
	s_xor_b32 s15, s15, -1
	v_add_nc_u32_e32 v10, 0x1000, v10
	s_and_b32 s15, exec_lo, s15
	s_delay_alu instid0(SALU_CYCLE_1)
	s_or_b32 s16, s15, s16
	s_wait_dscnt 0x0
	v_add_nc_u32_e32 v6, v4, v6
	s_and_not1_b32 exec_lo, exec_lo, s16
	s_cbranch_execz .LBB169_74
.LBB169_29:                             ; =>This Inner Loop Header: Depth=1
	ds_load_2addr_stride64_b32 v[4:5], v10 offset1:32
	s_wait_dscnt 0x0
	s_barrier_signal -1
	s_barrier_wait -1
	v_cmp_gt_i32_e64 s15, s33, v4
	s_bcnt1_i32_b32 s17, s15
	s_delay_alu instid0(SALU_CYCLE_1) | instskip(NEXT) | instid1(VALU_DEP_1)
	v_dual_mov_b32 v8, s17 :: v_dual_bitop2_b32 v7, s15, v2 bitop3:0x40
	v_bcnt_u32_b32 v7, v7, 0
	ds_store_b32 v3, v8 offset:16384
	s_wait_dscnt 0x0
	s_barrier_signal -1
	s_barrier_wait -1
	s_and_saveexec_b32 s17, s0
	s_cbranch_execz .LBB169_46
; %bb.30:                               ;   in Loop: Header=BB169_29 Depth=1
	ds_load_b32 v8, v1 offset:16384
	s_wait_dscnt 0x0
	v_add_nc_u32_e32 v7, v8, v7
	s_or_b32 exec_lo, exec_lo, s17
	s_and_saveexec_b32 s17, s1
	s_cbranch_execnz .LBB169_47
.LBB169_31:                             ;   in Loop: Header=BB169_29 Depth=1
	s_or_b32 exec_lo, exec_lo, s17
	s_and_saveexec_b32 s17, s2
	s_cbranch_execz .LBB169_48
.LBB169_32:                             ;   in Loop: Header=BB169_29 Depth=1
	ds_load_b32 v8, v1 offset:16392
	s_wait_dscnt 0x0
	v_add_nc_u32_e32 v7, v8, v7
	s_or_b32 exec_lo, exec_lo, s17
	s_and_saveexec_b32 s17, s3
	s_cbranch_execnz .LBB169_49
.LBB169_33:                             ;   in Loop: Header=BB169_29 Depth=1
	s_or_b32 exec_lo, exec_lo, s17
	s_and_saveexec_b32 s17, s4
	s_cbranch_execz .LBB169_50
.LBB169_34:                             ;   in Loop: Header=BB169_29 Depth=1
	ds_load_b32 v8, v1 offset:16400
	s_wait_dscnt 0x0
	v_add_nc_u32_e32 v7, v8, v7
	s_or_b32 exec_lo, exec_lo, s17
	s_and_saveexec_b32 s17, s5
	s_cbranch_execnz .LBB169_51
.LBB169_35:                             ;   in Loop: Header=BB169_29 Depth=1
	s_or_b32 exec_lo, exec_lo, s17
	s_and_saveexec_b32 s17, s6
	s_cbranch_execz .LBB169_52
.LBB169_36:                             ;   in Loop: Header=BB169_29 Depth=1
	ds_load_b32 v8, v1 offset:16408
	s_wait_dscnt 0x0
	v_add_nc_u32_e32 v7, v8, v7
	s_or_b32 exec_lo, exec_lo, s17
	s_and_saveexec_b32 s17, s7
	s_cbranch_execnz .LBB169_53
.LBB169_37:                             ;   in Loop: Header=BB169_29 Depth=1
	s_or_b32 exec_lo, exec_lo, s17
	s_and_saveexec_b32 s17, s8
	s_cbranch_execz .LBB169_54
.LBB169_38:                             ;   in Loop: Header=BB169_29 Depth=1
	ds_load_b32 v8, v1 offset:16416
	s_wait_dscnt 0x0
	v_add_nc_u32_e32 v7, v8, v7
	s_or_b32 exec_lo, exec_lo, s17
	s_and_saveexec_b32 s17, s9
	s_cbranch_execnz .LBB169_55
.LBB169_39:                             ;   in Loop: Header=BB169_29 Depth=1
	s_or_b32 exec_lo, exec_lo, s17
	s_and_saveexec_b32 s17, s10
	s_cbranch_execz .LBB169_56
.LBB169_40:                             ;   in Loop: Header=BB169_29 Depth=1
	ds_load_b32 v8, v1 offset:16424
	s_wait_dscnt 0x0
	v_add_nc_u32_e32 v7, v8, v7
	s_or_b32 exec_lo, exec_lo, s17
	s_and_saveexec_b32 s17, s11
	s_cbranch_execnz .LBB169_57
.LBB169_41:                             ;   in Loop: Header=BB169_29 Depth=1
	s_or_b32 exec_lo, exec_lo, s17
	s_and_saveexec_b32 s17, s12
	s_cbranch_execz .LBB169_58
.LBB169_42:                             ;   in Loop: Header=BB169_29 Depth=1
	ds_load_b32 v8, v1 offset:16432
	s_wait_dscnt 0x0
	v_add_nc_u32_e32 v7, v8, v7
	s_or_b32 exec_lo, exec_lo, s17
	s_and_saveexec_b32 s17, s13
	s_cbranch_execnz .LBB169_59
.LBB169_43:                             ;   in Loop: Header=BB169_29 Depth=1
	s_or_b32 exec_lo, exec_lo, s17
	s_and_saveexec_b32 s17, s14
	s_cbranch_execz .LBB169_60
.LBB169_44:                             ;   in Loop: Header=BB169_29 Depth=1
	ds_load_b32 v8, v1 offset:16440
	s_wait_dscnt 0x0
	v_add_nc_u32_e32 v7, v8, v7
	s_or_b32 exec_lo, exec_lo, s17
	s_and_saveexec_b32 s17, s15
	s_cbranch_execnz .LBB169_61
.LBB169_45:                             ;   in Loop: Header=BB169_29 Depth=1
	s_or_b32 exec_lo, exec_lo, s17
	s_and_saveexec_b32 s15, vcc_lo
	s_cbranch_execz .LBB169_28
	s_branch .LBB169_62
.LBB169_46:                             ;   in Loop: Header=BB169_29 Depth=1
	s_or_b32 exec_lo, exec_lo, s17
	s_and_saveexec_b32 s17, s1
	s_cbranch_execz .LBB169_31
.LBB169_47:                             ;   in Loop: Header=BB169_29 Depth=1
	ds_load_b32 v8, v1 offset:16388
	s_wait_dscnt 0x0
	v_add_nc_u32_e32 v7, v8, v7
	s_or_b32 exec_lo, exec_lo, s17
	s_and_saveexec_b32 s17, s2
	s_cbranch_execnz .LBB169_32
.LBB169_48:                             ;   in Loop: Header=BB169_29 Depth=1
	s_or_b32 exec_lo, exec_lo, s17
	s_and_saveexec_b32 s17, s3
	s_cbranch_execz .LBB169_33
.LBB169_49:                             ;   in Loop: Header=BB169_29 Depth=1
	ds_load_b32 v8, v1 offset:16396
	s_wait_dscnt 0x0
	v_add_nc_u32_e32 v7, v8, v7
	s_or_b32 exec_lo, exec_lo, s17
	s_and_saveexec_b32 s17, s4
	s_cbranch_execnz .LBB169_34
.LBB169_50:                             ;   in Loop: Header=BB169_29 Depth=1
	s_or_b32 exec_lo, exec_lo, s17
	s_and_saveexec_b32 s17, s5
	s_cbranch_execz .LBB169_35
.LBB169_51:                             ;   in Loop: Header=BB169_29 Depth=1
	ds_load_b32 v8, v1 offset:16404
	s_wait_dscnt 0x0
	v_add_nc_u32_e32 v7, v8, v7
	s_or_b32 exec_lo, exec_lo, s17
	s_and_saveexec_b32 s17, s6
	s_cbranch_execnz .LBB169_36
.LBB169_52:                             ;   in Loop: Header=BB169_29 Depth=1
	s_or_b32 exec_lo, exec_lo, s17
	s_and_saveexec_b32 s17, s7
	s_cbranch_execz .LBB169_37
.LBB169_53:                             ;   in Loop: Header=BB169_29 Depth=1
	ds_load_b32 v8, v1 offset:16412
	s_wait_dscnt 0x0
	v_add_nc_u32_e32 v7, v8, v7
	s_or_b32 exec_lo, exec_lo, s17
	s_and_saveexec_b32 s17, s8
	s_cbranch_execnz .LBB169_38
.LBB169_54:                             ;   in Loop: Header=BB169_29 Depth=1
	s_or_b32 exec_lo, exec_lo, s17
	s_and_saveexec_b32 s17, s9
	s_cbranch_execz .LBB169_39
.LBB169_55:                             ;   in Loop: Header=BB169_29 Depth=1
	ds_load_b32 v8, v1 offset:16420
	s_wait_dscnt 0x0
	v_add_nc_u32_e32 v7, v8, v7
	s_or_b32 exec_lo, exec_lo, s17
	s_and_saveexec_b32 s17, s10
	s_cbranch_execnz .LBB169_40
.LBB169_56:                             ;   in Loop: Header=BB169_29 Depth=1
	s_or_b32 exec_lo, exec_lo, s17
	s_and_saveexec_b32 s17, s11
	s_cbranch_execz .LBB169_41
.LBB169_57:                             ;   in Loop: Header=BB169_29 Depth=1
	ds_load_b32 v8, v1 offset:16428
	s_wait_dscnt 0x0
	v_add_nc_u32_e32 v7, v8, v7
	s_or_b32 exec_lo, exec_lo, s17
	s_and_saveexec_b32 s17, s12
	s_cbranch_execnz .LBB169_42
.LBB169_58:                             ;   in Loop: Header=BB169_29 Depth=1
	s_or_b32 exec_lo, exec_lo, s17
	s_and_saveexec_b32 s17, s13
	s_cbranch_execz .LBB169_43
.LBB169_59:                             ;   in Loop: Header=BB169_29 Depth=1
	ds_load_b32 v8, v1 offset:16436
	s_wait_dscnt 0x0
	v_add_nc_u32_e32 v7, v8, v7
	s_or_b32 exec_lo, exec_lo, s17
	s_and_saveexec_b32 s17, s14
	s_cbranch_execnz .LBB169_44
.LBB169_60:                             ;   in Loop: Header=BB169_29 Depth=1
	s_or_b32 exec_lo, exec_lo, s17
	s_and_saveexec_b32 s17, s15
	s_cbranch_execz .LBB169_45
.LBB169_61:                             ;   in Loop: Header=BB169_29 Depth=1
	s_delay_alu instid0(VALU_DEP_1) | instskip(SKIP_1) | instid1(VALU_DEP_2)
	v_add3_u32 v8, v6, -1, v7
	v_add_nc_u32_e32 v9, v6, v7
	v_lshl_add_u32 v8, v8, 2, 0
	s_delay_alu instid0(VALU_DEP_2)
	v_lshl_add_u32 v9, v9, 2, 0
	ds_store_b32 v8, v4
	ds_store_b32 v9, v5 offset:8188
	s_or_b32 exec_lo, exec_lo, s17
	s_and_saveexec_b32 s15, vcc_lo
	s_cbranch_execz .LBB169_28
.LBB169_62:                             ;   in Loop: Header=BB169_29 Depth=1
	ds_store_b32 v1, v7 offset:16444
	s_branch .LBB169_28
.LBB169_63:                             ;   in Loop: Header=BB169_65 Depth=1
	s_or_b32 exec_lo, exec_lo, s5
.LBB169_64:                             ;   in Loop: Header=BB169_65 Depth=1
	s_delay_alu instid0(SALU_CYCLE_1)
	s_or_b32 exec_lo, exec_lo, s4
	s_wait_loadcnt 0x0
	v_mul_f32_e32 v1, s36, v1
	v_lshl_add_u32 v4, v4, 2, 0
	v_add_nc_u64_e32 v[2:3], 0x400, v[2:3]
	ds_add_f32 v4, v1 offset:8192
	v_cmp_le_i64_e32 vcc_lo, s[2:3], v[2:3]
	s_or_b32 s1, vcc_lo, s1
	s_delay_alu instid0(SALU_CYCLE_1)
	s_and_not1_b32 exec_lo, exec_lo, s1
	s_cbranch_execz .LBB169_26
.LBB169_65:                             ; =>This Loop Header: Depth=1
                                        ;     Child Loop BB169_68 Depth 2
	v_lshlrev_b64_e32 v[4:5], 2, v[2:3]
	s_mov_b32 s4, exec_lo
	s_delay_alu instid0(VALU_DEP_1)
	v_add_nc_u64_e32 v[6:7], s[14:15], v[4:5]
	v_add_nc_u64_e32 v[4:5], s[16:17], v[4:5]
	global_load_b32 v6, v[6:7], off
	global_load_b32 v1, v[4:5], off
	s_wait_loadcnt 0x1
	s_wait_xcnt 0x0
	v_subrev_nc_u32_e32 v5, s23, v6
	s_delay_alu instid0(VALU_DEP_1) | instskip(NEXT) | instid1(VALU_DEP_1)
	v_mul_lo_u32 v4, 0x89, v5
	v_and_b32_e32 v4, 0x7ff, v4
	s_delay_alu instid0(VALU_DEP_1)
	v_lshl_add_u32 v6, v4, 2, 0
	ds_load_b32 v7, v6
	s_wait_dscnt 0x0
	v_cmpx_ne_u32_e64 v7, v5
	s_cbranch_execz .LBB169_64
; %bb.66:                               ;   in Loop: Header=BB169_65 Depth=1
	s_mov_b32 s5, 0
	s_branch .LBB169_68
.LBB169_67:                             ;   in Loop: Header=BB169_68 Depth=2
	s_or_b32 exec_lo, exec_lo, s8
	s_delay_alu instid0(SALU_CYCLE_1) | instskip(NEXT) | instid1(SALU_CYCLE_1)
	s_and_b32 s6, exec_lo, s7
	s_or_b32 s5, s6, s5
	s_delay_alu instid0(SALU_CYCLE_1)
	s_and_not1_b32 exec_lo, exec_lo, s5
	s_cbranch_execz .LBB169_63
.LBB169_68:                             ;   Parent Loop BB169_65 Depth=1
                                        ; =>  This Inner Loop Header: Depth=2
	s_mov_b32 s6, 0
	s_mov_b32 s7, exec_lo
	v_cmpx_ne_u32_e64 s33, v7
	s_xor_b32 s7, exec_lo, s7
	s_cbranch_execz .LBB169_70
; %bb.69:                               ;   in Loop: Header=BB169_68 Depth=2
	v_add_nc_u32_e32 v4, 1, v4
	s_mov_b32 s6, exec_lo
                                        ; implicit-def: $vgpr6
	s_delay_alu instid0(VALU_DEP_1)
	v_and_b32_e32 v4, 0x7ff, v4
	s_and_not1_saveexec_b32 s7, s7
	s_cbranch_execz .LBB169_72
	s_branch .LBB169_71
.LBB169_70:                             ;   in Loop: Header=BB169_68 Depth=2
	s_and_not1_saveexec_b32 s7, s7
	s_cbranch_execz .LBB169_72
.LBB169_71:                             ;   in Loop: Header=BB169_68 Depth=2
	v_mov_b32_e32 v7, s33
	s_and_not1_b32 s6, s6, exec_lo
	ds_cmpstore_rtn_b32 v6, v6, v5, v7
	s_wait_dscnt 0x0
	v_cmp_ne_u32_e32 vcc_lo, s33, v6
	s_and_b32 s8, vcc_lo, exec_lo
	s_delay_alu instid0(SALU_CYCLE_1)
	s_or_b32 s6, s6, s8
.LBB169_72:                             ;   in Loop: Header=BB169_68 Depth=2
	s_or_b32 exec_lo, exec_lo, s7
	s_mov_b32 s7, -1
                                        ; implicit-def: $vgpr6
                                        ; implicit-def: $vgpr7
	s_and_saveexec_b32 s8, s6
	s_cbranch_execz .LBB169_67
; %bb.73:                               ;   in Loop: Header=BB169_68 Depth=2
	v_lshl_add_u32 v6, v4, 2, 0
	ds_load_b32 v7, v6
	s_wait_dscnt 0x0
	v_cmp_eq_u32_e32 vcc_lo, v7, v5
	s_or_not1_b32 s7, vcc_lo, exec_lo
	s_branch .LBB169_67
.LBB169_74:
	s_or_b32 exec_lo, exec_lo, s16
	s_wait_kmcnt 0x0
	s_ashr_i32 s29, s28, 31
	s_delay_alu instid0(SALU_CYCLE_1) | instskip(NEXT) | instid1(SALU_CYCLE_1)
	s_lshl_b64 s[0:1], s[28:29], 3
	s_add_nc_u64 s[4:5], s[18:19], s[0:1]
	s_load_b128 s[0:3], s[4:5], 0x0
	s_wait_xcnt 0x0
	s_mov_b32 s4, exec_lo
	s_wait_kmcnt 0x0
	s_sub_co_i32 s3, s2, s0
	s_delay_alu instid0(SALU_CYCLE_1)
	v_cmpx_gt_i32_e64 s3, v0
	s_cbranch_execz .LBB169_84
; %bb.75:
	s_sub_co_i32 s4, s0, s2
	s_and_b32 s2, s3, 7
	s_cmp_lt_u32 s4, -7
	s_mov_b32 s23, 0
	s_cselect_b32 s4, -1, 0
	s_and_b32 s5, s3, -8
	s_cmp_lg_u32 s2, 0
	s_sub_nc_u64 s[0:1], s[0:1], s[22:23]
	s_cselect_b32 s6, -1, 0
	s_mov_b32 s7, 0
	s_branch .LBB169_77
.LBB169_76:                             ;   in Loop: Header=BB169_77 Depth=1
	v_add_nc_u32_e32 v0, 0x400, v0
	s_delay_alu instid0(VALU_DEP_2) | instskip(NEXT) | instid1(VALU_DEP_2)
	v_lshl_add_u64 v[4:5], v[4:5], 2, s[34:35]
	v_cmp_le_i32_e32 vcc_lo, s3, v0
	s_wait_dscnt 0x0
	global_store_b32 v[4:5], v3, off
	s_or_b32 s7, vcc_lo, s7
	s_wait_xcnt 0x0
	s_and_not1_b32 exec_lo, exec_lo, s7
	s_cbranch_execz .LBB169_84
.LBB169_77:                             ; =>This Loop Header: Depth=1
                                        ;     Child Loop BB169_79 Depth 2
                                        ;     Child Loop BB169_83 Depth 2
	v_lshl_add_u32 v1, v0, 2, 0
	v_mov_b64_e32 v[4:5], s[0:1]
	s_and_not1_b32 vcc_lo, exec_lo, s4
	s_mov_b32 s8, 0
	ds_load_2addr_stride64_b32 v[2:3], v1 offset1:32
	s_cbranch_vccnz .LBB169_81
; %bb.78:                               ;   in Loop: Header=BB169_77 Depth=1
	v_mov_b64_e32 v[4:5], s[0:1]
	s_mov_b32 s9, 0
.LBB169_79:                             ;   Parent Loop BB169_77 Depth=1
                                        ; =>  This Inner Loop Header: Depth=2
	s_delay_alu instid0(SALU_CYCLE_1)
	v_dual_mov_b32 v1, s9 :: v_dual_mov_b32 v11, s23
	v_mov_b32_e32 v17, s23
	s_add_co_i32 s8, s8, 8
	s_add_co_i32 s9, s9, 32
	ds_load_2addr_b32 v[6:7], v1 offset1:1
	ds_load_2addr_b32 v[8:9], v1 offset0:2 offset1:3
	ds_load_2addr_b32 v[12:13], v1 offset0:4 offset1:5
	;; [unrolled: 1-line block ×3, first 2 shown]
	s_cmp_eq_u32 s5, s8
	s_wait_dscnt 0x3
	v_cmp_gt_i32_e32 vcc_lo, v2, v6
	v_cndmask_b32_e64 v10, 0, 1, vcc_lo
	v_cmp_gt_i32_e32 vcc_lo, v2, v7
	v_mov_b32_e32 v7, s23
	s_delay_alu instid0(VALU_DEP_3) | instskip(SKIP_4) | instid1(VALU_DEP_3)
	v_add_nc_u64_e32 v[4:5], v[4:5], v[10:11]
	v_cndmask_b32_e64 v16, 0, 1, vcc_lo
	s_wait_dscnt 0x2
	v_cmp_gt_i32_e32 vcc_lo, v2, v8
	v_cndmask_b32_e64 v6, 0, 1, vcc_lo
	v_add_nc_u64_e32 v[4:5], v[4:5], v[16:17]
	v_cmp_gt_i32_e32 vcc_lo, v2, v9
	v_mov_b32_e32 v9, s23
	v_cndmask_b32_e64 v10, 0, 1, vcc_lo
	s_delay_alu instid0(VALU_DEP_4) | instskip(SKIP_3) | instid1(VALU_DEP_3)
	v_add_nc_u64_e32 v[4:5], v[4:5], v[6:7]
	s_wait_dscnt 0x1
	v_cmp_gt_i32_e32 vcc_lo, v2, v12
	v_cndmask_b32_e64 v6, 0, 1, vcc_lo
	v_add_nc_u64_e32 v[4:5], v[4:5], v[10:11]
	v_cmp_gt_i32_e32 vcc_lo, v2, v13
	v_cndmask_b32_e64 v8, 0, 1, vcc_lo
	s_delay_alu instid0(VALU_DEP_3) | instskip(SKIP_3) | instid1(VALU_DEP_3)
	v_add_nc_u64_e32 v[4:5], v[4:5], v[6:7]
	s_wait_dscnt 0x0
	v_cmp_gt_i32_e32 vcc_lo, v2, v14
	v_cndmask_b32_e64 v6, 0, 1, vcc_lo
	v_add_nc_u64_e32 v[4:5], v[4:5], v[8:9]
	v_cmp_gt_i32_e32 vcc_lo, v2, v15
	v_cndmask_b32_e64 v8, 0, 1, vcc_lo
	s_delay_alu instid0(VALU_DEP_3) | instskip(NEXT) | instid1(VALU_DEP_1)
	v_add_nc_u64_e32 v[4:5], v[4:5], v[6:7]
	v_add_nc_u64_e32 v[4:5], v[4:5], v[8:9]
	s_cbranch_scc0 .LBB169_79
; %bb.80:                               ;   in Loop: Header=BB169_77 Depth=1
	s_mov_b32 s8, s5
.LBB169_81:                             ;   in Loop: Header=BB169_77 Depth=1
	s_and_not1_b32 vcc_lo, exec_lo, s6
	s_cbranch_vccnz .LBB169_76
; %bb.82:                               ;   in Loop: Header=BB169_77 Depth=1
	s_lshl_b32 s8, s8, 2
	s_mov_b32 s9, s2
	s_add_co_i32 s8, s8, 0
.LBB169_83:                             ;   Parent Loop BB169_77 Depth=1
                                        ; =>  This Inner Loop Header: Depth=2
	s_delay_alu instid0(SALU_CYCLE_1)
	v_dual_mov_b32 v1, s8 :: v_dual_mov_b32 v7, s23
	s_add_co_i32 s9, s9, -1
	s_add_co_i32 s8, s8, 4
	s_cmp_lg_u32 s9, 0
	ds_load_b32 v1, v1
	s_wait_dscnt 0x0
	v_cmp_gt_i32_e32 vcc_lo, v2, v1
	v_cndmask_b32_e64 v6, 0, 1, vcc_lo
	s_delay_alu instid0(VALU_DEP_1)
	v_add_nc_u64_e32 v[4:5], v[4:5], v[6:7]
	s_cbranch_scc1 .LBB169_83
	s_branch .LBB169_76
.LBB169_84:
	s_endpgm
	.section	.rodata,"a",@progbits
	.p2align	6, 0x0
	.amdhsa_kernel _ZN9rocsparseL41csrgemm_numeric_fill_block_per_row_kernelILj1024ELj32ELj2048ELj137ELj64ElifEEvT5_PKS1_S3_NS_24const_host_device_scalarIT6_EEPKT4_S3_PKS5_S9_S3_SB_S6_S9_S3_SB_S9_S3_PS5_21rocsparse_index_base_SD_SD_SD_bbb
		.amdhsa_group_segment_fixed_size 0
		.amdhsa_private_segment_fixed_size 0
		.amdhsa_kernarg_size 156
		.amdhsa_user_sgpr_count 2
		.amdhsa_user_sgpr_dispatch_ptr 0
		.amdhsa_user_sgpr_queue_ptr 0
		.amdhsa_user_sgpr_kernarg_segment_ptr 1
		.amdhsa_user_sgpr_dispatch_id 0
		.amdhsa_user_sgpr_kernarg_preload_length 0
		.amdhsa_user_sgpr_kernarg_preload_offset 0
		.amdhsa_user_sgpr_private_segment_size 0
		.amdhsa_wavefront_size32 1
		.amdhsa_uses_dynamic_stack 0
		.amdhsa_enable_private_segment 0
		.amdhsa_system_sgpr_workgroup_id_x 1
		.amdhsa_system_sgpr_workgroup_id_y 0
		.amdhsa_system_sgpr_workgroup_id_z 0
		.amdhsa_system_sgpr_workgroup_info 0
		.amdhsa_system_vgpr_workitem_id 0
		.amdhsa_next_free_vgpr 18
		.amdhsa_next_free_sgpr 44
		.amdhsa_named_barrier_count 0
		.amdhsa_reserve_vcc 1
		.amdhsa_float_round_mode_32 0
		.amdhsa_float_round_mode_16_64 0
		.amdhsa_float_denorm_mode_32 3
		.amdhsa_float_denorm_mode_16_64 3
		.amdhsa_fp16_overflow 0
		.amdhsa_memory_ordered 1
		.amdhsa_forward_progress 1
		.amdhsa_inst_pref_size 25
		.amdhsa_round_robin_scheduling 0
		.amdhsa_exception_fp_ieee_invalid_op 0
		.amdhsa_exception_fp_denorm_src 0
		.amdhsa_exception_fp_ieee_div_zero 0
		.amdhsa_exception_fp_ieee_overflow 0
		.amdhsa_exception_fp_ieee_underflow 0
		.amdhsa_exception_fp_ieee_inexact 0
		.amdhsa_exception_int_div_zero 0
	.end_amdhsa_kernel
	.section	.text._ZN9rocsparseL41csrgemm_numeric_fill_block_per_row_kernelILj1024ELj32ELj2048ELj137ELj64ElifEEvT5_PKS1_S3_NS_24const_host_device_scalarIT6_EEPKT4_S3_PKS5_S9_S3_SB_S6_S9_S3_SB_S9_S3_PS5_21rocsparse_index_base_SD_SD_SD_bbb,"axG",@progbits,_ZN9rocsparseL41csrgemm_numeric_fill_block_per_row_kernelILj1024ELj32ELj2048ELj137ELj64ElifEEvT5_PKS1_S3_NS_24const_host_device_scalarIT6_EEPKT4_S3_PKS5_S9_S3_SB_S6_S9_S3_SB_S9_S3_PS5_21rocsparse_index_base_SD_SD_SD_bbb,comdat
.Lfunc_end169:
	.size	_ZN9rocsparseL41csrgemm_numeric_fill_block_per_row_kernelILj1024ELj32ELj2048ELj137ELj64ElifEEvT5_PKS1_S3_NS_24const_host_device_scalarIT6_EEPKT4_S3_PKS5_S9_S3_SB_S6_S9_S3_SB_S9_S3_PS5_21rocsparse_index_base_SD_SD_SD_bbb, .Lfunc_end169-_ZN9rocsparseL41csrgemm_numeric_fill_block_per_row_kernelILj1024ELj32ELj2048ELj137ELj64ElifEEvT5_PKS1_S3_NS_24const_host_device_scalarIT6_EEPKT4_S3_PKS5_S9_S3_SB_S6_S9_S3_SB_S9_S3_PS5_21rocsparse_index_base_SD_SD_SD_bbb
                                        ; -- End function
	.set _ZN9rocsparseL41csrgemm_numeric_fill_block_per_row_kernelILj1024ELj32ELj2048ELj137ELj64ElifEEvT5_PKS1_S3_NS_24const_host_device_scalarIT6_EEPKT4_S3_PKS5_S9_S3_SB_S6_S9_S3_SB_S9_S3_PS5_21rocsparse_index_base_SD_SD_SD_bbb.num_vgpr, 18
	.set _ZN9rocsparseL41csrgemm_numeric_fill_block_per_row_kernelILj1024ELj32ELj2048ELj137ELj64ElifEEvT5_PKS1_S3_NS_24const_host_device_scalarIT6_EEPKT4_S3_PKS5_S9_S3_SB_S6_S9_S3_SB_S9_S3_PS5_21rocsparse_index_base_SD_SD_SD_bbb.num_agpr, 0
	.set _ZN9rocsparseL41csrgemm_numeric_fill_block_per_row_kernelILj1024ELj32ELj2048ELj137ELj64ElifEEvT5_PKS1_S3_NS_24const_host_device_scalarIT6_EEPKT4_S3_PKS5_S9_S3_SB_S6_S9_S3_SB_S9_S3_PS5_21rocsparse_index_base_SD_SD_SD_bbb.numbered_sgpr, 44
	.set _ZN9rocsparseL41csrgemm_numeric_fill_block_per_row_kernelILj1024ELj32ELj2048ELj137ELj64ElifEEvT5_PKS1_S3_NS_24const_host_device_scalarIT6_EEPKT4_S3_PKS5_S9_S3_SB_S6_S9_S3_SB_S9_S3_PS5_21rocsparse_index_base_SD_SD_SD_bbb.num_named_barrier, 0
	.set _ZN9rocsparseL41csrgemm_numeric_fill_block_per_row_kernelILj1024ELj32ELj2048ELj137ELj64ElifEEvT5_PKS1_S3_NS_24const_host_device_scalarIT6_EEPKT4_S3_PKS5_S9_S3_SB_S6_S9_S3_SB_S9_S3_PS5_21rocsparse_index_base_SD_SD_SD_bbb.private_seg_size, 0
	.set _ZN9rocsparseL41csrgemm_numeric_fill_block_per_row_kernelILj1024ELj32ELj2048ELj137ELj64ElifEEvT5_PKS1_S3_NS_24const_host_device_scalarIT6_EEPKT4_S3_PKS5_S9_S3_SB_S6_S9_S3_SB_S9_S3_PS5_21rocsparse_index_base_SD_SD_SD_bbb.uses_vcc, 1
	.set _ZN9rocsparseL41csrgemm_numeric_fill_block_per_row_kernelILj1024ELj32ELj2048ELj137ELj64ElifEEvT5_PKS1_S3_NS_24const_host_device_scalarIT6_EEPKT4_S3_PKS5_S9_S3_SB_S6_S9_S3_SB_S9_S3_PS5_21rocsparse_index_base_SD_SD_SD_bbb.uses_flat_scratch, 0
	.set _ZN9rocsparseL41csrgemm_numeric_fill_block_per_row_kernelILj1024ELj32ELj2048ELj137ELj64ElifEEvT5_PKS1_S3_NS_24const_host_device_scalarIT6_EEPKT4_S3_PKS5_S9_S3_SB_S6_S9_S3_SB_S9_S3_PS5_21rocsparse_index_base_SD_SD_SD_bbb.has_dyn_sized_stack, 0
	.set _ZN9rocsparseL41csrgemm_numeric_fill_block_per_row_kernelILj1024ELj32ELj2048ELj137ELj64ElifEEvT5_PKS1_S3_NS_24const_host_device_scalarIT6_EEPKT4_S3_PKS5_S9_S3_SB_S6_S9_S3_SB_S9_S3_PS5_21rocsparse_index_base_SD_SD_SD_bbb.has_recursion, 0
	.set _ZN9rocsparseL41csrgemm_numeric_fill_block_per_row_kernelILj1024ELj32ELj2048ELj137ELj64ElifEEvT5_PKS1_S3_NS_24const_host_device_scalarIT6_EEPKT4_S3_PKS5_S9_S3_SB_S6_S9_S3_SB_S9_S3_PS5_21rocsparse_index_base_SD_SD_SD_bbb.has_indirect_call, 0
	.section	.AMDGPU.csdata,"",@progbits
; Kernel info:
; codeLenInByte = 3160
; TotalNumSgprs: 46
; NumVgprs: 18
; ScratchSize: 0
; MemoryBound: 0
; FloatMode: 240
; IeeeMode: 1
; LDSByteSize: 0 bytes/workgroup (compile time only)
; SGPRBlocks: 0
; VGPRBlocks: 1
; NumSGPRsForWavesPerEU: 46
; NumVGPRsForWavesPerEU: 18
; NamedBarCnt: 0
; Occupancy: 16
; WaveLimiterHint : 1
; COMPUTE_PGM_RSRC2:SCRATCH_EN: 0
; COMPUTE_PGM_RSRC2:USER_SGPR: 2
; COMPUTE_PGM_RSRC2:TRAP_HANDLER: 0
; COMPUTE_PGM_RSRC2:TGID_X_EN: 1
; COMPUTE_PGM_RSRC2:TGID_Y_EN: 0
; COMPUTE_PGM_RSRC2:TGID_Z_EN: 0
; COMPUTE_PGM_RSRC2:TIDIG_COMP_CNT: 0
	.section	.text._ZN9rocsparseL41csrgemm_numeric_fill_block_per_row_kernelILj1024ELj64ELj4096ELj137ELj32ElifEEvT5_PKS1_S3_NS_24const_host_device_scalarIT6_EEPKT4_S3_PKS5_S9_S3_SB_S6_S9_S3_SB_S9_S3_PS5_21rocsparse_index_base_SD_SD_SD_bbb,"axG",@progbits,_ZN9rocsparseL41csrgemm_numeric_fill_block_per_row_kernelILj1024ELj64ELj4096ELj137ELj32ElifEEvT5_PKS1_S3_NS_24const_host_device_scalarIT6_EEPKT4_S3_PKS5_S9_S3_SB_S6_S9_S3_SB_S9_S3_PS5_21rocsparse_index_base_SD_SD_SD_bbb,comdat
	.globl	_ZN9rocsparseL41csrgemm_numeric_fill_block_per_row_kernelILj1024ELj64ELj4096ELj137ELj32ElifEEvT5_PKS1_S3_NS_24const_host_device_scalarIT6_EEPKT4_S3_PKS5_S9_S3_SB_S6_S9_S3_SB_S9_S3_PS5_21rocsparse_index_base_SD_SD_SD_bbb ; -- Begin function _ZN9rocsparseL41csrgemm_numeric_fill_block_per_row_kernelILj1024ELj64ELj4096ELj137ELj32ElifEEvT5_PKS1_S3_NS_24const_host_device_scalarIT6_EEPKT4_S3_PKS5_S9_S3_SB_S6_S9_S3_SB_S9_S3_PS5_21rocsparse_index_base_SD_SD_SD_bbb
	.p2align	8
	.type	_ZN9rocsparseL41csrgemm_numeric_fill_block_per_row_kernelILj1024ELj64ELj4096ELj137ELj32ElifEEvT5_PKS1_S3_NS_24const_host_device_scalarIT6_EEPKT4_S3_PKS5_S9_S3_SB_S6_S9_S3_SB_S9_S3_PS5_21rocsparse_index_base_SD_SD_SD_bbb,@function
_ZN9rocsparseL41csrgemm_numeric_fill_block_per_row_kernelILj1024ELj64ELj4096ELj137ELj32ElifEEvT5_PKS1_S3_NS_24const_host_device_scalarIT6_EEPKT4_S3_PKS5_S9_S3_SB_S6_S9_S3_SB_S9_S3_PS5_21rocsparse_index_base_SD_SD_SD_bbb: ; @_ZN9rocsparseL41csrgemm_numeric_fill_block_per_row_kernelILj1024ELj64ELj4096ELj137ELj32ElifEEvT5_PKS1_S3_NS_24const_host_device_scalarIT6_EEPKT4_S3_PKS5_S9_S3_SB_S6_S9_S3_SB_S9_S3_PS5_21rocsparse_index_base_SD_SD_SD_bbb
; %bb.0:
	s_clause 0x3
	s_load_b32 s6, s[0:1], 0x98
	s_load_b64 s[4:5], s[0:1], 0x18
	s_load_b128 s[44:47], s[0:1], 0x88
	s_load_b64 s[2:3], s[0:1], 0x50
	s_wait_kmcnt 0x0
	s_and_b32 s8, 1, s6
	s_bitcmp1_b32 s6, 16
	s_cselect_b32 s7, -1, 0
	s_cmp_eq_u32 s8, 1
	s_cselect_b32 s23, -1, 0
	s_delay_alu instid0(SALU_CYCLE_1) | instskip(SKIP_2) | instid1(SALU_CYCLE_1)
	s_and_b32 s8, s23, exec_lo
	s_cselect_b32 s21, s4, 0
	s_xor_b32 s8, s23, -1
	s_or_b32 s8, s7, s8
	s_delay_alu instid0(SALU_CYCLE_1)
	s_and_b32 vcc_lo, exec_lo, s8
	s_cbranch_vccnz .LBB170_2
; %bb.1:
	s_load_b32 s21, s[4:5], 0x0
.LBB170_2:
	s_load_b128 s[16:19], s[0:1], 0x8
	s_bitcmp1_b32 s6, 8
	s_cselect_b32 s22, -1, 0
	s_wait_xcnt 0x0
	s_and_b32 s4, s22, exec_lo
	s_cselect_b32 s20, s2, 0
	s_xor_b32 s4, s22, -1
	s_delay_alu instid0(SALU_CYCLE_1) | instskip(NEXT) | instid1(SALU_CYCLE_1)
	s_or_b32 s4, s7, s4
	s_and_b32 vcc_lo, exec_lo, s4
	s_cbranch_vccnz .LBB170_4
; %bb.3:
	s_load_b32 s20, s[2:3], 0x0
.LBB170_4:
	s_clause 0x4
	s_load_b32 s33, s[0:1], 0x0
	s_load_b64 s[34:35], s[0:1], 0x80
	s_load_b256 s[36:43], s[0:1], 0x58
	s_load_b128 s[12:15], s[0:1], 0x40
	s_load_b256 s[4:11], s[0:1], 0x20
	v_lshl_add_u32 v10, v0, 2, 0
	v_or_b32_e32 v11, 0xfffffc00, v0
	v_mov_b32_e32 v1, 0
	s_wait_xcnt 0x0
	s_mov_b32 s0, 0
	s_delay_alu instid0(VALU_DEP_2)
	v_dual_mov_b32 v2, v10 :: v_dual_mov_b32 v4, v11
	s_wait_kmcnt 0x0
	v_mov_b32_e32 v3, s33
.LBB170_5:                              ; =>This Inner Loop Header: Depth=1
	s_delay_alu instid0(VALU_DEP_2) | instskip(SKIP_4) | instid1(SALU_CYCLE_1)
	v_add_nc_u32_e32 v4, 0x400, v4
	ds_store_2addr_stride64_b32 v2, v3, v1 offset1:64
	v_add_nc_u32_e32 v2, 0x1000, v2
	v_cmp_lt_u32_e32 vcc_lo, 0xbff, v4
	s_or_b32 s0, vcc_lo, s0
	s_and_not1_b32 exec_lo, exec_lo, s0
	s_cbranch_execnz .LBB170_5
; %bb.6:
	s_or_b32 exec_lo, exec_lo, s0
	s_wait_dscnt 0x0
	s_barrier_signal -1
	s_barrier_wait -1
	s_load_b32 s0, s[16:17], 0x0
	s_bfe_u32 s1, ttmp6, 0x4000c
	s_and_b32 s2, ttmp6, 15
	s_add_co_i32 s1, s1, 1
	s_getreg_b32 s3, hwreg(HW_REG_IB_STS2, 6, 4)
	s_mul_i32 s1, ttmp9, s1
	s_delay_alu instid0(SALU_CYCLE_1)
	s_add_co_i32 s2, s2, s1
	s_cmp_eq_u32 s3, 0
	s_cselect_b32 s1, ttmp9, s2
	s_and_b32 vcc_lo, s23, exec_lo
	s_wait_kmcnt 0x0
	s_add_co_i32 s0, s0, s1
	s_mov_b32 s1, 0
	s_load_b32 s48, s[18:19], s0 offset:0x0 scale_offset
	s_cbranch_vccz .LBB170_24
; %bb.7:
	s_wait_kmcnt 0x0
	s_ashr_i32 s49, s48, 31
	v_dual_mov_b32 v5, 0 :: v_dual_lshrrev_b32 v4, 6, v0
	s_lshl_b64 s[2:3], s[48:49], 3
	s_mov_b32 s0, s44
	s_add_nc_u64 s[2:3], s[4:5], s[2:3]
	s_mov_b32 s4, exec_lo
	s_load_b128 s[16:19], s[2:3], 0x0
	v_sub_nc_u64_e64 v[2:3], v[4:5], s[0:1]
	s_wait_kmcnt 0x0
	s_delay_alu instid0(VALU_DEP_1)
	v_add_nc_u64_e32 v[2:3], s[16:17], v[2:3]
	s_sub_nc_u64 s[0:1], s[18:19], s[0:1]
	s_delay_alu instid0(VALU_DEP_1) | instid1(SALU_CYCLE_1)
	v_cmpx_gt_i64_e64 s[0:1], v[2:3]
	s_cbranch_execz .LBB170_23
; %bb.8:
	v_and_b32_e32 v4, 63, v0
	s_mov_b32 s3, 0
	s_mov_b32 s2, s45
	;; [unrolled: 1-line block ×3, first 2 shown]
	s_delay_alu instid0(VALU_DEP_1)
	v_sub_nc_u64_e64 v[4:5], v[4:5], s[2:3]
	s_branch .LBB170_10
.LBB170_9:                              ;   in Loop: Header=BB170_10 Depth=1
	s_or_b32 exec_lo, exec_lo, s16
	v_add_nc_u64_e32 v[2:3], 16, v[2:3]
	s_delay_alu instid0(VALU_DEP_1) | instskip(SKIP_1) | instid1(SALU_CYCLE_1)
	v_cmp_le_i64_e32 vcc_lo, s[0:1], v[2:3]
	s_or_b32 s5, vcc_lo, s5
	s_and_not1_b32 exec_lo, exec_lo, s5
	s_cbranch_execz .LBB170_23
.LBB170_10:                             ; =>This Loop Header: Depth=1
                                        ;     Child Loop BB170_14 Depth 2
                                        ;       Child Loop BB170_17 Depth 3
	v_lshl_add_u64 v[6:7], v[2:3], 2, s[6:7]
	s_mov_b32 s16, exec_lo
	global_load_b32 v1, v[6:7], off
	s_wait_loadcnt 0x0
	s_wait_xcnt 0x0
	v_subrev_nc_u32_e32 v6, s44, v1
	s_delay_alu instid0(VALU_DEP_1) | instskip(NEXT) | instid1(VALU_DEP_1)
	v_ashrrev_i32_e32 v7, 31, v6
	v_lshl_add_u64 v[6:7], v[6:7], 3, s[10:11]
	global_load_b128 v[12:15], v[6:7], off
	s_wait_loadcnt 0x0
	s_wait_xcnt 0x0
	v_sub_nc_u64_e64 v[6:7], v[14:15], s[2:3]
	v_add_nc_u64_e32 v[8:9], v[12:13], v[4:5]
	s_delay_alu instid0(VALU_DEP_1)
	v_cmpx_lt_i64_e64 v[8:9], v[6:7]
	s_cbranch_execz .LBB170_9
; %bb.11:                               ;   in Loop: Header=BB170_10 Depth=1
	v_lshl_add_u64 v[12:13], v[2:3], 2, s[8:9]
	s_mov_b32 s17, 0
	global_load_b32 v1, v[12:13], off
	s_wait_loadcnt 0x0
	v_mul_f32_e32 v1, s21, v1
	s_branch .LBB170_14
.LBB170_12:                             ;   in Loop: Header=BB170_14 Depth=2
	s_or_b32 exec_lo, exec_lo, s19
.LBB170_13:                             ;   in Loop: Header=BB170_14 Depth=2
	s_delay_alu instid0(SALU_CYCLE_1)
	s_or_b32 exec_lo, exec_lo, s18
	s_wait_loadcnt 0x0
	v_mul_f32_e32 v12, v1, v12
	v_lshl_add_u32 v13, v13, 2, 0
	v_add_nc_u64_e32 v[8:9], 64, v[8:9]
	ds_add_f32 v13, v12 offset:16384
	v_cmp_ge_i64_e32 vcc_lo, v[8:9], v[6:7]
	s_or_b32 s17, vcc_lo, s17
	s_delay_alu instid0(SALU_CYCLE_1)
	s_and_not1_b32 exec_lo, exec_lo, s17
	s_cbranch_execz .LBB170_9
.LBB170_14:                             ;   Parent Loop BB170_10 Depth=1
                                        ; =>  This Loop Header: Depth=2
                                        ;       Child Loop BB170_17 Depth 3
	s_wait_xcnt 0x0
	v_lshlrev_b64_e32 v[12:13], 2, v[8:9]
	s_mov_b32 s18, exec_lo
	s_delay_alu instid0(VALU_DEP_1)
	v_add_nc_u64_e32 v[14:15], s[12:13], v[12:13]
	v_add_nc_u64_e32 v[12:13], s[14:15], v[12:13]
	global_load_b32 v14, v[14:15], off
	global_load_b32 v12, v[12:13], off
	s_wait_loadcnt 0x1
	s_wait_xcnt 0x1
	v_subrev_nc_u32_e32 v14, s45, v14
	s_wait_xcnt 0x0
	s_delay_alu instid0(VALU_DEP_1) | instskip(NEXT) | instid1(VALU_DEP_1)
	v_mul_lo_u32 v13, 0x89, v14
	v_and_b32_e32 v13, 0xfff, v13
	s_delay_alu instid0(VALU_DEP_1)
	v_lshl_add_u32 v15, v13, 2, 0
	ds_load_b32 v16, v15
	s_wait_dscnt 0x0
	v_cmpx_ne_u32_e64 v16, v14
	s_cbranch_execz .LBB170_13
; %bb.15:                               ;   in Loop: Header=BB170_14 Depth=2
	s_mov_b32 s19, 0
	s_branch .LBB170_17
.LBB170_16:                             ;   in Loop: Header=BB170_17 Depth=3
	s_or_b32 exec_lo, exec_lo, s25
	s_delay_alu instid0(SALU_CYCLE_1) | instskip(NEXT) | instid1(SALU_CYCLE_1)
	s_and_b32 s23, exec_lo, s24
	s_or_b32 s19, s23, s19
	s_delay_alu instid0(SALU_CYCLE_1)
	s_and_not1_b32 exec_lo, exec_lo, s19
	s_cbranch_execz .LBB170_12
.LBB170_17:                             ;   Parent Loop BB170_10 Depth=1
                                        ;     Parent Loop BB170_14 Depth=2
                                        ; =>    This Inner Loop Header: Depth=3
	s_mov_b32 s23, 0
	s_mov_b32 s24, exec_lo
	v_cmpx_ne_u32_e64 s33, v16
	s_xor_b32 s24, exec_lo, s24
	s_cbranch_execz .LBB170_19
; %bb.18:                               ;   in Loop: Header=BB170_17 Depth=3
	v_add_nc_u32_e32 v13, 1, v13
	s_mov_b32 s23, exec_lo
                                        ; implicit-def: $vgpr15
	s_delay_alu instid0(VALU_DEP_1)
	v_and_b32_e32 v13, 0xfff, v13
	s_and_not1_saveexec_b32 s24, s24
	s_cbranch_execz .LBB170_21
	s_branch .LBB170_20
.LBB170_19:                             ;   in Loop: Header=BB170_17 Depth=3
	s_and_not1_saveexec_b32 s24, s24
	s_cbranch_execz .LBB170_21
.LBB170_20:                             ;   in Loop: Header=BB170_17 Depth=3
	v_mov_b32_e32 v16, s33
	s_and_not1_b32 s23, s23, exec_lo
	ds_cmpstore_rtn_b32 v15, v15, v14, v16
	s_wait_dscnt 0x0
	v_cmp_ne_u32_e32 vcc_lo, s33, v15
	s_and_b32 s25, vcc_lo, exec_lo
	s_delay_alu instid0(SALU_CYCLE_1)
	s_or_b32 s23, s23, s25
.LBB170_21:                             ;   in Loop: Header=BB170_17 Depth=3
	s_or_b32 exec_lo, exec_lo, s24
	s_mov_b32 s24, -1
                                        ; implicit-def: $vgpr15
                                        ; implicit-def: $vgpr16
	s_and_saveexec_b32 s25, s23
	s_cbranch_execz .LBB170_16
; %bb.22:                               ;   in Loop: Header=BB170_17 Depth=3
	v_lshl_add_u32 v15, v13, 2, 0
	ds_load_b32 v16, v15
	s_wait_dscnt 0x0
	v_cmp_eq_u32_e32 vcc_lo, v16, v14
	s_or_not1_b32 s24, vcc_lo, exec_lo
	s_branch .LBB170_16
.LBB170_23:
	s_or_b32 exec_lo, exec_lo, s4
.LBB170_24:
	s_delay_alu instid0(SALU_CYCLE_1)
	s_and_not1_b32 vcc_lo, exec_lo, s22
	s_cbranch_vccnz .LBB170_27
; %bb.25:
	s_wait_kmcnt 0x0
	s_ashr_i32 s49, s48, 31
	v_mov_b32_e32 v1, 0
	s_lshl_b64 s[0:1], s[48:49], 3
	s_delay_alu instid0(SALU_CYCLE_1) | instskip(SKIP_4) | instid1(SALU_CYCLE_1)
	s_add_nc_u64 s[0:1], s[36:37], s[0:1]
	s_load_b128 s[4:7], s[0:1], 0x0
	s_wait_xcnt 0x0
	s_mov_b32 s1, 0
	s_mov_b32 s0, s47
	v_sub_nc_u64_e64 v[2:3], v[0:1], s[0:1]
	s_wait_kmcnt 0x0
	s_delay_alu instid0(VALU_DEP_1) | instskip(SKIP_2) | instid1(VALU_DEP_1)
	v_add_nc_u64_e32 v[2:3], s[4:5], v[2:3]
	s_sub_nc_u64 s[2:3], s[6:7], s[0:1]
	s_mov_b32 s0, exec_lo
	v_cmpx_gt_i64_e64 s[2:3], v[2:3]
	s_cbranch_execnz .LBB170_97
.LBB170_26:
	s_or_b32 exec_lo, exec_lo, s0
.LBB170_27:
	v_mbcnt_lo_u32_b32 v2, -1, 0
	v_dual_lshrrev_b32 v3, 3, v0 :: v_dual_mov_b32 v1, 0
	s_wait_xcnt 0x0
	v_cmp_lt_u32_e64 s0, 31, v0
	v_cmp_lt_u32_e64 s1, 63, v0
	;; [unrolled: 1-line block ×3, first 2 shown]
	v_and_b32_e32 v3, 0x7c, v3
	v_xor_b32_e32 v2, 31, v2
	v_cmp_lt_u32_e64 s3, 0x7f, v0
	v_cmp_lt_u32_e64 s4, 0x9f, v0
	;; [unrolled: 1-line block ×3, first 2 shown]
	v_add_nc_u32_e32 v3, 0, v3
	v_lshrrev_b32_e64 v2, v2, -1
	v_cmp_lt_u32_e64 s6, 0xdf, v0
	v_cmp_lt_u32_e64 s7, 0xff, v0
	;; [unrolled: 1-line block ×25, first 2 shown]
	v_mov_b32_e32 v6, 0
	s_mov_b32 s36, 0
	s_wait_dscnt 0x0
	v_cmp_eq_u32_e32 vcc_lo, 0x3ff, v0
	s_barrier_signal -1
	s_barrier_wait -1
	s_branch .LBB170_29
.LBB170_28:                             ;   in Loop: Header=BB170_29 Depth=1
	s_or_b32 exec_lo, exec_lo, s31
	s_wait_dscnt 0x0
	s_barrier_signal -1
	s_barrier_wait -1
	ds_load_b32 v4, v1 offset:32892
	v_add_nc_u32_e32 v11, 0x400, v11
	v_add_nc_u32_e32 v10, 0x1000, v10
	s_delay_alu instid0(VALU_DEP_2)
	v_cmp_lt_u32_e64 s31, 0xbff, v11
	s_or_b32 s36, s31, s36
	s_wait_dscnt 0x0
	v_add_nc_u32_e32 v6, v4, v6
	s_and_not1_b32 exec_lo, exec_lo, s36
	s_cbranch_execz .LBB170_106
.LBB170_29:                             ; =>This Inner Loop Header: Depth=1
	ds_load_2addr_stride64_b32 v[4:5], v10 offset1:64
	s_wait_dscnt 0x0
	s_barrier_signal -1
	s_barrier_wait -1
	v_cmp_gt_i32_e64 s31, s33, v4
	s_bcnt1_i32_b32 s37, s31
	s_delay_alu instid0(SALU_CYCLE_1) | instskip(NEXT) | instid1(VALU_DEP_1)
	v_dual_mov_b32 v8, s37 :: v_dual_bitop2_b32 v7, s31, v2 bitop3:0x40
	v_bcnt_u32_b32 v7, v7, 0
	ds_store_b32 v3, v8 offset:32768
	s_wait_dscnt 0x0
	s_barrier_signal -1
	s_barrier_wait -1
	s_and_saveexec_b32 s37, s0
	s_cbranch_execz .LBB170_62
; %bb.30:                               ;   in Loop: Header=BB170_29 Depth=1
	ds_load_b32 v8, v1 offset:32768
	s_wait_dscnt 0x0
	v_add_nc_u32_e32 v7, v8, v7
	s_or_b32 exec_lo, exec_lo, s37
	s_and_saveexec_b32 s37, s1
	s_cbranch_execnz .LBB170_63
.LBB170_31:                             ;   in Loop: Header=BB170_29 Depth=1
	s_or_b32 exec_lo, exec_lo, s37
	s_and_saveexec_b32 s37, s2
	s_cbranch_execz .LBB170_64
.LBB170_32:                             ;   in Loop: Header=BB170_29 Depth=1
	ds_load_b32 v8, v1 offset:32776
	s_wait_dscnt 0x0
	v_add_nc_u32_e32 v7, v8, v7
	s_or_b32 exec_lo, exec_lo, s37
	s_and_saveexec_b32 s37, s3
	s_cbranch_execnz .LBB170_65
.LBB170_33:                             ;   in Loop: Header=BB170_29 Depth=1
	s_or_b32 exec_lo, exec_lo, s37
	s_and_saveexec_b32 s37, s4
	s_cbranch_execz .LBB170_66
.LBB170_34:                             ;   in Loop: Header=BB170_29 Depth=1
	ds_load_b32 v8, v1 offset:32784
	s_wait_dscnt 0x0
	v_add_nc_u32_e32 v7, v8, v7
	s_or_b32 exec_lo, exec_lo, s37
	s_and_saveexec_b32 s37, s5
	s_cbranch_execnz .LBB170_67
.LBB170_35:                             ;   in Loop: Header=BB170_29 Depth=1
	s_or_b32 exec_lo, exec_lo, s37
	s_and_saveexec_b32 s37, s6
	s_cbranch_execz .LBB170_68
.LBB170_36:                             ;   in Loop: Header=BB170_29 Depth=1
	ds_load_b32 v8, v1 offset:32792
	s_wait_dscnt 0x0
	v_add_nc_u32_e32 v7, v8, v7
	s_or_b32 exec_lo, exec_lo, s37
	s_and_saveexec_b32 s37, s7
	s_cbranch_execnz .LBB170_69
.LBB170_37:                             ;   in Loop: Header=BB170_29 Depth=1
	s_or_b32 exec_lo, exec_lo, s37
	s_and_saveexec_b32 s37, s8
	s_cbranch_execz .LBB170_70
.LBB170_38:                             ;   in Loop: Header=BB170_29 Depth=1
	ds_load_b32 v8, v1 offset:32800
	s_wait_dscnt 0x0
	v_add_nc_u32_e32 v7, v8, v7
	s_or_b32 exec_lo, exec_lo, s37
	s_and_saveexec_b32 s37, s9
	s_cbranch_execnz .LBB170_71
.LBB170_39:                             ;   in Loop: Header=BB170_29 Depth=1
	s_or_b32 exec_lo, exec_lo, s37
	s_and_saveexec_b32 s37, s10
	s_cbranch_execz .LBB170_72
.LBB170_40:                             ;   in Loop: Header=BB170_29 Depth=1
	ds_load_b32 v8, v1 offset:32808
	s_wait_dscnt 0x0
	v_add_nc_u32_e32 v7, v8, v7
	s_or_b32 exec_lo, exec_lo, s37
	s_and_saveexec_b32 s37, s11
	s_cbranch_execnz .LBB170_73
.LBB170_41:                             ;   in Loop: Header=BB170_29 Depth=1
	s_or_b32 exec_lo, exec_lo, s37
	s_and_saveexec_b32 s37, s12
	s_cbranch_execz .LBB170_74
.LBB170_42:                             ;   in Loop: Header=BB170_29 Depth=1
	ds_load_b32 v8, v1 offset:32816
	s_wait_dscnt 0x0
	v_add_nc_u32_e32 v7, v8, v7
	s_or_b32 exec_lo, exec_lo, s37
	s_and_saveexec_b32 s37, s13
	s_cbranch_execnz .LBB170_75
.LBB170_43:                             ;   in Loop: Header=BB170_29 Depth=1
	s_or_b32 exec_lo, exec_lo, s37
	s_and_saveexec_b32 s37, s14
	s_cbranch_execz .LBB170_76
.LBB170_44:                             ;   in Loop: Header=BB170_29 Depth=1
	ds_load_b32 v8, v1 offset:32824
	s_wait_dscnt 0x0
	v_add_nc_u32_e32 v7, v8, v7
	s_or_b32 exec_lo, exec_lo, s37
	s_and_saveexec_b32 s37, s15
	s_cbranch_execnz .LBB170_77
.LBB170_45:                             ;   in Loop: Header=BB170_29 Depth=1
	s_or_b32 exec_lo, exec_lo, s37
	s_and_saveexec_b32 s37, s16
	s_cbranch_execz .LBB170_78
.LBB170_46:                             ;   in Loop: Header=BB170_29 Depth=1
	ds_load_b32 v8, v1 offset:32832
	s_wait_dscnt 0x0
	v_add_nc_u32_e32 v7, v8, v7
	s_or_b32 exec_lo, exec_lo, s37
	s_and_saveexec_b32 s37, s17
	s_cbranch_execnz .LBB170_79
.LBB170_47:                             ;   in Loop: Header=BB170_29 Depth=1
	s_or_b32 exec_lo, exec_lo, s37
	s_and_saveexec_b32 s37, s18
	s_cbranch_execz .LBB170_80
.LBB170_48:                             ;   in Loop: Header=BB170_29 Depth=1
	ds_load_b32 v8, v1 offset:32840
	s_wait_dscnt 0x0
	v_add_nc_u32_e32 v7, v8, v7
	s_or_b32 exec_lo, exec_lo, s37
	s_and_saveexec_b32 s37, s19
	s_cbranch_execnz .LBB170_81
.LBB170_49:                             ;   in Loop: Header=BB170_29 Depth=1
	s_or_b32 exec_lo, exec_lo, s37
	s_and_saveexec_b32 s37, s20
	s_cbranch_execz .LBB170_82
.LBB170_50:                             ;   in Loop: Header=BB170_29 Depth=1
	ds_load_b32 v8, v1 offset:32848
	s_wait_dscnt 0x0
	v_add_nc_u32_e32 v7, v8, v7
	s_or_b32 exec_lo, exec_lo, s37
	s_and_saveexec_b32 s37, s21
	s_cbranch_execnz .LBB170_83
.LBB170_51:                             ;   in Loop: Header=BB170_29 Depth=1
	s_or_b32 exec_lo, exec_lo, s37
	s_and_saveexec_b32 s37, s22
	s_cbranch_execz .LBB170_84
.LBB170_52:                             ;   in Loop: Header=BB170_29 Depth=1
	ds_load_b32 v8, v1 offset:32856
	s_wait_dscnt 0x0
	v_add_nc_u32_e32 v7, v8, v7
	s_or_b32 exec_lo, exec_lo, s37
	s_and_saveexec_b32 s37, s23
	s_cbranch_execnz .LBB170_85
.LBB170_53:                             ;   in Loop: Header=BB170_29 Depth=1
	s_or_b32 exec_lo, exec_lo, s37
	s_and_saveexec_b32 s37, s24
	s_cbranch_execz .LBB170_86
.LBB170_54:                             ;   in Loop: Header=BB170_29 Depth=1
	ds_load_b32 v8, v1 offset:32864
	s_wait_dscnt 0x0
	v_add_nc_u32_e32 v7, v8, v7
	s_or_b32 exec_lo, exec_lo, s37
	s_and_saveexec_b32 s37, s25
	s_cbranch_execnz .LBB170_87
.LBB170_55:                             ;   in Loop: Header=BB170_29 Depth=1
	s_or_b32 exec_lo, exec_lo, s37
	s_and_saveexec_b32 s37, s26
	s_cbranch_execz .LBB170_88
.LBB170_56:                             ;   in Loop: Header=BB170_29 Depth=1
	ds_load_b32 v8, v1 offset:32872
	s_wait_dscnt 0x0
	v_add_nc_u32_e32 v7, v8, v7
	s_or_b32 exec_lo, exec_lo, s37
	s_and_saveexec_b32 s37, s27
	s_cbranch_execnz .LBB170_89
.LBB170_57:                             ;   in Loop: Header=BB170_29 Depth=1
	s_or_b32 exec_lo, exec_lo, s37
	s_and_saveexec_b32 s37, s28
	s_cbranch_execz .LBB170_90
.LBB170_58:                             ;   in Loop: Header=BB170_29 Depth=1
	ds_load_b32 v8, v1 offset:32880
	s_wait_dscnt 0x0
	v_add_nc_u32_e32 v7, v8, v7
	s_or_b32 exec_lo, exec_lo, s37
	s_and_saveexec_b32 s37, s29
	s_cbranch_execnz .LBB170_91
.LBB170_59:                             ;   in Loop: Header=BB170_29 Depth=1
	s_or_b32 exec_lo, exec_lo, s37
	s_and_saveexec_b32 s37, s30
	s_cbranch_execz .LBB170_92
.LBB170_60:                             ;   in Loop: Header=BB170_29 Depth=1
	ds_load_b32 v8, v1 offset:32888
	s_wait_dscnt 0x0
	v_add_nc_u32_e32 v7, v8, v7
	s_or_b32 exec_lo, exec_lo, s37
	s_and_saveexec_b32 s37, s31
	s_cbranch_execnz .LBB170_93
.LBB170_61:                             ;   in Loop: Header=BB170_29 Depth=1
	s_or_b32 exec_lo, exec_lo, s37
	s_and_saveexec_b32 s31, vcc_lo
	s_cbranch_execz .LBB170_28
	s_branch .LBB170_94
.LBB170_62:                             ;   in Loop: Header=BB170_29 Depth=1
	s_or_b32 exec_lo, exec_lo, s37
	s_and_saveexec_b32 s37, s1
	s_cbranch_execz .LBB170_31
.LBB170_63:                             ;   in Loop: Header=BB170_29 Depth=1
	ds_load_b32 v8, v1 offset:32772
	s_wait_dscnt 0x0
	v_add_nc_u32_e32 v7, v8, v7
	s_or_b32 exec_lo, exec_lo, s37
	s_and_saveexec_b32 s37, s2
	s_cbranch_execnz .LBB170_32
.LBB170_64:                             ;   in Loop: Header=BB170_29 Depth=1
	s_or_b32 exec_lo, exec_lo, s37
	s_and_saveexec_b32 s37, s3
	s_cbranch_execz .LBB170_33
.LBB170_65:                             ;   in Loop: Header=BB170_29 Depth=1
	ds_load_b32 v8, v1 offset:32780
	s_wait_dscnt 0x0
	v_add_nc_u32_e32 v7, v8, v7
	s_or_b32 exec_lo, exec_lo, s37
	s_and_saveexec_b32 s37, s4
	s_cbranch_execnz .LBB170_34
.LBB170_66:                             ;   in Loop: Header=BB170_29 Depth=1
	s_or_b32 exec_lo, exec_lo, s37
	s_and_saveexec_b32 s37, s5
	s_cbranch_execz .LBB170_35
.LBB170_67:                             ;   in Loop: Header=BB170_29 Depth=1
	ds_load_b32 v8, v1 offset:32788
	s_wait_dscnt 0x0
	v_add_nc_u32_e32 v7, v8, v7
	s_or_b32 exec_lo, exec_lo, s37
	s_and_saveexec_b32 s37, s6
	s_cbranch_execnz .LBB170_36
.LBB170_68:                             ;   in Loop: Header=BB170_29 Depth=1
	s_or_b32 exec_lo, exec_lo, s37
	s_and_saveexec_b32 s37, s7
	s_cbranch_execz .LBB170_37
.LBB170_69:                             ;   in Loop: Header=BB170_29 Depth=1
	ds_load_b32 v8, v1 offset:32796
	s_wait_dscnt 0x0
	v_add_nc_u32_e32 v7, v8, v7
	s_or_b32 exec_lo, exec_lo, s37
	s_and_saveexec_b32 s37, s8
	s_cbranch_execnz .LBB170_38
.LBB170_70:                             ;   in Loop: Header=BB170_29 Depth=1
	s_or_b32 exec_lo, exec_lo, s37
	s_and_saveexec_b32 s37, s9
	s_cbranch_execz .LBB170_39
.LBB170_71:                             ;   in Loop: Header=BB170_29 Depth=1
	ds_load_b32 v8, v1 offset:32804
	s_wait_dscnt 0x0
	v_add_nc_u32_e32 v7, v8, v7
	s_or_b32 exec_lo, exec_lo, s37
	s_and_saveexec_b32 s37, s10
	s_cbranch_execnz .LBB170_40
.LBB170_72:                             ;   in Loop: Header=BB170_29 Depth=1
	s_or_b32 exec_lo, exec_lo, s37
	s_and_saveexec_b32 s37, s11
	s_cbranch_execz .LBB170_41
.LBB170_73:                             ;   in Loop: Header=BB170_29 Depth=1
	ds_load_b32 v8, v1 offset:32812
	s_wait_dscnt 0x0
	v_add_nc_u32_e32 v7, v8, v7
	s_or_b32 exec_lo, exec_lo, s37
	s_and_saveexec_b32 s37, s12
	s_cbranch_execnz .LBB170_42
.LBB170_74:                             ;   in Loop: Header=BB170_29 Depth=1
	s_or_b32 exec_lo, exec_lo, s37
	s_and_saveexec_b32 s37, s13
	s_cbranch_execz .LBB170_43
.LBB170_75:                             ;   in Loop: Header=BB170_29 Depth=1
	ds_load_b32 v8, v1 offset:32820
	s_wait_dscnt 0x0
	v_add_nc_u32_e32 v7, v8, v7
	s_or_b32 exec_lo, exec_lo, s37
	s_and_saveexec_b32 s37, s14
	s_cbranch_execnz .LBB170_44
.LBB170_76:                             ;   in Loop: Header=BB170_29 Depth=1
	s_or_b32 exec_lo, exec_lo, s37
	s_and_saveexec_b32 s37, s15
	s_cbranch_execz .LBB170_45
.LBB170_77:                             ;   in Loop: Header=BB170_29 Depth=1
	ds_load_b32 v8, v1 offset:32828
	s_wait_dscnt 0x0
	v_add_nc_u32_e32 v7, v8, v7
	s_or_b32 exec_lo, exec_lo, s37
	s_and_saveexec_b32 s37, s16
	s_cbranch_execnz .LBB170_46
.LBB170_78:                             ;   in Loop: Header=BB170_29 Depth=1
	s_or_b32 exec_lo, exec_lo, s37
	s_and_saveexec_b32 s37, s17
	s_cbranch_execz .LBB170_47
.LBB170_79:                             ;   in Loop: Header=BB170_29 Depth=1
	ds_load_b32 v8, v1 offset:32836
	s_wait_dscnt 0x0
	v_add_nc_u32_e32 v7, v8, v7
	s_or_b32 exec_lo, exec_lo, s37
	s_and_saveexec_b32 s37, s18
	s_cbranch_execnz .LBB170_48
.LBB170_80:                             ;   in Loop: Header=BB170_29 Depth=1
	s_or_b32 exec_lo, exec_lo, s37
	s_and_saveexec_b32 s37, s19
	s_cbranch_execz .LBB170_49
.LBB170_81:                             ;   in Loop: Header=BB170_29 Depth=1
	ds_load_b32 v8, v1 offset:32844
	s_wait_dscnt 0x0
	v_add_nc_u32_e32 v7, v8, v7
	s_or_b32 exec_lo, exec_lo, s37
	s_and_saveexec_b32 s37, s20
	s_cbranch_execnz .LBB170_50
.LBB170_82:                             ;   in Loop: Header=BB170_29 Depth=1
	s_or_b32 exec_lo, exec_lo, s37
	s_and_saveexec_b32 s37, s21
	s_cbranch_execz .LBB170_51
.LBB170_83:                             ;   in Loop: Header=BB170_29 Depth=1
	ds_load_b32 v8, v1 offset:32852
	s_wait_dscnt 0x0
	v_add_nc_u32_e32 v7, v8, v7
	s_or_b32 exec_lo, exec_lo, s37
	s_and_saveexec_b32 s37, s22
	s_cbranch_execnz .LBB170_52
.LBB170_84:                             ;   in Loop: Header=BB170_29 Depth=1
	s_or_b32 exec_lo, exec_lo, s37
	s_and_saveexec_b32 s37, s23
	s_cbranch_execz .LBB170_53
.LBB170_85:                             ;   in Loop: Header=BB170_29 Depth=1
	ds_load_b32 v8, v1 offset:32860
	s_wait_dscnt 0x0
	v_add_nc_u32_e32 v7, v8, v7
	s_or_b32 exec_lo, exec_lo, s37
	s_and_saveexec_b32 s37, s24
	s_cbranch_execnz .LBB170_54
.LBB170_86:                             ;   in Loop: Header=BB170_29 Depth=1
	s_or_b32 exec_lo, exec_lo, s37
	s_and_saveexec_b32 s37, s25
	s_cbranch_execz .LBB170_55
.LBB170_87:                             ;   in Loop: Header=BB170_29 Depth=1
	ds_load_b32 v8, v1 offset:32868
	s_wait_dscnt 0x0
	v_add_nc_u32_e32 v7, v8, v7
	s_or_b32 exec_lo, exec_lo, s37
	s_and_saveexec_b32 s37, s26
	s_cbranch_execnz .LBB170_56
.LBB170_88:                             ;   in Loop: Header=BB170_29 Depth=1
	s_or_b32 exec_lo, exec_lo, s37
	s_and_saveexec_b32 s37, s27
	s_cbranch_execz .LBB170_57
.LBB170_89:                             ;   in Loop: Header=BB170_29 Depth=1
	ds_load_b32 v8, v1 offset:32876
	s_wait_dscnt 0x0
	v_add_nc_u32_e32 v7, v8, v7
	s_or_b32 exec_lo, exec_lo, s37
	s_and_saveexec_b32 s37, s28
	s_cbranch_execnz .LBB170_58
.LBB170_90:                             ;   in Loop: Header=BB170_29 Depth=1
	s_or_b32 exec_lo, exec_lo, s37
	s_and_saveexec_b32 s37, s29
	s_cbranch_execz .LBB170_59
.LBB170_91:                             ;   in Loop: Header=BB170_29 Depth=1
	ds_load_b32 v8, v1 offset:32884
	s_wait_dscnt 0x0
	v_add_nc_u32_e32 v7, v8, v7
	s_or_b32 exec_lo, exec_lo, s37
	s_and_saveexec_b32 s37, s30
	s_cbranch_execnz .LBB170_60
.LBB170_92:                             ;   in Loop: Header=BB170_29 Depth=1
	s_or_b32 exec_lo, exec_lo, s37
	s_and_saveexec_b32 s37, s31
	s_cbranch_execz .LBB170_61
.LBB170_93:                             ;   in Loop: Header=BB170_29 Depth=1
	s_delay_alu instid0(VALU_DEP_1) | instskip(SKIP_1) | instid1(VALU_DEP_2)
	v_add3_u32 v8, v6, -1, v7
	v_add_nc_u32_e32 v9, v6, v7
	v_lshl_add_u32 v8, v8, 2, 0
	s_delay_alu instid0(VALU_DEP_2)
	v_lshl_add_u32 v9, v9, 2, 0
	ds_store_b32 v8, v4
	ds_store_b32 v9, v5 offset:16380
	s_or_b32 exec_lo, exec_lo, s37
	s_and_saveexec_b32 s31, vcc_lo
	s_cbranch_execz .LBB170_28
.LBB170_94:                             ;   in Loop: Header=BB170_29 Depth=1
	ds_store_b32 v1, v7 offset:32892
	s_branch .LBB170_28
.LBB170_95:                             ;   in Loop: Header=BB170_97 Depth=1
	s_or_b32 exec_lo, exec_lo, s5
.LBB170_96:                             ;   in Loop: Header=BB170_97 Depth=1
	s_delay_alu instid0(SALU_CYCLE_1)
	s_or_b32 exec_lo, exec_lo, s4
	s_wait_loadcnt 0x0
	v_mul_f32_e32 v1, s20, v1
	v_lshl_add_u32 v4, v4, 2, 0
	v_add_nc_u64_e32 v[2:3], 0x400, v[2:3]
	ds_add_f32 v4, v1 offset:16384
	v_cmp_le_i64_e32 vcc_lo, s[2:3], v[2:3]
	s_or_b32 s1, vcc_lo, s1
	s_delay_alu instid0(SALU_CYCLE_1)
	s_and_not1_b32 exec_lo, exec_lo, s1
	s_cbranch_execz .LBB170_26
.LBB170_97:                             ; =>This Loop Header: Depth=1
                                        ;     Child Loop BB170_100 Depth 2
	v_lshlrev_b64_e32 v[4:5], 2, v[2:3]
	s_mov_b32 s4, exec_lo
	s_delay_alu instid0(VALU_DEP_1)
	v_add_nc_u64_e32 v[6:7], s[38:39], v[4:5]
	v_add_nc_u64_e32 v[4:5], s[40:41], v[4:5]
	global_load_b32 v6, v[6:7], off
	global_load_b32 v1, v[4:5], off
	s_wait_loadcnt 0x1
	s_wait_xcnt 0x0
	v_subrev_nc_u32_e32 v5, s47, v6
	s_delay_alu instid0(VALU_DEP_1) | instskip(NEXT) | instid1(VALU_DEP_1)
	v_mul_lo_u32 v4, 0x89, v5
	v_and_b32_e32 v4, 0xfff, v4
	s_delay_alu instid0(VALU_DEP_1)
	v_lshl_add_u32 v6, v4, 2, 0
	ds_load_b32 v7, v6
	s_wait_dscnt 0x0
	v_cmpx_ne_u32_e64 v7, v5
	s_cbranch_execz .LBB170_96
; %bb.98:                               ;   in Loop: Header=BB170_97 Depth=1
	s_mov_b32 s5, 0
	s_branch .LBB170_100
.LBB170_99:                             ;   in Loop: Header=BB170_100 Depth=2
	s_or_b32 exec_lo, exec_lo, s8
	s_delay_alu instid0(SALU_CYCLE_1) | instskip(NEXT) | instid1(SALU_CYCLE_1)
	s_and_b32 s6, exec_lo, s7
	s_or_b32 s5, s6, s5
	s_delay_alu instid0(SALU_CYCLE_1)
	s_and_not1_b32 exec_lo, exec_lo, s5
	s_cbranch_execz .LBB170_95
.LBB170_100:                            ;   Parent Loop BB170_97 Depth=1
                                        ; =>  This Inner Loop Header: Depth=2
	s_mov_b32 s6, 0
	s_mov_b32 s7, exec_lo
	v_cmpx_ne_u32_e64 s33, v7
	s_xor_b32 s7, exec_lo, s7
	s_cbranch_execz .LBB170_102
; %bb.101:                              ;   in Loop: Header=BB170_100 Depth=2
	v_add_nc_u32_e32 v4, 1, v4
	s_mov_b32 s6, exec_lo
                                        ; implicit-def: $vgpr6
	s_delay_alu instid0(VALU_DEP_1)
	v_and_b32_e32 v4, 0xfff, v4
	s_and_not1_saveexec_b32 s7, s7
	s_cbranch_execz .LBB170_104
	s_branch .LBB170_103
.LBB170_102:                            ;   in Loop: Header=BB170_100 Depth=2
	s_and_not1_saveexec_b32 s7, s7
	s_cbranch_execz .LBB170_104
.LBB170_103:                            ;   in Loop: Header=BB170_100 Depth=2
	v_mov_b32_e32 v7, s33
	s_and_not1_b32 s6, s6, exec_lo
	ds_cmpstore_rtn_b32 v6, v6, v5, v7
	s_wait_dscnt 0x0
	v_cmp_ne_u32_e32 vcc_lo, s33, v6
	s_and_b32 s8, vcc_lo, exec_lo
	s_delay_alu instid0(SALU_CYCLE_1)
	s_or_b32 s6, s6, s8
.LBB170_104:                            ;   in Loop: Header=BB170_100 Depth=2
	s_or_b32 exec_lo, exec_lo, s7
	s_mov_b32 s7, -1
                                        ; implicit-def: $vgpr6
                                        ; implicit-def: $vgpr7
	s_and_saveexec_b32 s8, s6
	s_cbranch_execz .LBB170_99
; %bb.105:                              ;   in Loop: Header=BB170_100 Depth=2
	v_lshl_add_u32 v6, v4, 2, 0
	ds_load_b32 v7, v6
	s_wait_dscnt 0x0
	v_cmp_eq_u32_e32 vcc_lo, v7, v5
	s_or_not1_b32 s7, vcc_lo, exec_lo
	s_branch .LBB170_99
.LBB170_106:
	s_or_b32 exec_lo, exec_lo, s36
	s_wait_kmcnt 0x0
	s_ashr_i32 s49, s48, 31
	s_delay_alu instid0(SALU_CYCLE_1) | instskip(NEXT) | instid1(SALU_CYCLE_1)
	s_lshl_b64 s[0:1], s[48:49], 3
	s_add_nc_u64 s[4:5], s[42:43], s[0:1]
	s_load_b128 s[0:3], s[4:5], 0x0
	s_wait_xcnt 0x0
	s_mov_b32 s4, exec_lo
	s_wait_kmcnt 0x0
	s_sub_co_i32 s3, s2, s0
	s_delay_alu instid0(SALU_CYCLE_1)
	v_cmpx_gt_i32_e64 s3, v0
	s_cbranch_execz .LBB170_116
; %bb.107:
	s_sub_co_i32 s4, s0, s2
	s_and_b32 s2, s3, 7
	s_cmp_lt_u32 s4, -7
	s_mov_b32 s47, 0
	s_cselect_b32 s4, -1, 0
	s_and_b32 s5, s3, -8
	s_cmp_lg_u32 s2, 0
	s_sub_nc_u64 s[0:1], s[0:1], s[46:47]
	s_cselect_b32 s6, -1, 0
	s_mov_b32 s7, 0
	s_branch .LBB170_109
.LBB170_108:                            ;   in Loop: Header=BB170_109 Depth=1
	v_add_nc_u32_e32 v0, 0x400, v0
	s_delay_alu instid0(VALU_DEP_2) | instskip(NEXT) | instid1(VALU_DEP_2)
	v_lshl_add_u64 v[4:5], v[4:5], 2, s[34:35]
	v_cmp_le_i32_e32 vcc_lo, s3, v0
	s_wait_dscnt 0x0
	global_store_b32 v[4:5], v3, off
	s_or_b32 s7, vcc_lo, s7
	s_wait_xcnt 0x0
	s_and_not1_b32 exec_lo, exec_lo, s7
	s_cbranch_execz .LBB170_116
.LBB170_109:                            ; =>This Loop Header: Depth=1
                                        ;     Child Loop BB170_111 Depth 2
                                        ;     Child Loop BB170_115 Depth 2
	v_lshl_add_u32 v1, v0, 2, 0
	v_mov_b64_e32 v[4:5], s[0:1]
	s_and_not1_b32 vcc_lo, exec_lo, s4
	s_mov_b32 s8, 0
	ds_load_2addr_stride64_b32 v[2:3], v1 offset1:64
	s_cbranch_vccnz .LBB170_113
; %bb.110:                              ;   in Loop: Header=BB170_109 Depth=1
	v_mov_b64_e32 v[4:5], s[0:1]
	s_mov_b32 s9, 0
.LBB170_111:                            ;   Parent Loop BB170_109 Depth=1
                                        ; =>  This Inner Loop Header: Depth=2
	s_delay_alu instid0(SALU_CYCLE_1)
	v_dual_mov_b32 v1, s9 :: v_dual_mov_b32 v11, s47
	v_mov_b32_e32 v17, s47
	s_add_co_i32 s8, s8, 8
	s_add_co_i32 s9, s9, 32
	ds_load_2addr_b32 v[6:7], v1 offset1:1
	ds_load_2addr_b32 v[8:9], v1 offset0:2 offset1:3
	ds_load_2addr_b32 v[12:13], v1 offset0:4 offset1:5
	;; [unrolled: 1-line block ×3, first 2 shown]
	s_cmp_eq_u32 s5, s8
	s_wait_dscnt 0x3
	v_cmp_gt_i32_e32 vcc_lo, v2, v6
	v_cndmask_b32_e64 v10, 0, 1, vcc_lo
	v_cmp_gt_i32_e32 vcc_lo, v2, v7
	v_mov_b32_e32 v7, s47
	s_delay_alu instid0(VALU_DEP_3) | instskip(SKIP_4) | instid1(VALU_DEP_3)
	v_add_nc_u64_e32 v[4:5], v[4:5], v[10:11]
	v_cndmask_b32_e64 v16, 0, 1, vcc_lo
	s_wait_dscnt 0x2
	v_cmp_gt_i32_e32 vcc_lo, v2, v8
	v_cndmask_b32_e64 v6, 0, 1, vcc_lo
	v_add_nc_u64_e32 v[4:5], v[4:5], v[16:17]
	v_cmp_gt_i32_e32 vcc_lo, v2, v9
	v_mov_b32_e32 v9, s47
	v_cndmask_b32_e64 v10, 0, 1, vcc_lo
	s_delay_alu instid0(VALU_DEP_4) | instskip(SKIP_3) | instid1(VALU_DEP_3)
	v_add_nc_u64_e32 v[4:5], v[4:5], v[6:7]
	s_wait_dscnt 0x1
	v_cmp_gt_i32_e32 vcc_lo, v2, v12
	v_cndmask_b32_e64 v6, 0, 1, vcc_lo
	v_add_nc_u64_e32 v[4:5], v[4:5], v[10:11]
	v_cmp_gt_i32_e32 vcc_lo, v2, v13
	v_cndmask_b32_e64 v8, 0, 1, vcc_lo
	s_delay_alu instid0(VALU_DEP_3) | instskip(SKIP_3) | instid1(VALU_DEP_3)
	v_add_nc_u64_e32 v[4:5], v[4:5], v[6:7]
	s_wait_dscnt 0x0
	v_cmp_gt_i32_e32 vcc_lo, v2, v14
	v_cndmask_b32_e64 v6, 0, 1, vcc_lo
	v_add_nc_u64_e32 v[4:5], v[4:5], v[8:9]
	v_cmp_gt_i32_e32 vcc_lo, v2, v15
	v_cndmask_b32_e64 v8, 0, 1, vcc_lo
	s_delay_alu instid0(VALU_DEP_3) | instskip(NEXT) | instid1(VALU_DEP_1)
	v_add_nc_u64_e32 v[4:5], v[4:5], v[6:7]
	v_add_nc_u64_e32 v[4:5], v[4:5], v[8:9]
	s_cbranch_scc0 .LBB170_111
; %bb.112:                              ;   in Loop: Header=BB170_109 Depth=1
	s_mov_b32 s8, s5
.LBB170_113:                            ;   in Loop: Header=BB170_109 Depth=1
	s_and_not1_b32 vcc_lo, exec_lo, s6
	s_cbranch_vccnz .LBB170_108
; %bb.114:                              ;   in Loop: Header=BB170_109 Depth=1
	s_lshl_b32 s8, s8, 2
	s_mov_b32 s9, s2
	s_add_co_i32 s8, s8, 0
.LBB170_115:                            ;   Parent Loop BB170_109 Depth=1
                                        ; =>  This Inner Loop Header: Depth=2
	s_delay_alu instid0(SALU_CYCLE_1)
	v_dual_mov_b32 v1, s8 :: v_dual_mov_b32 v7, s47
	s_add_co_i32 s9, s9, -1
	s_add_co_i32 s8, s8, 4
	s_cmp_lg_u32 s9, 0
	ds_load_b32 v1, v1
	s_wait_dscnt 0x0
	v_cmp_gt_i32_e32 vcc_lo, v2, v1
	v_cndmask_b32_e64 v6, 0, 1, vcc_lo
	s_delay_alu instid0(VALU_DEP_1)
	v_add_nc_u64_e32 v[4:5], v[4:5], v[6:7]
	s_cbranch_scc1 .LBB170_115
	s_branch .LBB170_108
.LBB170_116:
	s_endpgm
	.section	.rodata,"a",@progbits
	.p2align	6, 0x0
	.amdhsa_kernel _ZN9rocsparseL41csrgemm_numeric_fill_block_per_row_kernelILj1024ELj64ELj4096ELj137ELj32ElifEEvT5_PKS1_S3_NS_24const_host_device_scalarIT6_EEPKT4_S3_PKS5_S9_S3_SB_S6_S9_S3_SB_S9_S3_PS5_21rocsparse_index_base_SD_SD_SD_bbb
		.amdhsa_group_segment_fixed_size 0
		.amdhsa_private_segment_fixed_size 0
		.amdhsa_kernarg_size 156
		.amdhsa_user_sgpr_count 2
		.amdhsa_user_sgpr_dispatch_ptr 0
		.amdhsa_user_sgpr_queue_ptr 0
		.amdhsa_user_sgpr_kernarg_segment_ptr 1
		.amdhsa_user_sgpr_dispatch_id 0
		.amdhsa_user_sgpr_kernarg_preload_length 0
		.amdhsa_user_sgpr_kernarg_preload_offset 0
		.amdhsa_user_sgpr_private_segment_size 0
		.amdhsa_wavefront_size32 1
		.amdhsa_uses_dynamic_stack 0
		.amdhsa_enable_private_segment 0
		.amdhsa_system_sgpr_workgroup_id_x 1
		.amdhsa_system_sgpr_workgroup_id_y 0
		.amdhsa_system_sgpr_workgroup_id_z 0
		.amdhsa_system_sgpr_workgroup_info 0
		.amdhsa_system_vgpr_workitem_id 0
		.amdhsa_next_free_vgpr 18
		.amdhsa_next_free_sgpr 50
		.amdhsa_named_barrier_count 0
		.amdhsa_reserve_vcc 1
		.amdhsa_float_round_mode_32 0
		.amdhsa_float_round_mode_16_64 0
		.amdhsa_float_denorm_mode_32 3
		.amdhsa_float_denorm_mode_16_64 3
		.amdhsa_fp16_overflow 0
		.amdhsa_memory_ordered 1
		.amdhsa_forward_progress 1
		.amdhsa_inst_pref_size 32
		.amdhsa_round_robin_scheduling 0
		.amdhsa_exception_fp_ieee_invalid_op 0
		.amdhsa_exception_fp_denorm_src 0
		.amdhsa_exception_fp_ieee_div_zero 0
		.amdhsa_exception_fp_ieee_overflow 0
		.amdhsa_exception_fp_ieee_underflow 0
		.amdhsa_exception_fp_ieee_inexact 0
		.amdhsa_exception_int_div_zero 0
	.end_amdhsa_kernel
	.section	.text._ZN9rocsparseL41csrgemm_numeric_fill_block_per_row_kernelILj1024ELj64ELj4096ELj137ELj32ElifEEvT5_PKS1_S3_NS_24const_host_device_scalarIT6_EEPKT4_S3_PKS5_S9_S3_SB_S6_S9_S3_SB_S9_S3_PS5_21rocsparse_index_base_SD_SD_SD_bbb,"axG",@progbits,_ZN9rocsparseL41csrgemm_numeric_fill_block_per_row_kernelILj1024ELj64ELj4096ELj137ELj32ElifEEvT5_PKS1_S3_NS_24const_host_device_scalarIT6_EEPKT4_S3_PKS5_S9_S3_SB_S6_S9_S3_SB_S9_S3_PS5_21rocsparse_index_base_SD_SD_SD_bbb,comdat
.Lfunc_end170:
	.size	_ZN9rocsparseL41csrgemm_numeric_fill_block_per_row_kernelILj1024ELj64ELj4096ELj137ELj32ElifEEvT5_PKS1_S3_NS_24const_host_device_scalarIT6_EEPKT4_S3_PKS5_S9_S3_SB_S6_S9_S3_SB_S9_S3_PS5_21rocsparse_index_base_SD_SD_SD_bbb, .Lfunc_end170-_ZN9rocsparseL41csrgemm_numeric_fill_block_per_row_kernelILj1024ELj64ELj4096ELj137ELj32ElifEEvT5_PKS1_S3_NS_24const_host_device_scalarIT6_EEPKT4_S3_PKS5_S9_S3_SB_S6_S9_S3_SB_S9_S3_PS5_21rocsparse_index_base_SD_SD_SD_bbb
                                        ; -- End function
	.set _ZN9rocsparseL41csrgemm_numeric_fill_block_per_row_kernelILj1024ELj64ELj4096ELj137ELj32ElifEEvT5_PKS1_S3_NS_24const_host_device_scalarIT6_EEPKT4_S3_PKS5_S9_S3_SB_S6_S9_S3_SB_S9_S3_PS5_21rocsparse_index_base_SD_SD_SD_bbb.num_vgpr, 18
	.set _ZN9rocsparseL41csrgemm_numeric_fill_block_per_row_kernelILj1024ELj64ELj4096ELj137ELj32ElifEEvT5_PKS1_S3_NS_24const_host_device_scalarIT6_EEPKT4_S3_PKS5_S9_S3_SB_S6_S9_S3_SB_S9_S3_PS5_21rocsparse_index_base_SD_SD_SD_bbb.num_agpr, 0
	.set _ZN9rocsparseL41csrgemm_numeric_fill_block_per_row_kernelILj1024ELj64ELj4096ELj137ELj32ElifEEvT5_PKS1_S3_NS_24const_host_device_scalarIT6_EEPKT4_S3_PKS5_S9_S3_SB_S6_S9_S3_SB_S9_S3_PS5_21rocsparse_index_base_SD_SD_SD_bbb.numbered_sgpr, 50
	.set _ZN9rocsparseL41csrgemm_numeric_fill_block_per_row_kernelILj1024ELj64ELj4096ELj137ELj32ElifEEvT5_PKS1_S3_NS_24const_host_device_scalarIT6_EEPKT4_S3_PKS5_S9_S3_SB_S6_S9_S3_SB_S9_S3_PS5_21rocsparse_index_base_SD_SD_SD_bbb.num_named_barrier, 0
	.set _ZN9rocsparseL41csrgemm_numeric_fill_block_per_row_kernelILj1024ELj64ELj4096ELj137ELj32ElifEEvT5_PKS1_S3_NS_24const_host_device_scalarIT6_EEPKT4_S3_PKS5_S9_S3_SB_S6_S9_S3_SB_S9_S3_PS5_21rocsparse_index_base_SD_SD_SD_bbb.private_seg_size, 0
	.set _ZN9rocsparseL41csrgemm_numeric_fill_block_per_row_kernelILj1024ELj64ELj4096ELj137ELj32ElifEEvT5_PKS1_S3_NS_24const_host_device_scalarIT6_EEPKT4_S3_PKS5_S9_S3_SB_S6_S9_S3_SB_S9_S3_PS5_21rocsparse_index_base_SD_SD_SD_bbb.uses_vcc, 1
	.set _ZN9rocsparseL41csrgemm_numeric_fill_block_per_row_kernelILj1024ELj64ELj4096ELj137ELj32ElifEEvT5_PKS1_S3_NS_24const_host_device_scalarIT6_EEPKT4_S3_PKS5_S9_S3_SB_S6_S9_S3_SB_S9_S3_PS5_21rocsparse_index_base_SD_SD_SD_bbb.uses_flat_scratch, 0
	.set _ZN9rocsparseL41csrgemm_numeric_fill_block_per_row_kernelILj1024ELj64ELj4096ELj137ELj32ElifEEvT5_PKS1_S3_NS_24const_host_device_scalarIT6_EEPKT4_S3_PKS5_S9_S3_SB_S6_S9_S3_SB_S9_S3_PS5_21rocsparse_index_base_SD_SD_SD_bbb.has_dyn_sized_stack, 0
	.set _ZN9rocsparseL41csrgemm_numeric_fill_block_per_row_kernelILj1024ELj64ELj4096ELj137ELj32ElifEEvT5_PKS1_S3_NS_24const_host_device_scalarIT6_EEPKT4_S3_PKS5_S9_S3_SB_S6_S9_S3_SB_S9_S3_PS5_21rocsparse_index_base_SD_SD_SD_bbb.has_recursion, 0
	.set _ZN9rocsparseL41csrgemm_numeric_fill_block_per_row_kernelILj1024ELj64ELj4096ELj137ELj32ElifEEvT5_PKS1_S3_NS_24const_host_device_scalarIT6_EEPKT4_S3_PKS5_S9_S3_SB_S6_S9_S3_SB_S9_S3_PS5_21rocsparse_index_base_SD_SD_SD_bbb.has_indirect_call, 0
	.section	.AMDGPU.csdata,"",@progbits
; Kernel info:
; codeLenInByte = 3976
; TotalNumSgprs: 52
; NumVgprs: 18
; ScratchSize: 0
; MemoryBound: 0
; FloatMode: 240
; IeeeMode: 1
; LDSByteSize: 0 bytes/workgroup (compile time only)
; SGPRBlocks: 0
; VGPRBlocks: 1
; NumSGPRsForWavesPerEU: 52
; NumVGPRsForWavesPerEU: 18
; NamedBarCnt: 0
; Occupancy: 16
; WaveLimiterHint : 1
; COMPUTE_PGM_RSRC2:SCRATCH_EN: 0
; COMPUTE_PGM_RSRC2:USER_SGPR: 2
; COMPUTE_PGM_RSRC2:TRAP_HANDLER: 0
; COMPUTE_PGM_RSRC2:TGID_X_EN: 1
; COMPUTE_PGM_RSRC2:TGID_Y_EN: 0
; COMPUTE_PGM_RSRC2:TGID_Z_EN: 0
; COMPUTE_PGM_RSRC2:TIDIG_COMP_CNT: 0
	.section	.text._ZN9rocsparseL41csrgemm_numeric_fill_block_per_row_kernelILj1024ELj64ELj4096ELj137ELj64ElifEEvT5_PKS1_S3_NS_24const_host_device_scalarIT6_EEPKT4_S3_PKS5_S9_S3_SB_S6_S9_S3_SB_S9_S3_PS5_21rocsparse_index_base_SD_SD_SD_bbb,"axG",@progbits,_ZN9rocsparseL41csrgemm_numeric_fill_block_per_row_kernelILj1024ELj64ELj4096ELj137ELj64ElifEEvT5_PKS1_S3_NS_24const_host_device_scalarIT6_EEPKT4_S3_PKS5_S9_S3_SB_S6_S9_S3_SB_S9_S3_PS5_21rocsparse_index_base_SD_SD_SD_bbb,comdat
	.globl	_ZN9rocsparseL41csrgemm_numeric_fill_block_per_row_kernelILj1024ELj64ELj4096ELj137ELj64ElifEEvT5_PKS1_S3_NS_24const_host_device_scalarIT6_EEPKT4_S3_PKS5_S9_S3_SB_S6_S9_S3_SB_S9_S3_PS5_21rocsparse_index_base_SD_SD_SD_bbb ; -- Begin function _ZN9rocsparseL41csrgemm_numeric_fill_block_per_row_kernelILj1024ELj64ELj4096ELj137ELj64ElifEEvT5_PKS1_S3_NS_24const_host_device_scalarIT6_EEPKT4_S3_PKS5_S9_S3_SB_S6_S9_S3_SB_S9_S3_PS5_21rocsparse_index_base_SD_SD_SD_bbb
	.p2align	8
	.type	_ZN9rocsparseL41csrgemm_numeric_fill_block_per_row_kernelILj1024ELj64ELj4096ELj137ELj64ElifEEvT5_PKS1_S3_NS_24const_host_device_scalarIT6_EEPKT4_S3_PKS5_S9_S3_SB_S6_S9_S3_SB_S9_S3_PS5_21rocsparse_index_base_SD_SD_SD_bbb,@function
_ZN9rocsparseL41csrgemm_numeric_fill_block_per_row_kernelILj1024ELj64ELj4096ELj137ELj64ElifEEvT5_PKS1_S3_NS_24const_host_device_scalarIT6_EEPKT4_S3_PKS5_S9_S3_SB_S6_S9_S3_SB_S9_S3_PS5_21rocsparse_index_base_SD_SD_SD_bbb: ; @_ZN9rocsparseL41csrgemm_numeric_fill_block_per_row_kernelILj1024ELj64ELj4096ELj137ELj64ElifEEvT5_PKS1_S3_NS_24const_host_device_scalarIT6_EEPKT4_S3_PKS5_S9_S3_SB_S6_S9_S3_SB_S9_S3_PS5_21rocsparse_index_base_SD_SD_SD_bbb
; %bb.0:
	s_clause 0x3
	s_load_b32 s6, s[0:1], 0x98
	s_load_b64 s[4:5], s[0:1], 0x18
	s_load_b128 s[20:23], s[0:1], 0x88
	s_load_b64 s[2:3], s[0:1], 0x50
	s_wait_kmcnt 0x0
	s_and_b32 s8, 1, s6
	s_bitcmp1_b32 s6, 16
	s_cselect_b32 s7, -1, 0
	s_cmp_eq_u32 s8, 1
	s_cselect_b32 s39, -1, 0
	s_delay_alu instid0(SALU_CYCLE_1) | instskip(SKIP_2) | instid1(SALU_CYCLE_1)
	s_and_b32 s8, s39, exec_lo
	s_cselect_b32 s37, s4, 0
	s_xor_b32 s8, s39, -1
	s_or_b32 s8, s7, s8
	s_delay_alu instid0(SALU_CYCLE_1)
	s_and_b32 vcc_lo, exec_lo, s8
	s_cbranch_vccnz .LBB171_2
; %bb.1:
	s_load_b32 s37, s[4:5], 0x0
.LBB171_2:
	s_load_b128 s[28:31], s[0:1], 0x8
	s_bitcmp1_b32 s6, 8
	s_cselect_b32 s38, -1, 0
	s_wait_xcnt 0x0
	s_and_b32 s4, s38, exec_lo
	s_cselect_b32 s36, s2, 0
	s_xor_b32 s4, s38, -1
	s_delay_alu instid0(SALU_CYCLE_1) | instskip(NEXT) | instid1(SALU_CYCLE_1)
	s_or_b32 s4, s7, s4
	s_and_b32 vcc_lo, exec_lo, s4
	s_cbranch_vccnz .LBB171_4
; %bb.3:
	s_load_b32 s36, s[2:3], 0x0
.LBB171_4:
	s_clause 0x4
	s_load_b32 s33, s[0:1], 0x0
	s_load_b64 s[34:35], s[0:1], 0x80
	s_load_b256 s[12:19], s[0:1], 0x58
	s_load_b128 s[24:27], s[0:1], 0x40
	s_load_b256 s[4:11], s[0:1], 0x20
	v_lshl_add_u32 v12, v0, 2, 0
	v_or_b32_e32 v13, 0xfffffc00, v0
	v_mov_b32_e32 v1, 0
	s_wait_xcnt 0x0
	s_mov_b32 s0, 0
	s_delay_alu instid0(VALU_DEP_2)
	v_dual_mov_b32 v2, v12 :: v_dual_mov_b32 v4, v13
	s_wait_kmcnt 0x0
	v_mov_b32_e32 v3, s33
.LBB171_5:                              ; =>This Inner Loop Header: Depth=1
	s_delay_alu instid0(VALU_DEP_2) | instskip(SKIP_4) | instid1(SALU_CYCLE_1)
	v_add_nc_u32_e32 v4, 0x400, v4
	ds_store_2addr_stride64_b32 v2, v3, v1 offset1:64
	v_add_nc_u32_e32 v2, 0x1000, v2
	v_cmp_lt_u32_e32 vcc_lo, 0xbff, v4
	s_or_b32 s0, vcc_lo, s0
	s_and_not1_b32 exec_lo, exec_lo, s0
	s_cbranch_execnz .LBB171_5
; %bb.6:
	s_or_b32 exec_lo, exec_lo, s0
	s_wait_dscnt 0x0
	s_barrier_signal -1
	s_barrier_wait -1
	s_load_b32 s0, s[28:29], 0x0
	s_bfe_u32 s1, ttmp6, 0x4000c
	s_and_b32 s2, ttmp6, 15
	s_add_co_i32 s1, s1, 1
	s_getreg_b32 s3, hwreg(HW_REG_IB_STS2, 6, 4)
	s_mul_i32 s1, ttmp9, s1
	v_lshrrev_b32_e32 v2, 6, v0
	s_add_co_i32 s2, s2, s1
	s_cmp_eq_u32 s3, 0
	s_cselect_b32 s1, ttmp9, s2
	s_and_b32 vcc_lo, s39, exec_lo
	s_wait_kmcnt 0x0
	s_add_co_i32 s0, s0, s1
	s_mov_b32 s1, 0
	s_load_b32 s28, s[30:31], s0 offset:0x0 scale_offset
	s_cbranch_vccz .LBB171_24
; %bb.7:
	s_wait_kmcnt 0x0
	s_ashr_i32 s29, s28, 31
	v_mov_b32_e32 v3, 0
	s_lshl_b64 s[2:3], s[28:29], 3
	s_mov_b32 s0, s20
	s_add_nc_u64 s[2:3], s[4:5], s[2:3]
	s_mov_b32 s4, exec_lo
	s_load_b128 s[40:43], s[2:3], 0x0
	v_sub_nc_u64_e64 v[4:5], v[2:3], s[0:1]
	s_wait_kmcnt 0x0
	s_delay_alu instid0(VALU_DEP_1)
	v_add_nc_u64_e32 v[4:5], s[40:41], v[4:5]
	s_sub_nc_u64 s[0:1], s[42:43], s[0:1]
	s_delay_alu instid0(VALU_DEP_1) | instid1(SALU_CYCLE_1)
	v_cmpx_gt_i64_e64 s[0:1], v[4:5]
	s_cbranch_execz .LBB171_23
; %bb.8:
	v_dual_mov_b32 v7, v3 :: v_dual_bitop2_b32 v6, 63, v0 bitop3:0x40
	s_mov_b32 s3, 0
	s_mov_b32 s2, s21
	;; [unrolled: 1-line block ×3, first 2 shown]
	s_delay_alu instid0(VALU_DEP_1)
	v_sub_nc_u64_e64 v[6:7], v[6:7], s[2:3]
	s_branch .LBB171_10
.LBB171_9:                              ;   in Loop: Header=BB171_10 Depth=1
	s_or_b32 exec_lo, exec_lo, s29
	v_add_nc_u64_e32 v[4:5], 16, v[4:5]
	s_delay_alu instid0(VALU_DEP_1) | instskip(SKIP_1) | instid1(SALU_CYCLE_1)
	v_cmp_le_i64_e32 vcc_lo, s[0:1], v[4:5]
	s_or_b32 s5, vcc_lo, s5
	s_and_not1_b32 exec_lo, exec_lo, s5
	s_cbranch_execz .LBB171_23
.LBB171_10:                             ; =>This Loop Header: Depth=1
                                        ;     Child Loop BB171_14 Depth 2
                                        ;       Child Loop BB171_17 Depth 3
	v_lshl_add_u64 v[8:9], v[4:5], 2, s[6:7]
	s_mov_b32 s29, exec_lo
	global_load_b32 v1, v[8:9], off
	s_wait_loadcnt 0x0
	s_wait_xcnt 0x0
	v_subrev_nc_u32_e32 v8, s20, v1
	s_delay_alu instid0(VALU_DEP_1) | instskip(NEXT) | instid1(VALU_DEP_1)
	v_ashrrev_i32_e32 v9, 31, v8
	v_lshl_add_u64 v[8:9], v[8:9], 3, s[10:11]
	global_load_b128 v[14:17], v[8:9], off
	s_wait_loadcnt 0x0
	s_wait_xcnt 0x0
	v_sub_nc_u64_e64 v[8:9], v[16:17], s[2:3]
	v_add_nc_u64_e32 v[10:11], v[14:15], v[6:7]
	s_delay_alu instid0(VALU_DEP_1)
	v_cmpx_lt_i64_e64 v[10:11], v[8:9]
	s_cbranch_execz .LBB171_9
; %bb.11:                               ;   in Loop: Header=BB171_10 Depth=1
	v_lshl_add_u64 v[14:15], v[4:5], 2, s[8:9]
	s_mov_b32 s30, 0
	global_load_b32 v1, v[14:15], off
	s_wait_loadcnt 0x0
	v_mul_f32_e32 v1, s37, v1
	s_branch .LBB171_14
.LBB171_12:                             ;   in Loop: Header=BB171_14 Depth=2
	s_or_b32 exec_lo, exec_lo, s39
.LBB171_13:                             ;   in Loop: Header=BB171_14 Depth=2
	s_delay_alu instid0(SALU_CYCLE_1)
	s_or_b32 exec_lo, exec_lo, s31
	s_wait_loadcnt 0x0
	v_mul_f32_e32 v3, v1, v3
	v_lshl_add_u32 v14, v14, 2, 0
	v_add_nc_u64_e32 v[10:11], 64, v[10:11]
	ds_add_f32 v14, v3 offset:16384
	v_cmp_ge_i64_e32 vcc_lo, v[10:11], v[8:9]
	s_or_b32 s30, vcc_lo, s30
	s_delay_alu instid0(SALU_CYCLE_1)
	s_and_not1_b32 exec_lo, exec_lo, s30
	s_cbranch_execz .LBB171_9
.LBB171_14:                             ;   Parent Loop BB171_10 Depth=1
                                        ; =>  This Loop Header: Depth=2
                                        ;       Child Loop BB171_17 Depth 3
	s_wait_xcnt 0x0
	v_lshlrev_b64_e32 v[14:15], 2, v[10:11]
	s_mov_b32 s31, exec_lo
	s_delay_alu instid0(VALU_DEP_1)
	v_add_nc_u64_e32 v[16:17], s[24:25], v[14:15]
	v_add_nc_u64_e32 v[14:15], s[26:27], v[14:15]
	global_load_b32 v16, v[16:17], off
	global_load_b32 v3, v[14:15], off
	s_wait_loadcnt 0x1
	s_wait_xcnt 0x0
	v_subrev_nc_u32_e32 v15, s21, v16
	s_delay_alu instid0(VALU_DEP_1) | instskip(NEXT) | instid1(VALU_DEP_1)
	v_mul_lo_u32 v14, 0x89, v15
	v_and_b32_e32 v14, 0xfff, v14
	s_delay_alu instid0(VALU_DEP_1)
	v_lshl_add_u32 v16, v14, 2, 0
	ds_load_b32 v17, v16
	s_wait_dscnt 0x0
	v_cmpx_ne_u32_e64 v17, v15
	s_cbranch_execz .LBB171_13
; %bb.15:                               ;   in Loop: Header=BB171_14 Depth=2
	s_mov_b32 s39, 0
	s_branch .LBB171_17
.LBB171_16:                             ;   in Loop: Header=BB171_17 Depth=3
	s_or_b32 exec_lo, exec_lo, s42
	s_delay_alu instid0(SALU_CYCLE_1) | instskip(NEXT) | instid1(SALU_CYCLE_1)
	s_and_b32 s40, exec_lo, s41
	s_or_b32 s39, s40, s39
	s_delay_alu instid0(SALU_CYCLE_1)
	s_and_not1_b32 exec_lo, exec_lo, s39
	s_cbranch_execz .LBB171_12
.LBB171_17:                             ;   Parent Loop BB171_10 Depth=1
                                        ;     Parent Loop BB171_14 Depth=2
                                        ; =>    This Inner Loop Header: Depth=3
	s_mov_b32 s40, 0
	s_mov_b32 s41, exec_lo
	v_cmpx_ne_u32_e64 s33, v17
	s_xor_b32 s41, exec_lo, s41
	s_cbranch_execz .LBB171_19
; %bb.18:                               ;   in Loop: Header=BB171_17 Depth=3
	v_add_nc_u32_e32 v14, 1, v14
	s_mov_b32 s40, exec_lo
                                        ; implicit-def: $vgpr16
	s_delay_alu instid0(VALU_DEP_1)
	v_and_b32_e32 v14, 0xfff, v14
	s_and_not1_saveexec_b32 s41, s41
	s_cbranch_execz .LBB171_21
	s_branch .LBB171_20
.LBB171_19:                             ;   in Loop: Header=BB171_17 Depth=3
	s_and_not1_saveexec_b32 s41, s41
	s_cbranch_execz .LBB171_21
.LBB171_20:                             ;   in Loop: Header=BB171_17 Depth=3
	v_mov_b32_e32 v17, s33
	s_and_not1_b32 s40, s40, exec_lo
	ds_cmpstore_rtn_b32 v16, v16, v15, v17
	s_wait_dscnt 0x0
	v_cmp_ne_u32_e32 vcc_lo, s33, v16
	s_and_b32 s42, vcc_lo, exec_lo
	s_delay_alu instid0(SALU_CYCLE_1)
	s_or_b32 s40, s40, s42
.LBB171_21:                             ;   in Loop: Header=BB171_17 Depth=3
	s_or_b32 exec_lo, exec_lo, s41
	s_mov_b32 s41, -1
                                        ; implicit-def: $vgpr16
                                        ; implicit-def: $vgpr17
	s_and_saveexec_b32 s42, s40
	s_cbranch_execz .LBB171_16
; %bb.22:                               ;   in Loop: Header=BB171_17 Depth=3
	v_lshl_add_u32 v16, v14, 2, 0
	ds_load_b32 v17, v16
	s_wait_dscnt 0x0
	v_cmp_eq_u32_e32 vcc_lo, v17, v15
	s_or_not1_b32 s41, vcc_lo, exec_lo
	s_branch .LBB171_16
.LBB171_23:
	s_or_b32 exec_lo, exec_lo, s4
.LBB171_24:
	s_delay_alu instid0(SALU_CYCLE_1)
	s_and_not1_b32 vcc_lo, exec_lo, s38
	s_cbranch_vccnz .LBB171_27
; %bb.25:
	s_wait_kmcnt 0x0
	s_ashr_i32 s29, s28, 31
	v_mov_b32_e32 v1, 0
	s_lshl_b64 s[0:1], s[28:29], 3
	s_delay_alu instid0(SALU_CYCLE_1) | instskip(SKIP_4) | instid1(SALU_CYCLE_1)
	s_add_nc_u64 s[0:1], s[12:13], s[0:1]
	s_load_b128 s[4:7], s[0:1], 0x0
	s_wait_xcnt 0x0
	s_mov_b32 s1, 0
	s_mov_b32 s0, s23
	v_sub_nc_u64_e64 v[4:5], v[0:1], s[0:1]
	s_wait_kmcnt 0x0
	s_delay_alu instid0(VALU_DEP_1) | instskip(SKIP_2) | instid1(VALU_DEP_1)
	v_add_nc_u64_e32 v[4:5], s[4:5], v[4:5]
	s_sub_nc_u64 s[2:3], s[6:7], s[0:1]
	s_mov_b32 s0, exec_lo
	v_cmpx_gt_i64_e64 s[2:3], v[4:5]
	s_cbranch_execnz .LBB171_65
.LBB171_26:
	s_or_b32 exec_lo, exec_lo, s0
.LBB171_27:
	v_mbcnt_lo_u32_b32 v4, -1, 0
	v_mov_b32_e32 v1, 0
	v_lshl_add_u32 v3, v2, 2, 0
	s_wait_xcnt 0x0
	v_cmp_lt_u32_e64 s0, 63, v0
	v_cmp_lt_u32_e64 s1, 0x7f, v0
	v_xor_b32_e32 v2, 31, v4
	v_cmp_lt_u32_e64 s2, 0xbf, v0
	v_cmp_lt_u32_e64 s3, 0xff, v0
	;; [unrolled: 1-line block ×4, first 2 shown]
	v_lshrrev_b32_e64 v2, v2, -1
	v_cmp_lt_u32_e64 s6, 0x1bf, v0
	v_cmp_lt_u32_e64 s7, 0x1ff, v0
	;; [unrolled: 1-line block ×9, first 2 shown]
	v_mov_b32_e32 v6, 0
	s_mov_b32 s16, 0
	s_wait_dscnt 0x0
	v_cmp_eq_u32_e32 vcc_lo, 0x3ff, v0
	s_barrier_signal -1
	s_barrier_wait -1
	s_branch .LBB171_29
.LBB171_28:                             ;   in Loop: Header=BB171_29 Depth=1
	s_or_b32 exec_lo, exec_lo, s15
	s_wait_dscnt 0x0
	s_barrier_signal -1
	s_barrier_wait -1
	ds_load_b32 v4, v1 offset:32828
	v_add_nc_u32_e32 v13, 0x400, v13
	v_add_nc_u32_e32 v12, 0x1000, v12
	s_delay_alu instid0(VALU_DEP_2)
	v_cmp_lt_u32_e64 s15, 0xbff, v13
	s_or_b32 s16, s15, s16
	s_wait_dscnt 0x0
	v_add_nc_u32_e32 v6, v4, v6
	s_and_not1_b32 exec_lo, exec_lo, s16
	s_cbranch_execz .LBB171_74
.LBB171_29:                             ; =>This Inner Loop Header: Depth=1
	ds_load_2addr_stride64_b32 v[4:5], v12 offset1:64
	s_wait_dscnt 0x0
	s_barrier_signal -1
	s_barrier_wait -1
	v_cmp_gt_i32_e64 s15, s33, v4
	s_bcnt1_i32_b32 s17, s15
	s_delay_alu instid0(SALU_CYCLE_1) | instskip(NEXT) | instid1(VALU_DEP_1)
	v_dual_mov_b32 v8, s17 :: v_dual_bitop2_b32 v7, s15, v2 bitop3:0x40
	v_bcnt_u32_b32 v7, v7, 0
	ds_store_b32 v3, v8 offset:32768
	s_wait_dscnt 0x0
	s_barrier_signal -1
	s_barrier_wait -1
	s_and_saveexec_b32 s17, s0
	s_cbranch_execz .LBB171_46
; %bb.30:                               ;   in Loop: Header=BB171_29 Depth=1
	ds_load_b32 v8, v1 offset:32768
	s_wait_dscnt 0x0
	v_add_nc_u32_e32 v7, v8, v7
	s_or_b32 exec_lo, exec_lo, s17
	s_and_saveexec_b32 s17, s1
	s_cbranch_execnz .LBB171_47
.LBB171_31:                             ;   in Loop: Header=BB171_29 Depth=1
	s_or_b32 exec_lo, exec_lo, s17
	s_and_saveexec_b32 s17, s2
	s_cbranch_execz .LBB171_48
.LBB171_32:                             ;   in Loop: Header=BB171_29 Depth=1
	ds_load_b32 v8, v1 offset:32776
	s_wait_dscnt 0x0
	v_add_nc_u32_e32 v7, v8, v7
	s_or_b32 exec_lo, exec_lo, s17
	s_and_saveexec_b32 s17, s3
	s_cbranch_execnz .LBB171_49
.LBB171_33:                             ;   in Loop: Header=BB171_29 Depth=1
	s_or_b32 exec_lo, exec_lo, s17
	s_and_saveexec_b32 s17, s4
	s_cbranch_execz .LBB171_50
.LBB171_34:                             ;   in Loop: Header=BB171_29 Depth=1
	ds_load_b32 v8, v1 offset:32784
	s_wait_dscnt 0x0
	v_add_nc_u32_e32 v7, v8, v7
	s_or_b32 exec_lo, exec_lo, s17
	s_and_saveexec_b32 s17, s5
	s_cbranch_execnz .LBB171_51
.LBB171_35:                             ;   in Loop: Header=BB171_29 Depth=1
	s_or_b32 exec_lo, exec_lo, s17
	s_and_saveexec_b32 s17, s6
	s_cbranch_execz .LBB171_52
.LBB171_36:                             ;   in Loop: Header=BB171_29 Depth=1
	ds_load_b32 v8, v1 offset:32792
	s_wait_dscnt 0x0
	v_add_nc_u32_e32 v7, v8, v7
	s_or_b32 exec_lo, exec_lo, s17
	s_and_saveexec_b32 s17, s7
	s_cbranch_execnz .LBB171_53
.LBB171_37:                             ;   in Loop: Header=BB171_29 Depth=1
	s_or_b32 exec_lo, exec_lo, s17
	s_and_saveexec_b32 s17, s8
	s_cbranch_execz .LBB171_54
.LBB171_38:                             ;   in Loop: Header=BB171_29 Depth=1
	ds_load_b32 v8, v1 offset:32800
	s_wait_dscnt 0x0
	v_add_nc_u32_e32 v7, v8, v7
	s_or_b32 exec_lo, exec_lo, s17
	s_and_saveexec_b32 s17, s9
	s_cbranch_execnz .LBB171_55
.LBB171_39:                             ;   in Loop: Header=BB171_29 Depth=1
	s_or_b32 exec_lo, exec_lo, s17
	s_and_saveexec_b32 s17, s10
	s_cbranch_execz .LBB171_56
.LBB171_40:                             ;   in Loop: Header=BB171_29 Depth=1
	ds_load_b32 v8, v1 offset:32808
	s_wait_dscnt 0x0
	v_add_nc_u32_e32 v7, v8, v7
	s_or_b32 exec_lo, exec_lo, s17
	s_and_saveexec_b32 s17, s11
	s_cbranch_execnz .LBB171_57
.LBB171_41:                             ;   in Loop: Header=BB171_29 Depth=1
	s_or_b32 exec_lo, exec_lo, s17
	s_and_saveexec_b32 s17, s12
	s_cbranch_execz .LBB171_58
.LBB171_42:                             ;   in Loop: Header=BB171_29 Depth=1
	ds_load_b32 v8, v1 offset:32816
	s_wait_dscnt 0x0
	v_add_nc_u32_e32 v7, v8, v7
	s_or_b32 exec_lo, exec_lo, s17
	s_and_saveexec_b32 s17, s13
	s_cbranch_execnz .LBB171_59
.LBB171_43:                             ;   in Loop: Header=BB171_29 Depth=1
	s_or_b32 exec_lo, exec_lo, s17
	s_and_saveexec_b32 s17, s14
	s_cbranch_execz .LBB171_60
.LBB171_44:                             ;   in Loop: Header=BB171_29 Depth=1
	ds_load_b32 v8, v1 offset:32824
	s_wait_dscnt 0x0
	v_add_nc_u32_e32 v7, v8, v7
	s_or_b32 exec_lo, exec_lo, s17
	s_and_saveexec_b32 s17, s15
	s_cbranch_execnz .LBB171_61
.LBB171_45:                             ;   in Loop: Header=BB171_29 Depth=1
	s_or_b32 exec_lo, exec_lo, s17
	s_and_saveexec_b32 s15, vcc_lo
	s_cbranch_execz .LBB171_28
	s_branch .LBB171_62
.LBB171_46:                             ;   in Loop: Header=BB171_29 Depth=1
	s_or_b32 exec_lo, exec_lo, s17
	s_and_saveexec_b32 s17, s1
	s_cbranch_execz .LBB171_31
.LBB171_47:                             ;   in Loop: Header=BB171_29 Depth=1
	ds_load_b32 v8, v1 offset:32772
	s_wait_dscnt 0x0
	v_add_nc_u32_e32 v7, v8, v7
	s_or_b32 exec_lo, exec_lo, s17
	s_and_saveexec_b32 s17, s2
	s_cbranch_execnz .LBB171_32
.LBB171_48:                             ;   in Loop: Header=BB171_29 Depth=1
	s_or_b32 exec_lo, exec_lo, s17
	s_and_saveexec_b32 s17, s3
	s_cbranch_execz .LBB171_33
.LBB171_49:                             ;   in Loop: Header=BB171_29 Depth=1
	ds_load_b32 v8, v1 offset:32780
	s_wait_dscnt 0x0
	v_add_nc_u32_e32 v7, v8, v7
	s_or_b32 exec_lo, exec_lo, s17
	s_and_saveexec_b32 s17, s4
	s_cbranch_execnz .LBB171_34
.LBB171_50:                             ;   in Loop: Header=BB171_29 Depth=1
	s_or_b32 exec_lo, exec_lo, s17
	s_and_saveexec_b32 s17, s5
	s_cbranch_execz .LBB171_35
.LBB171_51:                             ;   in Loop: Header=BB171_29 Depth=1
	ds_load_b32 v8, v1 offset:32788
	s_wait_dscnt 0x0
	v_add_nc_u32_e32 v7, v8, v7
	s_or_b32 exec_lo, exec_lo, s17
	s_and_saveexec_b32 s17, s6
	s_cbranch_execnz .LBB171_36
.LBB171_52:                             ;   in Loop: Header=BB171_29 Depth=1
	s_or_b32 exec_lo, exec_lo, s17
	s_and_saveexec_b32 s17, s7
	s_cbranch_execz .LBB171_37
.LBB171_53:                             ;   in Loop: Header=BB171_29 Depth=1
	ds_load_b32 v8, v1 offset:32796
	s_wait_dscnt 0x0
	v_add_nc_u32_e32 v7, v8, v7
	s_or_b32 exec_lo, exec_lo, s17
	s_and_saveexec_b32 s17, s8
	s_cbranch_execnz .LBB171_38
.LBB171_54:                             ;   in Loop: Header=BB171_29 Depth=1
	s_or_b32 exec_lo, exec_lo, s17
	s_and_saveexec_b32 s17, s9
	s_cbranch_execz .LBB171_39
.LBB171_55:                             ;   in Loop: Header=BB171_29 Depth=1
	ds_load_b32 v8, v1 offset:32804
	s_wait_dscnt 0x0
	v_add_nc_u32_e32 v7, v8, v7
	s_or_b32 exec_lo, exec_lo, s17
	s_and_saveexec_b32 s17, s10
	s_cbranch_execnz .LBB171_40
.LBB171_56:                             ;   in Loop: Header=BB171_29 Depth=1
	s_or_b32 exec_lo, exec_lo, s17
	s_and_saveexec_b32 s17, s11
	s_cbranch_execz .LBB171_41
.LBB171_57:                             ;   in Loop: Header=BB171_29 Depth=1
	ds_load_b32 v8, v1 offset:32812
	s_wait_dscnt 0x0
	v_add_nc_u32_e32 v7, v8, v7
	s_or_b32 exec_lo, exec_lo, s17
	s_and_saveexec_b32 s17, s12
	s_cbranch_execnz .LBB171_42
.LBB171_58:                             ;   in Loop: Header=BB171_29 Depth=1
	s_or_b32 exec_lo, exec_lo, s17
	s_and_saveexec_b32 s17, s13
	s_cbranch_execz .LBB171_43
.LBB171_59:                             ;   in Loop: Header=BB171_29 Depth=1
	ds_load_b32 v8, v1 offset:32820
	s_wait_dscnt 0x0
	v_add_nc_u32_e32 v7, v8, v7
	s_or_b32 exec_lo, exec_lo, s17
	s_and_saveexec_b32 s17, s14
	s_cbranch_execnz .LBB171_44
.LBB171_60:                             ;   in Loop: Header=BB171_29 Depth=1
	s_or_b32 exec_lo, exec_lo, s17
	s_and_saveexec_b32 s17, s15
	s_cbranch_execz .LBB171_45
.LBB171_61:                             ;   in Loop: Header=BB171_29 Depth=1
	s_delay_alu instid0(VALU_DEP_1) | instskip(SKIP_1) | instid1(VALU_DEP_2)
	v_add3_u32 v8, v6, -1, v7
	v_add_nc_u32_e32 v9, v6, v7
	v_lshl_add_u32 v8, v8, 2, 0
	s_delay_alu instid0(VALU_DEP_2)
	v_lshl_add_u32 v9, v9, 2, 0
	ds_store_b32 v8, v4
	ds_store_b32 v9, v5 offset:16380
	s_or_b32 exec_lo, exec_lo, s17
	s_and_saveexec_b32 s15, vcc_lo
	s_cbranch_execz .LBB171_28
.LBB171_62:                             ;   in Loop: Header=BB171_29 Depth=1
	ds_store_b32 v1, v7 offset:32828
	s_branch .LBB171_28
.LBB171_63:                             ;   in Loop: Header=BB171_65 Depth=1
	s_or_b32 exec_lo, exec_lo, s5
.LBB171_64:                             ;   in Loop: Header=BB171_65 Depth=1
	s_delay_alu instid0(SALU_CYCLE_1)
	s_or_b32 exec_lo, exec_lo, s4
	s_wait_loadcnt 0x0
	v_mul_f32_e32 v1, s36, v1
	v_lshl_add_u32 v3, v3, 2, 0
	v_add_nc_u64_e32 v[4:5], 0x400, v[4:5]
	ds_add_f32 v3, v1 offset:16384
	v_cmp_le_i64_e32 vcc_lo, s[2:3], v[4:5]
	s_or_b32 s1, vcc_lo, s1
	s_delay_alu instid0(SALU_CYCLE_1)
	s_and_not1_b32 exec_lo, exec_lo, s1
	s_cbranch_execz .LBB171_26
.LBB171_65:                             ; =>This Loop Header: Depth=1
                                        ;     Child Loop BB171_68 Depth 2
	v_lshlrev_b64_e32 v[6:7], 2, v[4:5]
	s_mov_b32 s4, exec_lo
	s_delay_alu instid0(VALU_DEP_1)
	v_add_nc_u64_e32 v[8:9], s[14:15], v[6:7]
	v_add_nc_u64_e32 v[6:7], s[16:17], v[6:7]
	global_load_b32 v3, v[8:9], off
	global_load_b32 v1, v[6:7], off
	s_wait_loadcnt 0x1
	s_wait_xcnt 0x0
	v_subrev_nc_u32_e32 v6, s23, v3
	s_delay_alu instid0(VALU_DEP_1) | instskip(NEXT) | instid1(VALU_DEP_1)
	v_mul_lo_u32 v3, 0x89, v6
	v_and_b32_e32 v3, 0xfff, v3
	s_delay_alu instid0(VALU_DEP_1)
	v_lshl_add_u32 v7, v3, 2, 0
	ds_load_b32 v8, v7
	s_wait_dscnt 0x0
	v_cmpx_ne_u32_e64 v8, v6
	s_cbranch_execz .LBB171_64
; %bb.66:                               ;   in Loop: Header=BB171_65 Depth=1
	s_mov_b32 s5, 0
	s_branch .LBB171_68
.LBB171_67:                             ;   in Loop: Header=BB171_68 Depth=2
	s_or_b32 exec_lo, exec_lo, s8
	s_delay_alu instid0(SALU_CYCLE_1) | instskip(NEXT) | instid1(SALU_CYCLE_1)
	s_and_b32 s6, exec_lo, s7
	s_or_b32 s5, s6, s5
	s_delay_alu instid0(SALU_CYCLE_1)
	s_and_not1_b32 exec_lo, exec_lo, s5
	s_cbranch_execz .LBB171_63
.LBB171_68:                             ;   Parent Loop BB171_65 Depth=1
                                        ; =>  This Inner Loop Header: Depth=2
	s_mov_b32 s6, 0
	s_mov_b32 s7, exec_lo
	v_cmpx_ne_u32_e64 s33, v8
	s_xor_b32 s7, exec_lo, s7
	s_cbranch_execz .LBB171_70
; %bb.69:                               ;   in Loop: Header=BB171_68 Depth=2
	v_add_nc_u32_e32 v3, 1, v3
	s_mov_b32 s6, exec_lo
                                        ; implicit-def: $vgpr7
	s_delay_alu instid0(VALU_DEP_1)
	v_and_b32_e32 v3, 0xfff, v3
	s_and_not1_saveexec_b32 s7, s7
	s_cbranch_execz .LBB171_72
	s_branch .LBB171_71
.LBB171_70:                             ;   in Loop: Header=BB171_68 Depth=2
	s_and_not1_saveexec_b32 s7, s7
	s_cbranch_execz .LBB171_72
.LBB171_71:                             ;   in Loop: Header=BB171_68 Depth=2
	v_mov_b32_e32 v8, s33
	s_and_not1_b32 s6, s6, exec_lo
	ds_cmpstore_rtn_b32 v7, v7, v6, v8
	s_wait_dscnt 0x0
	v_cmp_ne_u32_e32 vcc_lo, s33, v7
	s_and_b32 s8, vcc_lo, exec_lo
	s_delay_alu instid0(SALU_CYCLE_1)
	s_or_b32 s6, s6, s8
.LBB171_72:                             ;   in Loop: Header=BB171_68 Depth=2
	s_or_b32 exec_lo, exec_lo, s7
	s_mov_b32 s7, -1
                                        ; implicit-def: $vgpr7
                                        ; implicit-def: $vgpr8
	s_and_saveexec_b32 s8, s6
	s_cbranch_execz .LBB171_67
; %bb.73:                               ;   in Loop: Header=BB171_68 Depth=2
	v_lshl_add_u32 v7, v3, 2, 0
	ds_load_b32 v8, v7
	s_wait_dscnt 0x0
	v_cmp_eq_u32_e32 vcc_lo, v8, v6
	s_or_not1_b32 s7, vcc_lo, exec_lo
	s_branch .LBB171_67
.LBB171_74:
	s_or_b32 exec_lo, exec_lo, s16
	s_wait_kmcnt 0x0
	s_ashr_i32 s29, s28, 31
	s_delay_alu instid0(SALU_CYCLE_1) | instskip(NEXT) | instid1(SALU_CYCLE_1)
	s_lshl_b64 s[0:1], s[28:29], 3
	s_add_nc_u64 s[4:5], s[18:19], s[0:1]
	s_load_b128 s[0:3], s[4:5], 0x0
	s_wait_xcnt 0x0
	s_mov_b32 s4, exec_lo
	s_wait_kmcnt 0x0
	s_sub_co_i32 s3, s2, s0
	s_delay_alu instid0(SALU_CYCLE_1)
	v_cmpx_gt_i32_e64 s3, v0
	s_cbranch_execz .LBB171_84
; %bb.75:
	s_sub_co_i32 s4, s0, s2
	s_and_b32 s2, s3, 7
	s_cmp_lt_u32 s4, -7
	s_mov_b32 s23, 0
	s_cselect_b32 s4, -1, 0
	s_and_b32 s5, s3, -8
	s_cmp_lg_u32 s2, 0
	s_sub_nc_u64 s[0:1], s[0:1], s[22:23]
	s_cselect_b32 s6, -1, 0
	s_mov_b32 s7, 0
	s_branch .LBB171_77
.LBB171_76:                             ;   in Loop: Header=BB171_77 Depth=1
	v_add_nc_u32_e32 v0, 0x400, v0
	s_delay_alu instid0(VALU_DEP_2) | instskip(NEXT) | instid1(VALU_DEP_2)
	v_lshl_add_u64 v[4:5], v[4:5], 2, s[34:35]
	v_cmp_le_i32_e32 vcc_lo, s3, v0
	s_wait_dscnt 0x0
	global_store_b32 v[4:5], v3, off
	s_or_b32 s7, vcc_lo, s7
	s_wait_xcnt 0x0
	s_and_not1_b32 exec_lo, exec_lo, s7
	s_cbranch_execz .LBB171_84
.LBB171_77:                             ; =>This Loop Header: Depth=1
                                        ;     Child Loop BB171_79 Depth 2
                                        ;     Child Loop BB171_83 Depth 2
	v_lshl_add_u32 v1, v0, 2, 0
	v_mov_b64_e32 v[4:5], s[0:1]
	s_and_not1_b32 vcc_lo, exec_lo, s4
	s_mov_b32 s8, 0
	ds_load_2addr_stride64_b32 v[2:3], v1 offset1:64
	s_cbranch_vccnz .LBB171_81
; %bb.78:                               ;   in Loop: Header=BB171_77 Depth=1
	v_mov_b64_e32 v[4:5], s[0:1]
	s_mov_b32 s9, 0
.LBB171_79:                             ;   Parent Loop BB171_77 Depth=1
                                        ; =>  This Inner Loop Header: Depth=2
	s_delay_alu instid0(SALU_CYCLE_1)
	v_dual_mov_b32 v1, s9 :: v_dual_mov_b32 v11, s23
	v_mov_b32_e32 v17, s23
	s_add_co_i32 s8, s8, 8
	s_add_co_i32 s9, s9, 32
	ds_load_2addr_b32 v[6:7], v1 offset1:1
	ds_load_2addr_b32 v[8:9], v1 offset0:2 offset1:3
	ds_load_2addr_b32 v[12:13], v1 offset0:4 offset1:5
	;; [unrolled: 1-line block ×3, first 2 shown]
	s_cmp_eq_u32 s5, s8
	s_wait_dscnt 0x3
	v_cmp_gt_i32_e32 vcc_lo, v2, v6
	v_cndmask_b32_e64 v10, 0, 1, vcc_lo
	v_cmp_gt_i32_e32 vcc_lo, v2, v7
	v_mov_b32_e32 v7, s23
	s_delay_alu instid0(VALU_DEP_3) | instskip(SKIP_4) | instid1(VALU_DEP_3)
	v_add_nc_u64_e32 v[4:5], v[4:5], v[10:11]
	v_cndmask_b32_e64 v16, 0, 1, vcc_lo
	s_wait_dscnt 0x2
	v_cmp_gt_i32_e32 vcc_lo, v2, v8
	v_cndmask_b32_e64 v6, 0, 1, vcc_lo
	v_add_nc_u64_e32 v[4:5], v[4:5], v[16:17]
	v_cmp_gt_i32_e32 vcc_lo, v2, v9
	v_mov_b32_e32 v9, s23
	v_cndmask_b32_e64 v10, 0, 1, vcc_lo
	s_delay_alu instid0(VALU_DEP_4) | instskip(SKIP_3) | instid1(VALU_DEP_3)
	v_add_nc_u64_e32 v[4:5], v[4:5], v[6:7]
	s_wait_dscnt 0x1
	v_cmp_gt_i32_e32 vcc_lo, v2, v12
	v_cndmask_b32_e64 v6, 0, 1, vcc_lo
	v_add_nc_u64_e32 v[4:5], v[4:5], v[10:11]
	v_cmp_gt_i32_e32 vcc_lo, v2, v13
	v_cndmask_b32_e64 v8, 0, 1, vcc_lo
	s_delay_alu instid0(VALU_DEP_3) | instskip(SKIP_3) | instid1(VALU_DEP_3)
	v_add_nc_u64_e32 v[4:5], v[4:5], v[6:7]
	s_wait_dscnt 0x0
	v_cmp_gt_i32_e32 vcc_lo, v2, v14
	v_cndmask_b32_e64 v6, 0, 1, vcc_lo
	v_add_nc_u64_e32 v[4:5], v[4:5], v[8:9]
	v_cmp_gt_i32_e32 vcc_lo, v2, v15
	v_cndmask_b32_e64 v8, 0, 1, vcc_lo
	s_delay_alu instid0(VALU_DEP_3) | instskip(NEXT) | instid1(VALU_DEP_1)
	v_add_nc_u64_e32 v[4:5], v[4:5], v[6:7]
	v_add_nc_u64_e32 v[4:5], v[4:5], v[8:9]
	s_cbranch_scc0 .LBB171_79
; %bb.80:                               ;   in Loop: Header=BB171_77 Depth=1
	s_mov_b32 s8, s5
.LBB171_81:                             ;   in Loop: Header=BB171_77 Depth=1
	s_and_not1_b32 vcc_lo, exec_lo, s6
	s_cbranch_vccnz .LBB171_76
; %bb.82:                               ;   in Loop: Header=BB171_77 Depth=1
	s_lshl_b32 s8, s8, 2
	s_mov_b32 s9, s2
	s_add_co_i32 s8, s8, 0
.LBB171_83:                             ;   Parent Loop BB171_77 Depth=1
                                        ; =>  This Inner Loop Header: Depth=2
	s_delay_alu instid0(SALU_CYCLE_1)
	v_dual_mov_b32 v1, s8 :: v_dual_mov_b32 v7, s23
	s_add_co_i32 s9, s9, -1
	s_add_co_i32 s8, s8, 4
	s_cmp_lg_u32 s9, 0
	ds_load_b32 v1, v1
	s_wait_dscnt 0x0
	v_cmp_gt_i32_e32 vcc_lo, v2, v1
	v_cndmask_b32_e64 v6, 0, 1, vcc_lo
	s_delay_alu instid0(VALU_DEP_1)
	v_add_nc_u64_e32 v[4:5], v[4:5], v[6:7]
	s_cbranch_scc1 .LBB171_83
	s_branch .LBB171_76
.LBB171_84:
	s_endpgm
	.section	.rodata,"a",@progbits
	.p2align	6, 0x0
	.amdhsa_kernel _ZN9rocsparseL41csrgemm_numeric_fill_block_per_row_kernelILj1024ELj64ELj4096ELj137ELj64ElifEEvT5_PKS1_S3_NS_24const_host_device_scalarIT6_EEPKT4_S3_PKS5_S9_S3_SB_S6_S9_S3_SB_S9_S3_PS5_21rocsparse_index_base_SD_SD_SD_bbb
		.amdhsa_group_segment_fixed_size 0
		.amdhsa_private_segment_fixed_size 0
		.amdhsa_kernarg_size 156
		.amdhsa_user_sgpr_count 2
		.amdhsa_user_sgpr_dispatch_ptr 0
		.amdhsa_user_sgpr_queue_ptr 0
		.amdhsa_user_sgpr_kernarg_segment_ptr 1
		.amdhsa_user_sgpr_dispatch_id 0
		.amdhsa_user_sgpr_kernarg_preload_length 0
		.amdhsa_user_sgpr_kernarg_preload_offset 0
		.amdhsa_user_sgpr_private_segment_size 0
		.amdhsa_wavefront_size32 1
		.amdhsa_uses_dynamic_stack 0
		.amdhsa_enable_private_segment 0
		.amdhsa_system_sgpr_workgroup_id_x 1
		.amdhsa_system_sgpr_workgroup_id_y 0
		.amdhsa_system_sgpr_workgroup_id_z 0
		.amdhsa_system_sgpr_workgroup_info 0
		.amdhsa_system_vgpr_workitem_id 0
		.amdhsa_next_free_vgpr 18
		.amdhsa_next_free_sgpr 44
		.amdhsa_named_barrier_count 0
		.amdhsa_reserve_vcc 1
		.amdhsa_float_round_mode_32 0
		.amdhsa_float_round_mode_16_64 0
		.amdhsa_float_denorm_mode_32 3
		.amdhsa_float_denorm_mode_16_64 3
		.amdhsa_fp16_overflow 0
		.amdhsa_memory_ordered 1
		.amdhsa_forward_progress 1
		.amdhsa_inst_pref_size 25
		.amdhsa_round_robin_scheduling 0
		.amdhsa_exception_fp_ieee_invalid_op 0
		.amdhsa_exception_fp_denorm_src 0
		.amdhsa_exception_fp_ieee_div_zero 0
		.amdhsa_exception_fp_ieee_overflow 0
		.amdhsa_exception_fp_ieee_underflow 0
		.amdhsa_exception_fp_ieee_inexact 0
		.amdhsa_exception_int_div_zero 0
	.end_amdhsa_kernel
	.section	.text._ZN9rocsparseL41csrgemm_numeric_fill_block_per_row_kernelILj1024ELj64ELj4096ELj137ELj64ElifEEvT5_PKS1_S3_NS_24const_host_device_scalarIT6_EEPKT4_S3_PKS5_S9_S3_SB_S6_S9_S3_SB_S9_S3_PS5_21rocsparse_index_base_SD_SD_SD_bbb,"axG",@progbits,_ZN9rocsparseL41csrgemm_numeric_fill_block_per_row_kernelILj1024ELj64ELj4096ELj137ELj64ElifEEvT5_PKS1_S3_NS_24const_host_device_scalarIT6_EEPKT4_S3_PKS5_S9_S3_SB_S6_S9_S3_SB_S9_S3_PS5_21rocsparse_index_base_SD_SD_SD_bbb,comdat
.Lfunc_end171:
	.size	_ZN9rocsparseL41csrgemm_numeric_fill_block_per_row_kernelILj1024ELj64ELj4096ELj137ELj64ElifEEvT5_PKS1_S3_NS_24const_host_device_scalarIT6_EEPKT4_S3_PKS5_S9_S3_SB_S6_S9_S3_SB_S9_S3_PS5_21rocsparse_index_base_SD_SD_SD_bbb, .Lfunc_end171-_ZN9rocsparseL41csrgemm_numeric_fill_block_per_row_kernelILj1024ELj64ELj4096ELj137ELj64ElifEEvT5_PKS1_S3_NS_24const_host_device_scalarIT6_EEPKT4_S3_PKS5_S9_S3_SB_S6_S9_S3_SB_S9_S3_PS5_21rocsparse_index_base_SD_SD_SD_bbb
                                        ; -- End function
	.set _ZN9rocsparseL41csrgemm_numeric_fill_block_per_row_kernelILj1024ELj64ELj4096ELj137ELj64ElifEEvT5_PKS1_S3_NS_24const_host_device_scalarIT6_EEPKT4_S3_PKS5_S9_S3_SB_S6_S9_S3_SB_S9_S3_PS5_21rocsparse_index_base_SD_SD_SD_bbb.num_vgpr, 18
	.set _ZN9rocsparseL41csrgemm_numeric_fill_block_per_row_kernelILj1024ELj64ELj4096ELj137ELj64ElifEEvT5_PKS1_S3_NS_24const_host_device_scalarIT6_EEPKT4_S3_PKS5_S9_S3_SB_S6_S9_S3_SB_S9_S3_PS5_21rocsparse_index_base_SD_SD_SD_bbb.num_agpr, 0
	.set _ZN9rocsparseL41csrgemm_numeric_fill_block_per_row_kernelILj1024ELj64ELj4096ELj137ELj64ElifEEvT5_PKS1_S3_NS_24const_host_device_scalarIT6_EEPKT4_S3_PKS5_S9_S3_SB_S6_S9_S3_SB_S9_S3_PS5_21rocsparse_index_base_SD_SD_SD_bbb.numbered_sgpr, 44
	.set _ZN9rocsparseL41csrgemm_numeric_fill_block_per_row_kernelILj1024ELj64ELj4096ELj137ELj64ElifEEvT5_PKS1_S3_NS_24const_host_device_scalarIT6_EEPKT4_S3_PKS5_S9_S3_SB_S6_S9_S3_SB_S9_S3_PS5_21rocsparse_index_base_SD_SD_SD_bbb.num_named_barrier, 0
	.set _ZN9rocsparseL41csrgemm_numeric_fill_block_per_row_kernelILj1024ELj64ELj4096ELj137ELj64ElifEEvT5_PKS1_S3_NS_24const_host_device_scalarIT6_EEPKT4_S3_PKS5_S9_S3_SB_S6_S9_S3_SB_S9_S3_PS5_21rocsparse_index_base_SD_SD_SD_bbb.private_seg_size, 0
	.set _ZN9rocsparseL41csrgemm_numeric_fill_block_per_row_kernelILj1024ELj64ELj4096ELj137ELj64ElifEEvT5_PKS1_S3_NS_24const_host_device_scalarIT6_EEPKT4_S3_PKS5_S9_S3_SB_S6_S9_S3_SB_S9_S3_PS5_21rocsparse_index_base_SD_SD_SD_bbb.uses_vcc, 1
	.set _ZN9rocsparseL41csrgemm_numeric_fill_block_per_row_kernelILj1024ELj64ELj4096ELj137ELj64ElifEEvT5_PKS1_S3_NS_24const_host_device_scalarIT6_EEPKT4_S3_PKS5_S9_S3_SB_S6_S9_S3_SB_S9_S3_PS5_21rocsparse_index_base_SD_SD_SD_bbb.uses_flat_scratch, 0
	.set _ZN9rocsparseL41csrgemm_numeric_fill_block_per_row_kernelILj1024ELj64ELj4096ELj137ELj64ElifEEvT5_PKS1_S3_NS_24const_host_device_scalarIT6_EEPKT4_S3_PKS5_S9_S3_SB_S6_S9_S3_SB_S9_S3_PS5_21rocsparse_index_base_SD_SD_SD_bbb.has_dyn_sized_stack, 0
	.set _ZN9rocsparseL41csrgemm_numeric_fill_block_per_row_kernelILj1024ELj64ELj4096ELj137ELj64ElifEEvT5_PKS1_S3_NS_24const_host_device_scalarIT6_EEPKT4_S3_PKS5_S9_S3_SB_S6_S9_S3_SB_S9_S3_PS5_21rocsparse_index_base_SD_SD_SD_bbb.has_recursion, 0
	.set _ZN9rocsparseL41csrgemm_numeric_fill_block_per_row_kernelILj1024ELj64ELj4096ELj137ELj64ElifEEvT5_PKS1_S3_NS_24const_host_device_scalarIT6_EEPKT4_S3_PKS5_S9_S3_SB_S6_S9_S3_SB_S9_S3_PS5_21rocsparse_index_base_SD_SD_SD_bbb.has_indirect_call, 0
	.section	.AMDGPU.csdata,"",@progbits
; Kernel info:
; codeLenInByte = 3136
; TotalNumSgprs: 46
; NumVgprs: 18
; ScratchSize: 0
; MemoryBound: 0
; FloatMode: 240
; IeeeMode: 1
; LDSByteSize: 0 bytes/workgroup (compile time only)
; SGPRBlocks: 0
; VGPRBlocks: 1
; NumSGPRsForWavesPerEU: 46
; NumVGPRsForWavesPerEU: 18
; NamedBarCnt: 0
; Occupancy: 16
; WaveLimiterHint : 1
; COMPUTE_PGM_RSRC2:SCRATCH_EN: 0
; COMPUTE_PGM_RSRC2:USER_SGPR: 2
; COMPUTE_PGM_RSRC2:TRAP_HANDLER: 0
; COMPUTE_PGM_RSRC2:TGID_X_EN: 1
; COMPUTE_PGM_RSRC2:TGID_Y_EN: 0
; COMPUTE_PGM_RSRC2:TGID_Z_EN: 0
; COMPUTE_PGM_RSRC2:TIDIG_COMP_CNT: 0
	.section	.text._ZN9rocsparseL41csrgemm_numeric_fill_block_per_row_kernelILj1024ELj64ELj8192ELj137ELj32ElifEEvT5_PKS1_S3_NS_24const_host_device_scalarIT6_EEPKT4_S3_PKS5_S9_S3_SB_S6_S9_S3_SB_S9_S3_PS5_21rocsparse_index_base_SD_SD_SD_bbb,"axG",@progbits,_ZN9rocsparseL41csrgemm_numeric_fill_block_per_row_kernelILj1024ELj64ELj8192ELj137ELj32ElifEEvT5_PKS1_S3_NS_24const_host_device_scalarIT6_EEPKT4_S3_PKS5_S9_S3_SB_S6_S9_S3_SB_S9_S3_PS5_21rocsparse_index_base_SD_SD_SD_bbb,comdat
	.globl	_ZN9rocsparseL41csrgemm_numeric_fill_block_per_row_kernelILj1024ELj64ELj8192ELj137ELj32ElifEEvT5_PKS1_S3_NS_24const_host_device_scalarIT6_EEPKT4_S3_PKS5_S9_S3_SB_S6_S9_S3_SB_S9_S3_PS5_21rocsparse_index_base_SD_SD_SD_bbb ; -- Begin function _ZN9rocsparseL41csrgemm_numeric_fill_block_per_row_kernelILj1024ELj64ELj8192ELj137ELj32ElifEEvT5_PKS1_S3_NS_24const_host_device_scalarIT6_EEPKT4_S3_PKS5_S9_S3_SB_S6_S9_S3_SB_S9_S3_PS5_21rocsparse_index_base_SD_SD_SD_bbb
	.p2align	8
	.type	_ZN9rocsparseL41csrgemm_numeric_fill_block_per_row_kernelILj1024ELj64ELj8192ELj137ELj32ElifEEvT5_PKS1_S3_NS_24const_host_device_scalarIT6_EEPKT4_S3_PKS5_S9_S3_SB_S6_S9_S3_SB_S9_S3_PS5_21rocsparse_index_base_SD_SD_SD_bbb,@function
_ZN9rocsparseL41csrgemm_numeric_fill_block_per_row_kernelILj1024ELj64ELj8192ELj137ELj32ElifEEvT5_PKS1_S3_NS_24const_host_device_scalarIT6_EEPKT4_S3_PKS5_S9_S3_SB_S6_S9_S3_SB_S9_S3_PS5_21rocsparse_index_base_SD_SD_SD_bbb: ; @_ZN9rocsparseL41csrgemm_numeric_fill_block_per_row_kernelILj1024ELj64ELj8192ELj137ELj32ElifEEvT5_PKS1_S3_NS_24const_host_device_scalarIT6_EEPKT4_S3_PKS5_S9_S3_SB_S6_S9_S3_SB_S9_S3_PS5_21rocsparse_index_base_SD_SD_SD_bbb
; %bb.0:
	s_clause 0x4
	s_load_b32 s11, s[0:1], 0x98
	s_load_b64 s[8:9], s[0:1], 0x18
	s_load_b128 s[4:7], s[0:1], 0x8
	s_load_b128 s[36:39], s[0:1], 0x88
	s_load_b64 s[2:3], s[0:1], 0x50
	s_wait_kmcnt 0x0
	s_and_b32 s10, 1, s11
	s_bitcmp1_b32 s11, 16
	s_cselect_b32 s12, -1, 0
	s_cmp_eq_u32 s10, 1
	s_cselect_b32 s10, -1, 0
	s_delay_alu instid0(SALU_CYCLE_1) | instskip(SKIP_2) | instid1(SALU_CYCLE_1)
	s_and_b32 s13, s10, exec_lo
	s_cselect_b32 s17, s8, 0
	s_xor_b32 s13, s10, -1
	s_or_b32 s13, s12, s13
	s_delay_alu instid0(SALU_CYCLE_1)
	s_and_b32 vcc_lo, exec_lo, s13
	s_cbranch_vccnz .LBB172_2
; %bb.1:
	s_load_b32 s17, s[8:9], 0x0
.LBB172_2:
	s_bitcmp1_b32 s11, 8
	s_cselect_b32 s18, -1, 0
	s_wait_xcnt 0x0
	s_and_b32 s8, s18, exec_lo
	s_cselect_b32 s16, s2, 0
	s_xor_b32 s8, s18, -1
	s_delay_alu instid0(SALU_CYCLE_1) | instskip(NEXT) | instid1(SALU_CYCLE_1)
	s_or_b32 s8, s12, s8
	s_and_b32 vcc_lo, exec_lo, s8
	s_cbranch_vccnz .LBB172_4
; %bb.3:
	s_load_b32 s16, s[2:3], 0x0
.LBB172_4:
	s_load_b32 s33, s[0:1], 0x0
	v_lshl_add_u32 v10, v0, 2, 0
	v_mov_b32_e32 v5, 0
	s_wait_xcnt 0x0
	s_bfe_u32 s3, ttmp6, 0x4000c
	s_delay_alu instid0(SALU_CYCLE_1) | instskip(NEXT) | instid1(SALU_CYCLE_1)
	s_add_co_i32 s3, s3, 1
	s_mul_i32 s3, ttmp9, s3
	s_wait_kmcnt 0x0
	v_dual_mov_b32 v1, s33 :: v_dual_mov_b32 v2, s33
	v_dual_mov_b32 v3, s33 :: v_dual_mov_b32 v4, s33
	;; [unrolled: 1-line block ×4, first 2 shown]
	ds_store_2addr_stride64_b32 v10, v5, v5 offset0:128 offset1:144
	ds_store_2addr_stride64_b32 v10, v5, v5 offset0:160 offset1:176
	;; [unrolled: 1-line block ×4, first 2 shown]
	ds_store_2addr_stride64_b32 v10, v1, v2 offset1:16
	ds_store_2addr_stride64_b32 v10, v3, v4 offset0:32 offset1:48
	ds_store_2addr_stride64_b32 v10, v6, v7 offset0:64 offset1:80
	;; [unrolled: 1-line block ×3, first 2 shown]
	s_wait_dscnt 0x0
	s_barrier_signal -1
	s_barrier_wait -1
	s_load_b32 s2, s[4:5], 0x0
	s_wait_xcnt 0x0
	s_and_b32 s4, ttmp6, 15
	s_getreg_b32 s5, hwreg(HW_REG_IB_STS2, 6, 4)
	s_add_co_i32 s4, s4, s3
	s_cmp_eq_u32 s5, 0
	s_cselect_b32 s3, ttmp9, s4
	s_and_not1_b32 vcc_lo, exec_lo, s10
	s_wait_kmcnt 0x0
	s_add_co_i32 s2, s2, s3
	s_mov_b32 s3, 0
	s_load_b32 s34, s[6:7], s2 offset:0x0 scale_offset
	s_cbranch_vccnz .LBB172_22
; %bb.5:
	s_load_b64 s[4:5], s[0:1], 0x20
	s_wait_kmcnt 0x0
	s_ashr_i32 s35, s34, 31
	v_lshrrev_b32_e32 v4, 6, v0
	s_lshl_b64 s[6:7], s[34:35], 3
	s_mov_b32 s2, s36
	s_mov_b32 s19, exec_lo
	s_delay_alu instid0(VALU_DEP_1) | instskip(SKIP_3) | instid1(VALU_DEP_1)
	v_sub_nc_u64_e64 v[2:3], v[4:5], s[2:3]
	s_add_nc_u64 s[8:9], s[4:5], s[6:7]
	s_load_b128 s[4:7], s[8:9], 0x0
	s_wait_kmcnt 0x0
	v_add_nc_u64_e32 v[2:3], s[4:5], v[2:3]
	s_sub_nc_u64 s[2:3], s[6:7], s[2:3]
	s_delay_alu instid0(VALU_DEP_1) | instid1(SALU_CYCLE_1)
	v_cmpx_gt_i64_e64 s[2:3], v[2:3]
	s_cbranch_execz .LBB172_21
; %bb.6:
	s_clause 0x1
	s_load_b64 s[12:13], s[0:1], 0x48
	s_load_b256 s[4:11], s[0:1], 0x28
	v_and_b32_e32 v4, 63, v0
	s_mov_b32 s15, 0
	s_mov_b32 s14, s37
	;; [unrolled: 1-line block ×3, first 2 shown]
	s_delay_alu instid0(VALU_DEP_1)
	v_sub_nc_u64_e64 v[4:5], v[4:5], s[14:15]
	s_branch .LBB172_8
.LBB172_7:                              ;   in Loop: Header=BB172_8 Depth=1
	s_or_b32 exec_lo, exec_lo, s21
	v_add_nc_u64_e32 v[2:3], 16, v[2:3]
	s_delay_alu instid0(VALU_DEP_1) | instskip(SKIP_1) | instid1(SALU_CYCLE_1)
	v_cmp_le_i64_e32 vcc_lo, s[2:3], v[2:3]
	s_or_b32 s20, vcc_lo, s20
	s_and_not1_b32 exec_lo, exec_lo, s20
	s_cbranch_execz .LBB172_21
.LBB172_8:                              ; =>This Loop Header: Depth=1
                                        ;     Child Loop BB172_12 Depth 2
                                        ;       Child Loop BB172_15 Depth 3
	s_wait_kmcnt 0x0
	v_lshl_add_u64 v[6:7], v[2:3], 2, s[4:5]
	s_mov_b32 s21, exec_lo
	global_load_b32 v1, v[6:7], off
	s_wait_loadcnt 0x0
	s_wait_xcnt 0x0
	v_subrev_nc_u32_e32 v6, s36, v1
	s_delay_alu instid0(VALU_DEP_1) | instskip(NEXT) | instid1(VALU_DEP_1)
	v_ashrrev_i32_e32 v7, 31, v6
	v_lshl_add_u64 v[6:7], v[6:7], 3, s[8:9]
	global_load_b128 v[12:15], v[6:7], off
	s_wait_loadcnt 0x0
	s_wait_xcnt 0x0
	v_sub_nc_u64_e64 v[6:7], v[14:15], s[14:15]
	v_add_nc_u64_e32 v[8:9], v[12:13], v[4:5]
	s_delay_alu instid0(VALU_DEP_1)
	v_cmpx_lt_i64_e64 v[8:9], v[6:7]
	s_cbranch_execz .LBB172_7
; %bb.9:                                ;   in Loop: Header=BB172_8 Depth=1
	v_lshl_add_u64 v[12:13], v[2:3], 2, s[6:7]
	s_mov_b32 s22, 0
	global_load_b32 v1, v[12:13], off
	s_wait_loadcnt 0x0
	v_mul_f32_e32 v1, s17, v1
	s_branch .LBB172_12
.LBB172_10:                             ;   in Loop: Header=BB172_12 Depth=2
	s_or_b32 exec_lo, exec_lo, s24
.LBB172_11:                             ;   in Loop: Header=BB172_12 Depth=2
	s_delay_alu instid0(SALU_CYCLE_1)
	s_or_b32 exec_lo, exec_lo, s23
	s_wait_loadcnt 0x0
	v_mul_f32_e32 v11, v1, v11
	v_lshl_add_u32 v12, v12, 2, 0
	v_add_nc_u64_e32 v[8:9], 64, v[8:9]
	ds_add_f32 v12, v11 offset:32768
	v_cmp_ge_i64_e32 vcc_lo, v[8:9], v[6:7]
	s_or_b32 s22, vcc_lo, s22
	s_delay_alu instid0(SALU_CYCLE_1)
	s_and_not1_b32 exec_lo, exec_lo, s22
	s_cbranch_execz .LBB172_7
.LBB172_12:                             ;   Parent Loop BB172_8 Depth=1
                                        ; =>  This Loop Header: Depth=2
                                        ;       Child Loop BB172_15 Depth 3
	s_wait_xcnt 0x0
	v_lshlrev_b64_e32 v[12:13], 2, v[8:9]
	s_mov_b32 s23, exec_lo
	s_delay_alu instid0(VALU_DEP_1)
	v_add_nc_u64_e32 v[14:15], s[10:11], v[12:13]
	v_add_nc_u64_e32 v[12:13], s[12:13], v[12:13]
	global_load_b32 v14, v[14:15], off
	global_load_b32 v11, v[12:13], off
	s_wait_loadcnt 0x1
	s_wait_xcnt 0x0
	v_subrev_nc_u32_e32 v13, s37, v14
	s_delay_alu instid0(VALU_DEP_1) | instskip(NEXT) | instid1(VALU_DEP_1)
	v_mul_lo_u32 v12, 0x89, v13
	v_and_b32_e32 v12, 0x1fff, v12
	s_delay_alu instid0(VALU_DEP_1)
	v_lshl_add_u32 v14, v12, 2, 0
	ds_load_b32 v15, v14
	s_wait_dscnt 0x0
	v_cmpx_ne_u32_e64 v15, v13
	s_cbranch_execz .LBB172_11
; %bb.13:                               ;   in Loop: Header=BB172_12 Depth=2
	s_mov_b32 s24, 0
	s_branch .LBB172_15
.LBB172_14:                             ;   in Loop: Header=BB172_15 Depth=3
	s_or_b32 exec_lo, exec_lo, s27
	s_delay_alu instid0(SALU_CYCLE_1) | instskip(NEXT) | instid1(SALU_CYCLE_1)
	s_and_b32 s25, exec_lo, s26
	s_or_b32 s24, s25, s24
	s_delay_alu instid0(SALU_CYCLE_1)
	s_and_not1_b32 exec_lo, exec_lo, s24
	s_cbranch_execz .LBB172_10
.LBB172_15:                             ;   Parent Loop BB172_8 Depth=1
                                        ;     Parent Loop BB172_12 Depth=2
                                        ; =>    This Inner Loop Header: Depth=3
	s_mov_b32 s25, 0
	s_mov_b32 s26, exec_lo
	v_cmpx_ne_u32_e64 s33, v15
	s_xor_b32 s26, exec_lo, s26
	s_cbranch_execz .LBB172_17
; %bb.16:                               ;   in Loop: Header=BB172_15 Depth=3
	v_add_nc_u32_e32 v12, 1, v12
	s_mov_b32 s25, exec_lo
                                        ; implicit-def: $vgpr14
	s_delay_alu instid0(VALU_DEP_1)
	v_and_b32_e32 v12, 0x1fff, v12
	s_and_not1_saveexec_b32 s26, s26
	s_cbranch_execz .LBB172_19
	s_branch .LBB172_18
.LBB172_17:                             ;   in Loop: Header=BB172_15 Depth=3
	s_and_not1_saveexec_b32 s26, s26
	s_cbranch_execz .LBB172_19
.LBB172_18:                             ;   in Loop: Header=BB172_15 Depth=3
	v_mov_b32_e32 v15, s33
	s_and_not1_b32 s25, s25, exec_lo
	ds_cmpstore_rtn_b32 v14, v14, v13, v15
	s_wait_dscnt 0x0
	v_cmp_ne_u32_e32 vcc_lo, s33, v14
	s_and_b32 s27, vcc_lo, exec_lo
	s_delay_alu instid0(SALU_CYCLE_1)
	s_or_b32 s25, s25, s27
.LBB172_19:                             ;   in Loop: Header=BB172_15 Depth=3
	s_or_b32 exec_lo, exec_lo, s26
	s_mov_b32 s26, -1
                                        ; implicit-def: $vgpr14
                                        ; implicit-def: $vgpr15
	s_and_saveexec_b32 s27, s25
	s_cbranch_execz .LBB172_14
; %bb.20:                               ;   in Loop: Header=BB172_15 Depth=3
	v_lshl_add_u32 v14, v12, 2, 0
	ds_load_b32 v15, v14
	s_wait_dscnt 0x0
	v_cmp_eq_u32_e32 vcc_lo, v15, v13
	s_or_not1_b32 s26, vcc_lo, exec_lo
	s_branch .LBB172_14
.LBB172_21:
	s_or_b32 exec_lo, exec_lo, s19
.LBB172_22:
	s_delay_alu instid0(SALU_CYCLE_1)
	s_and_not1_b32 vcc_lo, exec_lo, s18
	s_cbranch_vccnz .LBB172_37
; %bb.23:
	s_wait_xcnt 0x0
	s_load_b64 s[2:3], s[0:1], 0x58
	s_wait_kmcnt 0x0
	s_ashr_i32 s35, s34, 31
	v_mov_b32_e32 v1, 0
	s_lshl_b64 s[4:5], s[34:35], 3
	s_delay_alu instid0(SALU_CYCLE_1) | instskip(SKIP_4) | instid1(SALU_CYCLE_1)
	s_add_nc_u64 s[2:3], s[2:3], s[4:5]
	s_load_b128 s[4:7], s[2:3], 0x0
	s_wait_xcnt 0x0
	s_mov_b32 s3, 0
	s_mov_b32 s2, s39
	v_sub_nc_u64_e64 v[2:3], v[0:1], s[2:3]
	s_wait_kmcnt 0x0
	s_delay_alu instid0(VALU_DEP_1) | instskip(SKIP_2) | instid1(VALU_DEP_1)
	v_add_nc_u64_e32 v[2:3], s[4:5], v[2:3]
	s_sub_nc_u64 s[8:9], s[6:7], s[2:3]
	s_mov_b32 s2, exec_lo
	v_cmpx_gt_i64_e64 s[8:9], v[2:3]
	s_cbranch_execz .LBB172_36
; %bb.24:
	s_load_b128 s[4:7], s[0:1], 0x60
	s_branch .LBB172_27
.LBB172_25:                             ;   in Loop: Header=BB172_27 Depth=1
	s_or_b32 exec_lo, exec_lo, s11
.LBB172_26:                             ;   in Loop: Header=BB172_27 Depth=1
	s_delay_alu instid0(SALU_CYCLE_1)
	s_or_b32 exec_lo, exec_lo, s10
	s_wait_loadcnt 0x0
	v_mul_f32_e32 v1, s16, v1
	v_lshl_add_u32 v4, v4, 2, 0
	v_add_nc_u64_e32 v[2:3], 0x400, v[2:3]
	ds_add_f32 v4, v1 offset:32768
	v_cmp_le_i64_e32 vcc_lo, s[8:9], v[2:3]
	s_or_b32 s3, vcc_lo, s3
	s_delay_alu instid0(SALU_CYCLE_1)
	s_and_not1_b32 exec_lo, exec_lo, s3
	s_cbranch_execz .LBB172_36
.LBB172_27:                             ; =>This Loop Header: Depth=1
                                        ;     Child Loop BB172_30 Depth 2
	v_lshlrev_b64_e32 v[4:5], 2, v[2:3]
	s_mov_b32 s10, exec_lo
	s_wait_kmcnt 0x0
	s_delay_alu instid0(VALU_DEP_1)
	v_add_nc_u64_e32 v[6:7], s[4:5], v[4:5]
	v_add_nc_u64_e32 v[4:5], s[6:7], v[4:5]
	global_load_b32 v6, v[6:7], off
	global_load_b32 v1, v[4:5], off
	s_wait_loadcnt 0x1
	s_wait_xcnt 0x0
	v_subrev_nc_u32_e32 v5, s39, v6
	s_delay_alu instid0(VALU_DEP_1) | instskip(NEXT) | instid1(VALU_DEP_1)
	v_mul_lo_u32 v4, 0x89, v5
	v_and_b32_e32 v4, 0x1fff, v4
	s_delay_alu instid0(VALU_DEP_1)
	v_lshl_add_u32 v6, v4, 2, 0
	ds_load_b32 v7, v6
	s_wait_dscnt 0x0
	v_cmpx_ne_u32_e64 v7, v5
	s_cbranch_execz .LBB172_26
; %bb.28:                               ;   in Loop: Header=BB172_27 Depth=1
	s_mov_b32 s11, 0
	s_branch .LBB172_30
.LBB172_29:                             ;   in Loop: Header=BB172_30 Depth=2
	s_or_b32 exec_lo, exec_lo, s14
	s_delay_alu instid0(SALU_CYCLE_1) | instskip(NEXT) | instid1(SALU_CYCLE_1)
	s_and_b32 s12, exec_lo, s13
	s_or_b32 s11, s12, s11
	s_delay_alu instid0(SALU_CYCLE_1)
	s_and_not1_b32 exec_lo, exec_lo, s11
	s_cbranch_execz .LBB172_25
.LBB172_30:                             ;   Parent Loop BB172_27 Depth=1
                                        ; =>  This Inner Loop Header: Depth=2
	s_mov_b32 s12, 0
	s_mov_b32 s13, exec_lo
	v_cmpx_ne_u32_e64 s33, v7
	s_xor_b32 s13, exec_lo, s13
	s_cbranch_execz .LBB172_32
; %bb.31:                               ;   in Loop: Header=BB172_30 Depth=2
	v_add_nc_u32_e32 v4, 1, v4
	s_mov_b32 s12, exec_lo
                                        ; implicit-def: $vgpr6
	s_delay_alu instid0(VALU_DEP_1)
	v_and_b32_e32 v4, 0x1fff, v4
	s_and_not1_saveexec_b32 s13, s13
	s_cbranch_execz .LBB172_34
	s_branch .LBB172_33
.LBB172_32:                             ;   in Loop: Header=BB172_30 Depth=2
	s_and_not1_saveexec_b32 s13, s13
	s_cbranch_execz .LBB172_34
.LBB172_33:                             ;   in Loop: Header=BB172_30 Depth=2
	v_mov_b32_e32 v7, s33
	s_and_not1_b32 s12, s12, exec_lo
	ds_cmpstore_rtn_b32 v6, v6, v5, v7
	s_wait_dscnt 0x0
	v_cmp_ne_u32_e32 vcc_lo, s33, v6
	s_and_b32 s14, vcc_lo, exec_lo
	s_delay_alu instid0(SALU_CYCLE_1)
	s_or_b32 s12, s12, s14
.LBB172_34:                             ;   in Loop: Header=BB172_30 Depth=2
	s_or_b32 exec_lo, exec_lo, s13
	s_mov_b32 s13, -1
                                        ; implicit-def: $vgpr6
                                        ; implicit-def: $vgpr7
	s_and_saveexec_b32 s14, s12
	s_cbranch_execz .LBB172_29
; %bb.35:                               ;   in Loop: Header=BB172_30 Depth=2
	v_lshl_add_u32 v6, v4, 2, 0
	ds_load_b32 v7, v6
	s_wait_dscnt 0x0
	v_cmp_eq_u32_e32 vcc_lo, v7, v5
	s_or_not1_b32 s13, vcc_lo, exec_lo
	s_branch .LBB172_29
.LBB172_36:
	s_or_b32 exec_lo, exec_lo, s2
.LBB172_37:
	s_clause 0x1
	s_load_b64 s[36:37], s[0:1], 0x80
	s_load_b64 s[40:41], s[0:1], 0x70
	v_mbcnt_lo_u32_b32 v1, -1, 0
	v_lshrrev_b32_e32 v2, 3, v0
	s_wait_xcnt 0x0
	v_cmp_lt_u32_e64 s0, 31, v0
	v_cmp_lt_u32_e64 s1, 63, v0
	;; [unrolled: 1-line block ×3, first 2 shown]
	v_xor_b32_e32 v1, 31, v1
	v_and_b32_e32 v3, 0x7c, v2
	v_cmp_lt_u32_e64 s3, 0x7f, v0
	v_cmp_lt_u32_e64 s4, 0x9f, v0
	;; [unrolled: 1-line block ×3, first 2 shown]
	v_lshrrev_b32_e64 v2, v1, -1
	v_mov_b32_e32 v1, 0
	v_add3_u32 v3, 0x10000, 0, v3
	v_cmp_lt_u32_e64 s6, 0xdf, v0
	v_cmp_lt_u32_e64 s7, 0xff, v0
	v_cmp_lt_u32_e64 s8, 0x11f, v0
	v_cmp_lt_u32_e64 s9, 0x13f, v0
	v_cmp_lt_u32_e64 s10, 0x15f, v0
	v_cmp_lt_u32_e64 s11, 0x17f, v0
	v_cmp_lt_u32_e64 s12, 0x19f, v0
	v_cmp_lt_u32_e64 s13, 0x1bf, v0
	v_cmp_lt_u32_e64 s14, 0x1df, v0
	v_cmp_lt_u32_e64 s15, 0x1ff, v0
	v_cmp_lt_u32_e64 s16, 0x21f, v0
	v_cmp_lt_u32_e64 s17, 0x23f, v0
	v_cmp_lt_u32_e64 s18, 0x25f, v0
	v_cmp_lt_u32_e64 s19, 0x27f, v0
	v_cmp_lt_u32_e64 s20, 0x29f, v0
	v_cmp_lt_u32_e64 s21, 0x2bf, v0
	v_cmp_lt_u32_e64 s22, 0x2df, v0
	v_cmp_lt_u32_e64 s23, 0x2ff, v0
	v_cmp_lt_u32_e64 s24, 0x31f, v0
	v_cmp_lt_u32_e64 s25, 0x33f, v0
	v_cmp_lt_u32_e64 s26, 0x35f, v0
	v_cmp_lt_u32_e64 s27, 0x37f, v0
	v_cmp_lt_u32_e64 s28, 0x39f, v0
	v_cmp_lt_u32_e64 s29, 0x3bf, v0
	v_cmp_lt_u32_e64 s30, 0x3df, v0
	v_or_b32_e32 v6, 0xfffffc00, v0
	s_mov_b32 s35, 0
	s_add_co_i32 s39, 0, 0x10000
	s_add_co_i32 s42, 0, 0x10004
	s_add_co_i32 s43, 0, 0x10008
	s_add_co_i32 s44, 0, 0x1000c
	s_add_co_i32 s45, 0, 0x10010
	s_add_co_i32 s46, 0, 0x10014
	s_add_co_i32 s47, 0, 0x10018
	s_add_co_i32 s48, 0, 0x1001c
	s_add_co_i32 s49, 0, 0x10020
	s_add_co_i32 s50, 0, 0x10024
	s_add_co_i32 s51, 0, 0x10028
	s_add_co_i32 s52, 0, 0x1002c
	s_add_co_i32 s53, 0, 0x10030
	s_add_co_i32 s54, 0, 0x10034
	s_add_co_i32 s55, 0, 0x10038
	s_add_co_i32 s56, 0, 0x1003c
	s_add_co_i32 s57, 0, 0x10040
	s_add_co_i32 s58, 0, 0x10044
	s_add_co_i32 s59, 0, 0x10048
	s_add_co_i32 s60, 0, 0x1004c
	s_add_co_i32 s61, 0, 0x10050
	s_add_co_i32 s62, 0, 0x10054
	s_add_co_i32 s63, 0, 0x10058
	s_add_co_i32 s64, 0, 0x1005c
	s_add_co_i32 s65, 0, 0x10060
	s_add_co_i32 s66, 0, 0x10064
	s_add_co_i32 s67, 0, 0x10068
	s_add_co_i32 s68, 0, 0x1006c
	s_add_co_i32 s69, 0, 0x10070
	s_add_co_i32 s70, 0, 0x10074
	s_add_co_i32 s71, 0, 0x10078
	s_add_co_i32 s72, 0, 0x1007c
	s_wait_dscnt 0x0
	s_barrier_signal -1
	s_barrier_wait -1
	v_cmp_eq_u32_e32 vcc_lo, 0x3ff, v0
	s_branch .LBB172_39
.LBB172_38:                             ;   in Loop: Header=BB172_39 Depth=1
	s_or_b32 exec_lo, exec_lo, s31
	v_mov_b32_e32 v4, s72
	s_wait_dscnt 0x0
	s_barrier_signal -1
	s_barrier_wait -1
	ds_load_b32 v4, v4
	v_add_nc_u32_e32 v6, 0x400, v6
	v_add_nc_u32_e32 v10, 0x1000, v10
	s_delay_alu instid0(VALU_DEP_2)
	v_cmp_lt_u32_e64 s31, 0x1bff, v6
	s_or_b32 s35, s31, s35
	s_wait_dscnt 0x0
	v_add_nc_u32_e32 v1, v4, v1
	s_and_not1_b32 exec_lo, exec_lo, s35
	s_cbranch_execz .LBB172_105
.LBB172_39:                             ; =>This Inner Loop Header: Depth=1
	ds_load_2addr_stride64_b32 v[4:5], v10 offset1:128
	s_wait_dscnt 0x0
	s_barrier_signal -1
	s_barrier_wait -1
	v_cmp_gt_i32_e64 s31, s33, v4
	s_bcnt1_i32_b32 s73, s31
	s_delay_alu instid0(SALU_CYCLE_1) | instskip(NEXT) | instid1(VALU_DEP_1)
	v_dual_mov_b32 v8, s73 :: v_dual_bitop2_b32 v7, s31, v2 bitop3:0x40
	v_bcnt_u32_b32 v7, v7, 0
	ds_store_b32 v3, v8
	s_wait_dscnt 0x0
	s_barrier_signal -1
	s_barrier_wait -1
	s_and_saveexec_b32 s73, s0
	s_cbranch_execz .LBB172_72
; %bb.40:                               ;   in Loop: Header=BB172_39 Depth=1
	v_mov_b32_e32 v8, s39
	ds_load_b32 v8, v8
	s_wait_dscnt 0x0
	v_add_nc_u32_e32 v7, v8, v7
	s_or_b32 exec_lo, exec_lo, s73
	s_and_saveexec_b32 s73, s1
	s_cbranch_execnz .LBB172_73
.LBB172_41:                             ;   in Loop: Header=BB172_39 Depth=1
	s_or_b32 exec_lo, exec_lo, s73
	s_and_saveexec_b32 s73, s2
	s_cbranch_execz .LBB172_74
.LBB172_42:                             ;   in Loop: Header=BB172_39 Depth=1
	v_mov_b32_e32 v8, s43
	ds_load_b32 v8, v8
	s_wait_dscnt 0x0
	v_add_nc_u32_e32 v7, v8, v7
	s_or_b32 exec_lo, exec_lo, s73
	s_and_saveexec_b32 s73, s3
	s_cbranch_execnz .LBB172_75
.LBB172_43:                             ;   in Loop: Header=BB172_39 Depth=1
	s_or_b32 exec_lo, exec_lo, s73
	s_and_saveexec_b32 s73, s4
	s_cbranch_execz .LBB172_76
.LBB172_44:                             ;   in Loop: Header=BB172_39 Depth=1
	v_mov_b32_e32 v8, s45
	ds_load_b32 v8, v8
	s_wait_dscnt 0x0
	v_add_nc_u32_e32 v7, v8, v7
	s_or_b32 exec_lo, exec_lo, s73
	s_and_saveexec_b32 s73, s5
	s_cbranch_execnz .LBB172_77
.LBB172_45:                             ;   in Loop: Header=BB172_39 Depth=1
	s_or_b32 exec_lo, exec_lo, s73
	s_and_saveexec_b32 s73, s6
	s_cbranch_execz .LBB172_78
.LBB172_46:                             ;   in Loop: Header=BB172_39 Depth=1
	v_mov_b32_e32 v8, s47
	ds_load_b32 v8, v8
	s_wait_dscnt 0x0
	v_add_nc_u32_e32 v7, v8, v7
	s_or_b32 exec_lo, exec_lo, s73
	s_and_saveexec_b32 s73, s7
	s_cbranch_execnz .LBB172_79
.LBB172_47:                             ;   in Loop: Header=BB172_39 Depth=1
	s_or_b32 exec_lo, exec_lo, s73
	s_and_saveexec_b32 s73, s8
	s_cbranch_execz .LBB172_80
.LBB172_48:                             ;   in Loop: Header=BB172_39 Depth=1
	v_mov_b32_e32 v8, s49
	ds_load_b32 v8, v8
	s_wait_dscnt 0x0
	v_add_nc_u32_e32 v7, v8, v7
	s_or_b32 exec_lo, exec_lo, s73
	s_and_saveexec_b32 s73, s9
	s_cbranch_execnz .LBB172_81
.LBB172_49:                             ;   in Loop: Header=BB172_39 Depth=1
	s_or_b32 exec_lo, exec_lo, s73
	s_and_saveexec_b32 s73, s10
	s_cbranch_execz .LBB172_82
.LBB172_50:                             ;   in Loop: Header=BB172_39 Depth=1
	v_mov_b32_e32 v8, s51
	ds_load_b32 v8, v8
	s_wait_dscnt 0x0
	v_add_nc_u32_e32 v7, v8, v7
	s_or_b32 exec_lo, exec_lo, s73
	s_and_saveexec_b32 s73, s11
	s_cbranch_execnz .LBB172_83
.LBB172_51:                             ;   in Loop: Header=BB172_39 Depth=1
	s_or_b32 exec_lo, exec_lo, s73
	s_and_saveexec_b32 s73, s12
	s_cbranch_execz .LBB172_84
.LBB172_52:                             ;   in Loop: Header=BB172_39 Depth=1
	v_mov_b32_e32 v8, s53
	ds_load_b32 v8, v8
	s_wait_dscnt 0x0
	v_add_nc_u32_e32 v7, v8, v7
	s_or_b32 exec_lo, exec_lo, s73
	s_and_saveexec_b32 s73, s13
	s_cbranch_execnz .LBB172_85
.LBB172_53:                             ;   in Loop: Header=BB172_39 Depth=1
	s_or_b32 exec_lo, exec_lo, s73
	s_and_saveexec_b32 s73, s14
	s_cbranch_execz .LBB172_86
.LBB172_54:                             ;   in Loop: Header=BB172_39 Depth=1
	v_mov_b32_e32 v8, s55
	ds_load_b32 v8, v8
	s_wait_dscnt 0x0
	v_add_nc_u32_e32 v7, v8, v7
	s_or_b32 exec_lo, exec_lo, s73
	s_and_saveexec_b32 s73, s15
	s_cbranch_execnz .LBB172_87
.LBB172_55:                             ;   in Loop: Header=BB172_39 Depth=1
	s_or_b32 exec_lo, exec_lo, s73
	s_and_saveexec_b32 s73, s16
	s_cbranch_execz .LBB172_88
.LBB172_56:                             ;   in Loop: Header=BB172_39 Depth=1
	v_mov_b32_e32 v8, s57
	ds_load_b32 v8, v8
	s_wait_dscnt 0x0
	v_add_nc_u32_e32 v7, v8, v7
	s_or_b32 exec_lo, exec_lo, s73
	s_and_saveexec_b32 s73, s17
	s_cbranch_execnz .LBB172_89
.LBB172_57:                             ;   in Loop: Header=BB172_39 Depth=1
	s_or_b32 exec_lo, exec_lo, s73
	s_and_saveexec_b32 s73, s18
	s_cbranch_execz .LBB172_90
.LBB172_58:                             ;   in Loop: Header=BB172_39 Depth=1
	v_mov_b32_e32 v8, s59
	ds_load_b32 v8, v8
	s_wait_dscnt 0x0
	v_add_nc_u32_e32 v7, v8, v7
	s_or_b32 exec_lo, exec_lo, s73
	s_and_saveexec_b32 s73, s19
	s_cbranch_execnz .LBB172_91
.LBB172_59:                             ;   in Loop: Header=BB172_39 Depth=1
	s_or_b32 exec_lo, exec_lo, s73
	s_and_saveexec_b32 s73, s20
	s_cbranch_execz .LBB172_92
.LBB172_60:                             ;   in Loop: Header=BB172_39 Depth=1
	v_mov_b32_e32 v8, s61
	ds_load_b32 v8, v8
	s_wait_dscnt 0x0
	v_add_nc_u32_e32 v7, v8, v7
	s_or_b32 exec_lo, exec_lo, s73
	s_and_saveexec_b32 s73, s21
	s_cbranch_execnz .LBB172_93
.LBB172_61:                             ;   in Loop: Header=BB172_39 Depth=1
	s_or_b32 exec_lo, exec_lo, s73
	s_and_saveexec_b32 s73, s22
	s_cbranch_execz .LBB172_94
.LBB172_62:                             ;   in Loop: Header=BB172_39 Depth=1
	v_mov_b32_e32 v8, s63
	ds_load_b32 v8, v8
	s_wait_dscnt 0x0
	v_add_nc_u32_e32 v7, v8, v7
	s_or_b32 exec_lo, exec_lo, s73
	s_and_saveexec_b32 s73, s23
	s_cbranch_execnz .LBB172_95
.LBB172_63:                             ;   in Loop: Header=BB172_39 Depth=1
	s_or_b32 exec_lo, exec_lo, s73
	s_and_saveexec_b32 s73, s24
	s_cbranch_execz .LBB172_96
.LBB172_64:                             ;   in Loop: Header=BB172_39 Depth=1
	v_mov_b32_e32 v8, s65
	ds_load_b32 v8, v8
	s_wait_dscnt 0x0
	v_add_nc_u32_e32 v7, v8, v7
	s_or_b32 exec_lo, exec_lo, s73
	s_and_saveexec_b32 s73, s25
	s_cbranch_execnz .LBB172_97
.LBB172_65:                             ;   in Loop: Header=BB172_39 Depth=1
	s_or_b32 exec_lo, exec_lo, s73
	s_and_saveexec_b32 s73, s26
	s_cbranch_execz .LBB172_98
.LBB172_66:                             ;   in Loop: Header=BB172_39 Depth=1
	v_mov_b32_e32 v8, s67
	ds_load_b32 v8, v8
	s_wait_dscnt 0x0
	v_add_nc_u32_e32 v7, v8, v7
	s_or_b32 exec_lo, exec_lo, s73
	s_and_saveexec_b32 s73, s27
	s_cbranch_execnz .LBB172_99
.LBB172_67:                             ;   in Loop: Header=BB172_39 Depth=1
	s_or_b32 exec_lo, exec_lo, s73
	s_and_saveexec_b32 s73, s28
	s_cbranch_execz .LBB172_100
.LBB172_68:                             ;   in Loop: Header=BB172_39 Depth=1
	v_mov_b32_e32 v8, s69
	ds_load_b32 v8, v8
	s_wait_dscnt 0x0
	v_add_nc_u32_e32 v7, v8, v7
	s_or_b32 exec_lo, exec_lo, s73
	s_and_saveexec_b32 s73, s29
	s_cbranch_execnz .LBB172_101
.LBB172_69:                             ;   in Loop: Header=BB172_39 Depth=1
	s_or_b32 exec_lo, exec_lo, s73
	s_and_saveexec_b32 s73, s30
	s_cbranch_execz .LBB172_102
.LBB172_70:                             ;   in Loop: Header=BB172_39 Depth=1
	v_mov_b32_e32 v8, s71
	ds_load_b32 v8, v8
	s_wait_dscnt 0x0
	v_add_nc_u32_e32 v7, v8, v7
	s_or_b32 exec_lo, exec_lo, s73
	s_and_saveexec_b32 s73, s31
	s_cbranch_execnz .LBB172_103
.LBB172_71:                             ;   in Loop: Header=BB172_39 Depth=1
	s_or_b32 exec_lo, exec_lo, s73
	s_and_saveexec_b32 s31, vcc_lo
	s_cbranch_execz .LBB172_38
	s_branch .LBB172_104
.LBB172_72:                             ;   in Loop: Header=BB172_39 Depth=1
	s_or_b32 exec_lo, exec_lo, s73
	s_and_saveexec_b32 s73, s1
	s_cbranch_execz .LBB172_41
.LBB172_73:                             ;   in Loop: Header=BB172_39 Depth=1
	v_mov_b32_e32 v8, s42
	ds_load_b32 v8, v8
	s_wait_dscnt 0x0
	v_add_nc_u32_e32 v7, v8, v7
	s_or_b32 exec_lo, exec_lo, s73
	s_and_saveexec_b32 s73, s2
	s_cbranch_execnz .LBB172_42
.LBB172_74:                             ;   in Loop: Header=BB172_39 Depth=1
	s_or_b32 exec_lo, exec_lo, s73
	s_and_saveexec_b32 s73, s3
	s_cbranch_execz .LBB172_43
.LBB172_75:                             ;   in Loop: Header=BB172_39 Depth=1
	v_mov_b32_e32 v8, s44
	ds_load_b32 v8, v8
	s_wait_dscnt 0x0
	v_add_nc_u32_e32 v7, v8, v7
	s_or_b32 exec_lo, exec_lo, s73
	s_and_saveexec_b32 s73, s4
	s_cbranch_execnz .LBB172_44
.LBB172_76:                             ;   in Loop: Header=BB172_39 Depth=1
	s_or_b32 exec_lo, exec_lo, s73
	s_and_saveexec_b32 s73, s5
	s_cbranch_execz .LBB172_45
.LBB172_77:                             ;   in Loop: Header=BB172_39 Depth=1
	v_mov_b32_e32 v8, s46
	ds_load_b32 v8, v8
	s_wait_dscnt 0x0
	v_add_nc_u32_e32 v7, v8, v7
	s_or_b32 exec_lo, exec_lo, s73
	s_and_saveexec_b32 s73, s6
	s_cbranch_execnz .LBB172_46
.LBB172_78:                             ;   in Loop: Header=BB172_39 Depth=1
	s_or_b32 exec_lo, exec_lo, s73
	s_and_saveexec_b32 s73, s7
	s_cbranch_execz .LBB172_47
.LBB172_79:                             ;   in Loop: Header=BB172_39 Depth=1
	v_mov_b32_e32 v8, s48
	ds_load_b32 v8, v8
	s_wait_dscnt 0x0
	v_add_nc_u32_e32 v7, v8, v7
	s_or_b32 exec_lo, exec_lo, s73
	s_and_saveexec_b32 s73, s8
	s_cbranch_execnz .LBB172_48
.LBB172_80:                             ;   in Loop: Header=BB172_39 Depth=1
	s_or_b32 exec_lo, exec_lo, s73
	s_and_saveexec_b32 s73, s9
	s_cbranch_execz .LBB172_49
.LBB172_81:                             ;   in Loop: Header=BB172_39 Depth=1
	v_mov_b32_e32 v8, s50
	ds_load_b32 v8, v8
	s_wait_dscnt 0x0
	v_add_nc_u32_e32 v7, v8, v7
	s_or_b32 exec_lo, exec_lo, s73
	s_and_saveexec_b32 s73, s10
	s_cbranch_execnz .LBB172_50
.LBB172_82:                             ;   in Loop: Header=BB172_39 Depth=1
	s_or_b32 exec_lo, exec_lo, s73
	s_and_saveexec_b32 s73, s11
	s_cbranch_execz .LBB172_51
.LBB172_83:                             ;   in Loop: Header=BB172_39 Depth=1
	v_mov_b32_e32 v8, s52
	ds_load_b32 v8, v8
	s_wait_dscnt 0x0
	v_add_nc_u32_e32 v7, v8, v7
	s_or_b32 exec_lo, exec_lo, s73
	s_and_saveexec_b32 s73, s12
	s_cbranch_execnz .LBB172_52
.LBB172_84:                             ;   in Loop: Header=BB172_39 Depth=1
	s_or_b32 exec_lo, exec_lo, s73
	s_and_saveexec_b32 s73, s13
	s_cbranch_execz .LBB172_53
.LBB172_85:                             ;   in Loop: Header=BB172_39 Depth=1
	v_mov_b32_e32 v8, s54
	ds_load_b32 v8, v8
	s_wait_dscnt 0x0
	v_add_nc_u32_e32 v7, v8, v7
	s_or_b32 exec_lo, exec_lo, s73
	s_and_saveexec_b32 s73, s14
	s_cbranch_execnz .LBB172_54
.LBB172_86:                             ;   in Loop: Header=BB172_39 Depth=1
	s_or_b32 exec_lo, exec_lo, s73
	s_and_saveexec_b32 s73, s15
	s_cbranch_execz .LBB172_55
.LBB172_87:                             ;   in Loop: Header=BB172_39 Depth=1
	v_mov_b32_e32 v8, s56
	ds_load_b32 v8, v8
	s_wait_dscnt 0x0
	v_add_nc_u32_e32 v7, v8, v7
	s_or_b32 exec_lo, exec_lo, s73
	s_and_saveexec_b32 s73, s16
	s_cbranch_execnz .LBB172_56
.LBB172_88:                             ;   in Loop: Header=BB172_39 Depth=1
	s_or_b32 exec_lo, exec_lo, s73
	s_and_saveexec_b32 s73, s17
	s_cbranch_execz .LBB172_57
.LBB172_89:                             ;   in Loop: Header=BB172_39 Depth=1
	v_mov_b32_e32 v8, s58
	ds_load_b32 v8, v8
	s_wait_dscnt 0x0
	v_add_nc_u32_e32 v7, v8, v7
	s_or_b32 exec_lo, exec_lo, s73
	s_and_saveexec_b32 s73, s18
	s_cbranch_execnz .LBB172_58
.LBB172_90:                             ;   in Loop: Header=BB172_39 Depth=1
	s_or_b32 exec_lo, exec_lo, s73
	s_and_saveexec_b32 s73, s19
	s_cbranch_execz .LBB172_59
.LBB172_91:                             ;   in Loop: Header=BB172_39 Depth=1
	v_mov_b32_e32 v8, s60
	ds_load_b32 v8, v8
	s_wait_dscnt 0x0
	v_add_nc_u32_e32 v7, v8, v7
	s_or_b32 exec_lo, exec_lo, s73
	s_and_saveexec_b32 s73, s20
	s_cbranch_execnz .LBB172_60
.LBB172_92:                             ;   in Loop: Header=BB172_39 Depth=1
	s_or_b32 exec_lo, exec_lo, s73
	s_and_saveexec_b32 s73, s21
	s_cbranch_execz .LBB172_61
.LBB172_93:                             ;   in Loop: Header=BB172_39 Depth=1
	v_mov_b32_e32 v8, s62
	ds_load_b32 v8, v8
	s_wait_dscnt 0x0
	v_add_nc_u32_e32 v7, v8, v7
	s_or_b32 exec_lo, exec_lo, s73
	s_and_saveexec_b32 s73, s22
	s_cbranch_execnz .LBB172_62
.LBB172_94:                             ;   in Loop: Header=BB172_39 Depth=1
	s_or_b32 exec_lo, exec_lo, s73
	s_and_saveexec_b32 s73, s23
	s_cbranch_execz .LBB172_63
.LBB172_95:                             ;   in Loop: Header=BB172_39 Depth=1
	v_mov_b32_e32 v8, s64
	ds_load_b32 v8, v8
	s_wait_dscnt 0x0
	v_add_nc_u32_e32 v7, v8, v7
	s_or_b32 exec_lo, exec_lo, s73
	s_and_saveexec_b32 s73, s24
	s_cbranch_execnz .LBB172_64
.LBB172_96:                             ;   in Loop: Header=BB172_39 Depth=1
	s_or_b32 exec_lo, exec_lo, s73
	s_and_saveexec_b32 s73, s25
	s_cbranch_execz .LBB172_65
.LBB172_97:                             ;   in Loop: Header=BB172_39 Depth=1
	v_mov_b32_e32 v8, s66
	ds_load_b32 v8, v8
	s_wait_dscnt 0x0
	v_add_nc_u32_e32 v7, v8, v7
	s_or_b32 exec_lo, exec_lo, s73
	s_and_saveexec_b32 s73, s26
	s_cbranch_execnz .LBB172_66
.LBB172_98:                             ;   in Loop: Header=BB172_39 Depth=1
	s_or_b32 exec_lo, exec_lo, s73
	s_and_saveexec_b32 s73, s27
	s_cbranch_execz .LBB172_67
.LBB172_99:                             ;   in Loop: Header=BB172_39 Depth=1
	v_mov_b32_e32 v8, s68
	ds_load_b32 v8, v8
	s_wait_dscnt 0x0
	v_add_nc_u32_e32 v7, v8, v7
	s_or_b32 exec_lo, exec_lo, s73
	s_and_saveexec_b32 s73, s28
	s_cbranch_execnz .LBB172_68
.LBB172_100:                            ;   in Loop: Header=BB172_39 Depth=1
	s_or_b32 exec_lo, exec_lo, s73
	s_and_saveexec_b32 s73, s29
	s_cbranch_execz .LBB172_69
.LBB172_101:                            ;   in Loop: Header=BB172_39 Depth=1
	v_mov_b32_e32 v8, s70
	ds_load_b32 v8, v8
	s_wait_dscnt 0x0
	v_add_nc_u32_e32 v7, v8, v7
	s_or_b32 exec_lo, exec_lo, s73
	s_and_saveexec_b32 s73, s30
	s_cbranch_execnz .LBB172_70
.LBB172_102:                            ;   in Loop: Header=BB172_39 Depth=1
	s_or_b32 exec_lo, exec_lo, s73
	s_and_saveexec_b32 s73, s31
	s_cbranch_execz .LBB172_71
.LBB172_103:                            ;   in Loop: Header=BB172_39 Depth=1
	s_delay_alu instid0(VALU_DEP_1) | instskip(SKIP_1) | instid1(VALU_DEP_2)
	v_add3_u32 v8, v1, -1, v7
	v_add_nc_u32_e32 v9, v1, v7
	v_lshl_add_u32 v8, v8, 2, 0
	s_delay_alu instid0(VALU_DEP_2)
	v_lshl_add_u32 v9, v9, 2, 0
	ds_store_b32 v8, v4
	ds_store_b32 v9, v5 offset:32764
	s_or_b32 exec_lo, exec_lo, s73
	s_and_saveexec_b32 s31, vcc_lo
	s_cbranch_execz .LBB172_38
.LBB172_104:                            ;   in Loop: Header=BB172_39 Depth=1
	v_mov_b32_e32 v4, s72
	ds_store_b32 v4, v7
	s_branch .LBB172_38
.LBB172_105:
	s_or_b32 exec_lo, exec_lo, s35
	s_wait_kmcnt 0x0
	s_ashr_i32 s35, s34, 31
	s_delay_alu instid0(SALU_CYCLE_1) | instskip(NEXT) | instid1(SALU_CYCLE_1)
	s_lshl_b64 s[0:1], s[34:35], 3
	s_add_nc_u64 s[4:5], s[40:41], s[0:1]
	s_load_b128 s[0:3], s[4:5], 0x0
	s_wait_xcnt 0x0
	s_mov_b32 s4, exec_lo
	s_wait_kmcnt 0x0
	s_sub_co_i32 s3, s2, s0
	s_delay_alu instid0(SALU_CYCLE_1)
	v_cmpx_gt_i32_e64 s3, v0
	s_cbranch_execz .LBB172_115
; %bb.106:
	s_sub_co_i32 s4, s0, s2
	s_and_b32 s2, s3, 7
	s_cmp_lt_u32 s4, -7
	s_mov_b32 s39, 0
	s_cselect_b32 s4, -1, 0
	s_and_b32 s5, s3, -8
	s_cmp_lg_u32 s2, 0
	s_sub_nc_u64 s[0:1], s[0:1], s[38:39]
	s_cselect_b32 s6, -1, 0
	s_mov_b32 s7, 0
	s_branch .LBB172_108
.LBB172_107:                            ;   in Loop: Header=BB172_108 Depth=1
	v_add_nc_u32_e32 v0, 0x400, v0
	s_delay_alu instid0(VALU_DEP_2) | instskip(NEXT) | instid1(VALU_DEP_2)
	v_lshl_add_u64 v[4:5], v[4:5], 2, s[36:37]
	v_cmp_le_i32_e32 vcc_lo, s3, v0
	s_wait_dscnt 0x0
	global_store_b32 v[4:5], v3, off
	s_or_b32 s7, vcc_lo, s7
	s_wait_xcnt 0x0
	s_and_not1_b32 exec_lo, exec_lo, s7
	s_cbranch_execz .LBB172_115
.LBB172_108:                            ; =>This Loop Header: Depth=1
                                        ;     Child Loop BB172_110 Depth 2
                                        ;     Child Loop BB172_114 Depth 2
	v_lshl_add_u32 v1, v0, 2, 0
	v_mov_b64_e32 v[4:5], s[0:1]
	s_and_not1_b32 vcc_lo, exec_lo, s4
	s_mov_b32 s8, 0
	ds_load_2addr_stride64_b32 v[2:3], v1 offset1:128
	s_cbranch_vccnz .LBB172_112
; %bb.109:                              ;   in Loop: Header=BB172_108 Depth=1
	v_mov_b64_e32 v[4:5], s[0:1]
	s_mov_b32 s9, 0
.LBB172_110:                            ;   Parent Loop BB172_108 Depth=1
                                        ; =>  This Inner Loop Header: Depth=2
	s_delay_alu instid0(SALU_CYCLE_1)
	v_dual_mov_b32 v1, s9 :: v_dual_mov_b32 v11, s39
	v_mov_b32_e32 v17, s39
	s_add_co_i32 s8, s8, 8
	s_add_co_i32 s9, s9, 32
	ds_load_2addr_b32 v[6:7], v1 offset1:1
	ds_load_2addr_b32 v[8:9], v1 offset0:2 offset1:3
	ds_load_2addr_b32 v[12:13], v1 offset0:4 offset1:5
	;; [unrolled: 1-line block ×3, first 2 shown]
	s_cmp_eq_u32 s5, s8
	s_wait_dscnt 0x3
	v_cmp_gt_i32_e32 vcc_lo, v2, v6
	v_cndmask_b32_e64 v10, 0, 1, vcc_lo
	v_cmp_gt_i32_e32 vcc_lo, v2, v7
	v_mov_b32_e32 v7, s39
	s_delay_alu instid0(VALU_DEP_3) | instskip(SKIP_4) | instid1(VALU_DEP_3)
	v_add_nc_u64_e32 v[4:5], v[4:5], v[10:11]
	v_cndmask_b32_e64 v16, 0, 1, vcc_lo
	s_wait_dscnt 0x2
	v_cmp_gt_i32_e32 vcc_lo, v2, v8
	v_cndmask_b32_e64 v6, 0, 1, vcc_lo
	v_add_nc_u64_e32 v[4:5], v[4:5], v[16:17]
	v_cmp_gt_i32_e32 vcc_lo, v2, v9
	v_mov_b32_e32 v9, s39
	v_cndmask_b32_e64 v10, 0, 1, vcc_lo
	s_delay_alu instid0(VALU_DEP_4) | instskip(SKIP_3) | instid1(VALU_DEP_3)
	v_add_nc_u64_e32 v[4:5], v[4:5], v[6:7]
	s_wait_dscnt 0x1
	v_cmp_gt_i32_e32 vcc_lo, v2, v12
	v_cndmask_b32_e64 v6, 0, 1, vcc_lo
	v_add_nc_u64_e32 v[4:5], v[4:5], v[10:11]
	v_cmp_gt_i32_e32 vcc_lo, v2, v13
	v_cndmask_b32_e64 v8, 0, 1, vcc_lo
	s_delay_alu instid0(VALU_DEP_3) | instskip(SKIP_3) | instid1(VALU_DEP_3)
	v_add_nc_u64_e32 v[4:5], v[4:5], v[6:7]
	s_wait_dscnt 0x0
	v_cmp_gt_i32_e32 vcc_lo, v2, v14
	v_cndmask_b32_e64 v6, 0, 1, vcc_lo
	v_add_nc_u64_e32 v[4:5], v[4:5], v[8:9]
	v_cmp_gt_i32_e32 vcc_lo, v2, v15
	v_cndmask_b32_e64 v8, 0, 1, vcc_lo
	s_delay_alu instid0(VALU_DEP_3) | instskip(NEXT) | instid1(VALU_DEP_1)
	v_add_nc_u64_e32 v[4:5], v[4:5], v[6:7]
	v_add_nc_u64_e32 v[4:5], v[4:5], v[8:9]
	s_cbranch_scc0 .LBB172_110
; %bb.111:                              ;   in Loop: Header=BB172_108 Depth=1
	s_mov_b32 s8, s5
.LBB172_112:                            ;   in Loop: Header=BB172_108 Depth=1
	s_and_not1_b32 vcc_lo, exec_lo, s6
	s_cbranch_vccnz .LBB172_107
; %bb.113:                              ;   in Loop: Header=BB172_108 Depth=1
	s_lshl_b32 s8, s8, 2
	s_mov_b32 s9, s2
	s_add_co_i32 s8, s8, 0
.LBB172_114:                            ;   Parent Loop BB172_108 Depth=1
                                        ; =>  This Inner Loop Header: Depth=2
	s_delay_alu instid0(SALU_CYCLE_1)
	v_dual_mov_b32 v1, s8 :: v_dual_mov_b32 v7, s39
	s_add_co_i32 s9, s9, -1
	s_add_co_i32 s8, s8, 4
	s_cmp_lg_u32 s9, 0
	ds_load_b32 v1, v1
	s_wait_dscnt 0x0
	v_cmp_gt_i32_e32 vcc_lo, v2, v1
	v_cndmask_b32_e64 v6, 0, 1, vcc_lo
	s_delay_alu instid0(VALU_DEP_1)
	v_add_nc_u64_e32 v[4:5], v[4:5], v[6:7]
	s_cbranch_scc1 .LBB172_114
	s_branch .LBB172_107
.LBB172_115:
	s_endpgm
	.section	.rodata,"a",@progbits
	.p2align	6, 0x0
	.amdhsa_kernel _ZN9rocsparseL41csrgemm_numeric_fill_block_per_row_kernelILj1024ELj64ELj8192ELj137ELj32ElifEEvT5_PKS1_S3_NS_24const_host_device_scalarIT6_EEPKT4_S3_PKS5_S9_S3_SB_S6_S9_S3_SB_S9_S3_PS5_21rocsparse_index_base_SD_SD_SD_bbb
		.amdhsa_group_segment_fixed_size 0
		.amdhsa_private_segment_fixed_size 0
		.amdhsa_kernarg_size 156
		.amdhsa_user_sgpr_count 2
		.amdhsa_user_sgpr_dispatch_ptr 0
		.amdhsa_user_sgpr_queue_ptr 0
		.amdhsa_user_sgpr_kernarg_segment_ptr 1
		.amdhsa_user_sgpr_dispatch_id 0
		.amdhsa_user_sgpr_kernarg_preload_length 0
		.amdhsa_user_sgpr_kernarg_preload_offset 0
		.amdhsa_user_sgpr_private_segment_size 0
		.amdhsa_wavefront_size32 1
		.amdhsa_uses_dynamic_stack 0
		.amdhsa_enable_private_segment 0
		.amdhsa_system_sgpr_workgroup_id_x 1
		.amdhsa_system_sgpr_workgroup_id_y 0
		.amdhsa_system_sgpr_workgroup_id_z 0
		.amdhsa_system_sgpr_workgroup_info 0
		.amdhsa_system_vgpr_workitem_id 0
		.amdhsa_next_free_vgpr 18
		.amdhsa_next_free_sgpr 74
		.amdhsa_named_barrier_count 0
		.amdhsa_reserve_vcc 1
		.amdhsa_float_round_mode_32 0
		.amdhsa_float_round_mode_16_64 0
		.amdhsa_float_denorm_mode_32 3
		.amdhsa_float_denorm_mode_16_64 3
		.amdhsa_fp16_overflow 0
		.amdhsa_memory_ordered 1
		.amdhsa_forward_progress 1
		.amdhsa_inst_pref_size 35
		.amdhsa_round_robin_scheduling 0
		.amdhsa_exception_fp_ieee_invalid_op 0
		.amdhsa_exception_fp_denorm_src 0
		.amdhsa_exception_fp_ieee_div_zero 0
		.amdhsa_exception_fp_ieee_overflow 0
		.amdhsa_exception_fp_ieee_underflow 0
		.amdhsa_exception_fp_ieee_inexact 0
		.amdhsa_exception_int_div_zero 0
	.end_amdhsa_kernel
	.section	.text._ZN9rocsparseL41csrgemm_numeric_fill_block_per_row_kernelILj1024ELj64ELj8192ELj137ELj32ElifEEvT5_PKS1_S3_NS_24const_host_device_scalarIT6_EEPKT4_S3_PKS5_S9_S3_SB_S6_S9_S3_SB_S9_S3_PS5_21rocsparse_index_base_SD_SD_SD_bbb,"axG",@progbits,_ZN9rocsparseL41csrgemm_numeric_fill_block_per_row_kernelILj1024ELj64ELj8192ELj137ELj32ElifEEvT5_PKS1_S3_NS_24const_host_device_scalarIT6_EEPKT4_S3_PKS5_S9_S3_SB_S6_S9_S3_SB_S9_S3_PS5_21rocsparse_index_base_SD_SD_SD_bbb,comdat
.Lfunc_end172:
	.size	_ZN9rocsparseL41csrgemm_numeric_fill_block_per_row_kernelILj1024ELj64ELj8192ELj137ELj32ElifEEvT5_PKS1_S3_NS_24const_host_device_scalarIT6_EEPKT4_S3_PKS5_S9_S3_SB_S6_S9_S3_SB_S9_S3_PS5_21rocsparse_index_base_SD_SD_SD_bbb, .Lfunc_end172-_ZN9rocsparseL41csrgemm_numeric_fill_block_per_row_kernelILj1024ELj64ELj8192ELj137ELj32ElifEEvT5_PKS1_S3_NS_24const_host_device_scalarIT6_EEPKT4_S3_PKS5_S9_S3_SB_S6_S9_S3_SB_S9_S3_PS5_21rocsparse_index_base_SD_SD_SD_bbb
                                        ; -- End function
	.set _ZN9rocsparseL41csrgemm_numeric_fill_block_per_row_kernelILj1024ELj64ELj8192ELj137ELj32ElifEEvT5_PKS1_S3_NS_24const_host_device_scalarIT6_EEPKT4_S3_PKS5_S9_S3_SB_S6_S9_S3_SB_S9_S3_PS5_21rocsparse_index_base_SD_SD_SD_bbb.num_vgpr, 18
	.set _ZN9rocsparseL41csrgemm_numeric_fill_block_per_row_kernelILj1024ELj64ELj8192ELj137ELj32ElifEEvT5_PKS1_S3_NS_24const_host_device_scalarIT6_EEPKT4_S3_PKS5_S9_S3_SB_S6_S9_S3_SB_S9_S3_PS5_21rocsparse_index_base_SD_SD_SD_bbb.num_agpr, 0
	.set _ZN9rocsparseL41csrgemm_numeric_fill_block_per_row_kernelILj1024ELj64ELj8192ELj137ELj32ElifEEvT5_PKS1_S3_NS_24const_host_device_scalarIT6_EEPKT4_S3_PKS5_S9_S3_SB_S6_S9_S3_SB_S9_S3_PS5_21rocsparse_index_base_SD_SD_SD_bbb.numbered_sgpr, 74
	.set _ZN9rocsparseL41csrgemm_numeric_fill_block_per_row_kernelILj1024ELj64ELj8192ELj137ELj32ElifEEvT5_PKS1_S3_NS_24const_host_device_scalarIT6_EEPKT4_S3_PKS5_S9_S3_SB_S6_S9_S3_SB_S9_S3_PS5_21rocsparse_index_base_SD_SD_SD_bbb.num_named_barrier, 0
	.set _ZN9rocsparseL41csrgemm_numeric_fill_block_per_row_kernelILj1024ELj64ELj8192ELj137ELj32ElifEEvT5_PKS1_S3_NS_24const_host_device_scalarIT6_EEPKT4_S3_PKS5_S9_S3_SB_S6_S9_S3_SB_S9_S3_PS5_21rocsparse_index_base_SD_SD_SD_bbb.private_seg_size, 0
	.set _ZN9rocsparseL41csrgemm_numeric_fill_block_per_row_kernelILj1024ELj64ELj8192ELj137ELj32ElifEEvT5_PKS1_S3_NS_24const_host_device_scalarIT6_EEPKT4_S3_PKS5_S9_S3_SB_S6_S9_S3_SB_S9_S3_PS5_21rocsparse_index_base_SD_SD_SD_bbb.uses_vcc, 1
	.set _ZN9rocsparseL41csrgemm_numeric_fill_block_per_row_kernelILj1024ELj64ELj8192ELj137ELj32ElifEEvT5_PKS1_S3_NS_24const_host_device_scalarIT6_EEPKT4_S3_PKS5_S9_S3_SB_S6_S9_S3_SB_S9_S3_PS5_21rocsparse_index_base_SD_SD_SD_bbb.uses_flat_scratch, 0
	.set _ZN9rocsparseL41csrgemm_numeric_fill_block_per_row_kernelILj1024ELj64ELj8192ELj137ELj32ElifEEvT5_PKS1_S3_NS_24const_host_device_scalarIT6_EEPKT4_S3_PKS5_S9_S3_SB_S6_S9_S3_SB_S9_S3_PS5_21rocsparse_index_base_SD_SD_SD_bbb.has_dyn_sized_stack, 0
	.set _ZN9rocsparseL41csrgemm_numeric_fill_block_per_row_kernelILj1024ELj64ELj8192ELj137ELj32ElifEEvT5_PKS1_S3_NS_24const_host_device_scalarIT6_EEPKT4_S3_PKS5_S9_S3_SB_S6_S9_S3_SB_S9_S3_PS5_21rocsparse_index_base_SD_SD_SD_bbb.has_recursion, 0
	.set _ZN9rocsparseL41csrgemm_numeric_fill_block_per_row_kernelILj1024ELj64ELj8192ELj137ELj32ElifEEvT5_PKS1_S3_NS_24const_host_device_scalarIT6_EEPKT4_S3_PKS5_S9_S3_SB_S6_S9_S3_SB_S9_S3_PS5_21rocsparse_index_base_SD_SD_SD_bbb.has_indirect_call, 0
	.section	.AMDGPU.csdata,"",@progbits
; Kernel info:
; codeLenInByte = 4424
; TotalNumSgprs: 76
; NumVgprs: 18
; ScratchSize: 0
; MemoryBound: 0
; FloatMode: 240
; IeeeMode: 1
; LDSByteSize: 0 bytes/workgroup (compile time only)
; SGPRBlocks: 0
; VGPRBlocks: 1
; NumSGPRsForWavesPerEU: 76
; NumVGPRsForWavesPerEU: 18
; NamedBarCnt: 0
; Occupancy: 16
; WaveLimiterHint : 1
; COMPUTE_PGM_RSRC2:SCRATCH_EN: 0
; COMPUTE_PGM_RSRC2:USER_SGPR: 2
; COMPUTE_PGM_RSRC2:TRAP_HANDLER: 0
; COMPUTE_PGM_RSRC2:TGID_X_EN: 1
; COMPUTE_PGM_RSRC2:TGID_Y_EN: 0
; COMPUTE_PGM_RSRC2:TGID_Z_EN: 0
; COMPUTE_PGM_RSRC2:TIDIG_COMP_CNT: 0
	.section	.text._ZN9rocsparseL41csrgemm_numeric_fill_block_per_row_kernelILj1024ELj64ELj8192ELj137ELj64ElifEEvT5_PKS1_S3_NS_24const_host_device_scalarIT6_EEPKT4_S3_PKS5_S9_S3_SB_S6_S9_S3_SB_S9_S3_PS5_21rocsparse_index_base_SD_SD_SD_bbb,"axG",@progbits,_ZN9rocsparseL41csrgemm_numeric_fill_block_per_row_kernelILj1024ELj64ELj8192ELj137ELj64ElifEEvT5_PKS1_S3_NS_24const_host_device_scalarIT6_EEPKT4_S3_PKS5_S9_S3_SB_S6_S9_S3_SB_S9_S3_PS5_21rocsparse_index_base_SD_SD_SD_bbb,comdat
	.globl	_ZN9rocsparseL41csrgemm_numeric_fill_block_per_row_kernelILj1024ELj64ELj8192ELj137ELj64ElifEEvT5_PKS1_S3_NS_24const_host_device_scalarIT6_EEPKT4_S3_PKS5_S9_S3_SB_S6_S9_S3_SB_S9_S3_PS5_21rocsparse_index_base_SD_SD_SD_bbb ; -- Begin function _ZN9rocsparseL41csrgemm_numeric_fill_block_per_row_kernelILj1024ELj64ELj8192ELj137ELj64ElifEEvT5_PKS1_S3_NS_24const_host_device_scalarIT6_EEPKT4_S3_PKS5_S9_S3_SB_S6_S9_S3_SB_S9_S3_PS5_21rocsparse_index_base_SD_SD_SD_bbb
	.p2align	8
	.type	_ZN9rocsparseL41csrgemm_numeric_fill_block_per_row_kernelILj1024ELj64ELj8192ELj137ELj64ElifEEvT5_PKS1_S3_NS_24const_host_device_scalarIT6_EEPKT4_S3_PKS5_S9_S3_SB_S6_S9_S3_SB_S9_S3_PS5_21rocsparse_index_base_SD_SD_SD_bbb,@function
_ZN9rocsparseL41csrgemm_numeric_fill_block_per_row_kernelILj1024ELj64ELj8192ELj137ELj64ElifEEvT5_PKS1_S3_NS_24const_host_device_scalarIT6_EEPKT4_S3_PKS5_S9_S3_SB_S6_S9_S3_SB_S9_S3_PS5_21rocsparse_index_base_SD_SD_SD_bbb: ; @_ZN9rocsparseL41csrgemm_numeric_fill_block_per_row_kernelILj1024ELj64ELj8192ELj137ELj64ElifEEvT5_PKS1_S3_NS_24const_host_device_scalarIT6_EEPKT4_S3_PKS5_S9_S3_SB_S6_S9_S3_SB_S9_S3_PS5_21rocsparse_index_base_SD_SD_SD_bbb
; %bb.0:
	s_clause 0x4
	s_load_b32 s11, s[0:1], 0x98
	s_load_b64 s[8:9], s[0:1], 0x18
	s_load_b128 s[4:7], s[0:1], 0x8
	s_load_b128 s[16:19], s[0:1], 0x88
	s_load_b64 s[2:3], s[0:1], 0x50
	s_wait_kmcnt 0x0
	s_and_b32 s10, 1, s11
	s_bitcmp1_b32 s11, 16
	s_cselect_b32 s12, -1, 0
	s_cmp_eq_u32 s10, 1
	s_cselect_b32 s10, -1, 0
	s_delay_alu instid0(SALU_CYCLE_1) | instskip(SKIP_2) | instid1(SALU_CYCLE_1)
	s_and_b32 s13, s10, exec_lo
	s_cselect_b32 s23, s8, 0
	s_xor_b32 s13, s10, -1
	s_or_b32 s13, s12, s13
	s_delay_alu instid0(SALU_CYCLE_1)
	s_and_b32 vcc_lo, exec_lo, s13
	s_cbranch_vccnz .LBB173_2
; %bb.1:
	s_load_b32 s23, s[8:9], 0x0
.LBB173_2:
	s_bitcmp1_b32 s11, 8
	s_cselect_b32 s25, -1, 0
	s_wait_xcnt 0x0
	s_and_b32 s8, s25, exec_lo
	s_cselect_b32 s22, s2, 0
	s_xor_b32 s8, s25, -1
	s_delay_alu instid0(SALU_CYCLE_1) | instskip(NEXT) | instid1(SALU_CYCLE_1)
	s_or_b32 s8, s12, s8
	s_and_b32 vcc_lo, exec_lo, s8
	s_cbranch_vccnz .LBB173_4
; %bb.3:
	s_load_b32 s22, s[2:3], 0x0
.LBB173_4:
	s_load_b32 s24, s[0:1], 0x0
	v_lshl_add_u32 v12, v0, 2, 0
	v_mov_b32_e32 v3, 0
	s_wait_xcnt 0x0
	s_bfe_u32 s3, ttmp6, 0x4000c
	s_delay_alu instid0(SALU_CYCLE_1) | instskip(NEXT) | instid1(SALU_CYCLE_1)
	s_add_co_i32 s3, s3, 1
	s_mul_i32 s3, ttmp9, s3
	s_wait_kmcnt 0x0
	v_dual_mov_b32 v1, s24 :: v_dual_mov_b32 v2, s24
	v_dual_mov_b32 v4, s24 :: v_dual_mov_b32 v5, s24
	;; [unrolled: 1-line block ×4, first 2 shown]
	ds_store_2addr_stride64_b32 v12, v3, v3 offset0:128 offset1:144
	ds_store_2addr_stride64_b32 v12, v3, v3 offset0:160 offset1:176
	;; [unrolled: 1-line block ×4, first 2 shown]
	ds_store_2addr_stride64_b32 v12, v1, v2 offset1:16
	ds_store_2addr_stride64_b32 v12, v4, v5 offset0:32 offset1:48
	ds_store_2addr_stride64_b32 v12, v6, v7 offset0:64 offset1:80
	;; [unrolled: 1-line block ×3, first 2 shown]
	s_wait_dscnt 0x0
	s_barrier_signal -1
	s_barrier_wait -1
	s_load_b32 s2, s[4:5], 0x0
	s_wait_xcnt 0x0
	s_and_b32 s4, ttmp6, 15
	s_getreg_b32 s5, hwreg(HW_REG_IB_STS2, 6, 4)
	s_add_co_i32 s4, s4, s3
	s_cmp_eq_u32 s5, 0
	v_lshrrev_b32_e32 v2, 6, v0
	s_cselect_b32 s3, ttmp9, s4
	s_and_not1_b32 vcc_lo, exec_lo, s10
	s_wait_kmcnt 0x0
	s_add_co_i32 s2, s2, s3
	s_mov_b32 s3, 0
	s_load_b32 s20, s[6:7], s2 offset:0x0 scale_offset
	s_cbranch_vccnz .LBB173_22
; %bb.5:
	s_load_b64 s[4:5], s[0:1], 0x20
	s_wait_kmcnt 0x0
	s_ashr_i32 s21, s20, 31
	s_mov_b32 s2, s16
	s_lshl_b64 s[6:7], s[20:21], 3
	v_sub_nc_u64_e64 v[4:5], v[2:3], s[2:3]
	s_mov_b32 s21, exec_lo
	s_add_nc_u64 s[8:9], s[4:5], s[6:7]
	s_load_b128 s[4:7], s[8:9], 0x0
	s_wait_kmcnt 0x0
	s_delay_alu instid0(VALU_DEP_1)
	v_add_nc_u64_e32 v[4:5], s[4:5], v[4:5]
	s_sub_nc_u64 s[2:3], s[6:7], s[2:3]
	s_delay_alu instid0(VALU_DEP_1) | instid1(SALU_CYCLE_1)
	v_cmpx_gt_i64_e64 s[2:3], v[4:5]
	s_cbranch_execz .LBB173_21
; %bb.6:
	s_clause 0x1
	s_load_b64 s[12:13], s[0:1], 0x48
	s_load_b256 s[4:11], s[0:1], 0x28
	v_dual_mov_b32 v7, v3 :: v_dual_bitop2_b32 v6, 63, v0 bitop3:0x40
	s_mov_b32 s15, 0
	s_mov_b32 s14, s17
	;; [unrolled: 1-line block ×3, first 2 shown]
	s_delay_alu instid0(VALU_DEP_1)
	v_sub_nc_u64_e64 v[6:7], v[6:7], s[14:15]
	s_branch .LBB173_8
.LBB173_7:                              ;   in Loop: Header=BB173_8 Depth=1
	s_or_b32 exec_lo, exec_lo, s27
	v_add_nc_u64_e32 v[4:5], 16, v[4:5]
	s_delay_alu instid0(VALU_DEP_1) | instskip(SKIP_1) | instid1(SALU_CYCLE_1)
	v_cmp_le_i64_e32 vcc_lo, s[2:3], v[4:5]
	s_or_b32 s26, vcc_lo, s26
	s_and_not1_b32 exec_lo, exec_lo, s26
	s_cbranch_execz .LBB173_21
.LBB173_8:                              ; =>This Loop Header: Depth=1
                                        ;     Child Loop BB173_12 Depth 2
                                        ;       Child Loop BB173_15 Depth 3
	s_wait_kmcnt 0x0
	v_lshl_add_u64 v[8:9], v[4:5], 2, s[4:5]
	s_mov_b32 s27, exec_lo
	global_load_b32 v1, v[8:9], off
	s_wait_loadcnt 0x0
	s_wait_xcnt 0x0
	v_subrev_nc_u32_e32 v8, s16, v1
	s_delay_alu instid0(VALU_DEP_1) | instskip(NEXT) | instid1(VALU_DEP_1)
	v_ashrrev_i32_e32 v9, 31, v8
	v_lshl_add_u64 v[8:9], v[8:9], 3, s[8:9]
	global_load_b128 v[14:17], v[8:9], off
	s_wait_loadcnt 0x0
	s_wait_xcnt 0x0
	v_sub_nc_u64_e64 v[8:9], v[16:17], s[14:15]
	v_add_nc_u64_e32 v[10:11], v[14:15], v[6:7]
	s_delay_alu instid0(VALU_DEP_1)
	v_cmpx_lt_i64_e64 v[10:11], v[8:9]
	s_cbranch_execz .LBB173_7
; %bb.9:                                ;   in Loop: Header=BB173_8 Depth=1
	v_lshl_add_u64 v[14:15], v[4:5], 2, s[6:7]
	s_mov_b32 s28, 0
	global_load_b32 v1, v[14:15], off
	s_wait_loadcnt 0x0
	v_mul_f32_e32 v1, s23, v1
	s_branch .LBB173_12
.LBB173_10:                             ;   in Loop: Header=BB173_12 Depth=2
	s_or_b32 exec_lo, exec_lo, s30
.LBB173_11:                             ;   in Loop: Header=BB173_12 Depth=2
	s_delay_alu instid0(SALU_CYCLE_1)
	s_or_b32 exec_lo, exec_lo, s29
	s_wait_loadcnt 0x0
	v_mul_f32_e32 v3, v1, v3
	v_lshl_add_u32 v13, v13, 2, 0
	v_add_nc_u64_e32 v[10:11], 64, v[10:11]
	ds_add_f32 v13, v3 offset:32768
	v_cmp_ge_i64_e32 vcc_lo, v[10:11], v[8:9]
	s_or_b32 s28, vcc_lo, s28
	s_delay_alu instid0(SALU_CYCLE_1)
	s_and_not1_b32 exec_lo, exec_lo, s28
	s_cbranch_execz .LBB173_7
.LBB173_12:                             ;   Parent Loop BB173_8 Depth=1
                                        ; =>  This Loop Header: Depth=2
                                        ;       Child Loop BB173_15 Depth 3
	s_wait_xcnt 0x0
	v_lshlrev_b64_e32 v[14:15], 2, v[10:11]
	s_mov_b32 s29, exec_lo
	s_delay_alu instid0(VALU_DEP_1)
	v_add_nc_u64_e32 v[16:17], s[10:11], v[14:15]
	v_add_nc_u64_e32 v[14:15], s[12:13], v[14:15]
	global_load_b32 v13, v[16:17], off
	global_load_b32 v3, v[14:15], off
	s_wait_loadcnt 0x1
	s_wait_xcnt 0x0
	v_subrev_nc_u32_e32 v14, s17, v13
	s_delay_alu instid0(VALU_DEP_1) | instskip(NEXT) | instid1(VALU_DEP_1)
	v_mul_lo_u32 v13, 0x89, v14
	v_and_b32_e32 v13, 0x1fff, v13
	s_delay_alu instid0(VALU_DEP_1)
	v_lshl_add_u32 v15, v13, 2, 0
	ds_load_b32 v16, v15
	s_wait_dscnt 0x0
	v_cmpx_ne_u32_e64 v16, v14
	s_cbranch_execz .LBB173_11
; %bb.13:                               ;   in Loop: Header=BB173_12 Depth=2
	s_mov_b32 s30, 0
	s_branch .LBB173_15
.LBB173_14:                             ;   in Loop: Header=BB173_15 Depth=3
	s_or_b32 exec_lo, exec_lo, s34
	s_delay_alu instid0(SALU_CYCLE_1) | instskip(NEXT) | instid1(SALU_CYCLE_1)
	s_and_b32 s31, exec_lo, s33
	s_or_b32 s30, s31, s30
	s_delay_alu instid0(SALU_CYCLE_1)
	s_and_not1_b32 exec_lo, exec_lo, s30
	s_cbranch_execz .LBB173_10
.LBB173_15:                             ;   Parent Loop BB173_8 Depth=1
                                        ;     Parent Loop BB173_12 Depth=2
                                        ; =>    This Inner Loop Header: Depth=3
	s_mov_b32 s31, 0
	s_mov_b32 s33, exec_lo
	v_cmpx_ne_u32_e64 s24, v16
	s_xor_b32 s33, exec_lo, s33
	s_cbranch_execz .LBB173_17
; %bb.16:                               ;   in Loop: Header=BB173_15 Depth=3
	v_add_nc_u32_e32 v13, 1, v13
	s_mov_b32 s31, exec_lo
                                        ; implicit-def: $vgpr15
	s_delay_alu instid0(VALU_DEP_1)
	v_and_b32_e32 v13, 0x1fff, v13
	s_and_not1_saveexec_b32 s33, s33
	s_cbranch_execz .LBB173_19
	s_branch .LBB173_18
.LBB173_17:                             ;   in Loop: Header=BB173_15 Depth=3
	s_and_not1_saveexec_b32 s33, s33
	s_cbranch_execz .LBB173_19
.LBB173_18:                             ;   in Loop: Header=BB173_15 Depth=3
	v_mov_b32_e32 v16, s24
	s_and_not1_b32 s31, s31, exec_lo
	ds_cmpstore_rtn_b32 v15, v15, v14, v16
	s_wait_dscnt 0x0
	v_cmp_ne_u32_e32 vcc_lo, s24, v15
	s_and_b32 s34, vcc_lo, exec_lo
	s_delay_alu instid0(SALU_CYCLE_1)
	s_or_b32 s31, s31, s34
.LBB173_19:                             ;   in Loop: Header=BB173_15 Depth=3
	s_or_b32 exec_lo, exec_lo, s33
	s_mov_b32 s33, -1
                                        ; implicit-def: $vgpr15
                                        ; implicit-def: $vgpr16
	s_and_saveexec_b32 s34, s31
	s_cbranch_execz .LBB173_14
; %bb.20:                               ;   in Loop: Header=BB173_15 Depth=3
	v_lshl_add_u32 v15, v13, 2, 0
	ds_load_b32 v16, v15
	s_wait_dscnt 0x0
	v_cmp_eq_u32_e32 vcc_lo, v16, v14
	s_or_not1_b32 s33, vcc_lo, exec_lo
	s_branch .LBB173_14
.LBB173_21:
	s_or_b32 exec_lo, exec_lo, s21
.LBB173_22:
	s_delay_alu instid0(SALU_CYCLE_1)
	s_and_not1_b32 vcc_lo, exec_lo, s25
	s_cbranch_vccnz .LBB173_37
; %bb.23:
	s_wait_xcnt 0x0
	s_load_b64 s[2:3], s[0:1], 0x58
	s_wait_kmcnt 0x0
	s_ashr_i32 s21, s20, 31
	v_mov_b32_e32 v1, 0
	s_lshl_b64 s[4:5], s[20:21], 3
	s_delay_alu instid0(SALU_CYCLE_1) | instskip(SKIP_4) | instid1(SALU_CYCLE_1)
	s_add_nc_u64 s[2:3], s[2:3], s[4:5]
	s_load_b128 s[4:7], s[2:3], 0x0
	s_wait_xcnt 0x0
	s_mov_b32 s3, 0
	s_mov_b32 s2, s19
	v_sub_nc_u64_e64 v[4:5], v[0:1], s[2:3]
	s_wait_kmcnt 0x0
	s_delay_alu instid0(VALU_DEP_1) | instskip(SKIP_2) | instid1(VALU_DEP_1)
	v_add_nc_u64_e32 v[4:5], s[4:5], v[4:5]
	s_sub_nc_u64 s[8:9], s[6:7], s[2:3]
	s_mov_b32 s2, exec_lo
	v_cmpx_gt_i64_e64 s[8:9], v[4:5]
	s_cbranch_execz .LBB173_36
; %bb.24:
	s_load_b128 s[4:7], s[0:1], 0x60
	s_branch .LBB173_27
.LBB173_25:                             ;   in Loop: Header=BB173_27 Depth=1
	s_or_b32 exec_lo, exec_lo, s11
.LBB173_26:                             ;   in Loop: Header=BB173_27 Depth=1
	s_delay_alu instid0(SALU_CYCLE_1)
	s_or_b32 exec_lo, exec_lo, s10
	s_wait_loadcnt 0x0
	v_mul_f32_e32 v1, s22, v1
	v_lshl_add_u32 v3, v3, 2, 0
	v_add_nc_u64_e32 v[4:5], 0x400, v[4:5]
	ds_add_f32 v3, v1 offset:32768
	v_cmp_le_i64_e32 vcc_lo, s[8:9], v[4:5]
	s_or_b32 s3, vcc_lo, s3
	s_delay_alu instid0(SALU_CYCLE_1)
	s_and_not1_b32 exec_lo, exec_lo, s3
	s_cbranch_execz .LBB173_36
.LBB173_27:                             ; =>This Loop Header: Depth=1
                                        ;     Child Loop BB173_30 Depth 2
	v_lshlrev_b64_e32 v[6:7], 2, v[4:5]
	s_mov_b32 s10, exec_lo
	s_wait_kmcnt 0x0
	s_delay_alu instid0(VALU_DEP_1)
	v_add_nc_u64_e32 v[8:9], s[4:5], v[6:7]
	v_add_nc_u64_e32 v[6:7], s[6:7], v[6:7]
	global_load_b32 v3, v[8:9], off
	global_load_b32 v1, v[6:7], off
	s_wait_loadcnt 0x1
	s_wait_xcnt 0x0
	v_subrev_nc_u32_e32 v6, s19, v3
	s_delay_alu instid0(VALU_DEP_1) | instskip(NEXT) | instid1(VALU_DEP_1)
	v_mul_lo_u32 v3, 0x89, v6
	v_and_b32_e32 v3, 0x1fff, v3
	s_delay_alu instid0(VALU_DEP_1)
	v_lshl_add_u32 v7, v3, 2, 0
	ds_load_b32 v8, v7
	s_wait_dscnt 0x0
	v_cmpx_ne_u32_e64 v8, v6
	s_cbranch_execz .LBB173_26
; %bb.28:                               ;   in Loop: Header=BB173_27 Depth=1
	s_mov_b32 s11, 0
	s_branch .LBB173_30
.LBB173_29:                             ;   in Loop: Header=BB173_30 Depth=2
	s_or_b32 exec_lo, exec_lo, s14
	s_delay_alu instid0(SALU_CYCLE_1) | instskip(NEXT) | instid1(SALU_CYCLE_1)
	s_and_b32 s12, exec_lo, s13
	s_or_b32 s11, s12, s11
	s_delay_alu instid0(SALU_CYCLE_1)
	s_and_not1_b32 exec_lo, exec_lo, s11
	s_cbranch_execz .LBB173_25
.LBB173_30:                             ;   Parent Loop BB173_27 Depth=1
                                        ; =>  This Inner Loop Header: Depth=2
	s_mov_b32 s12, 0
	s_mov_b32 s13, exec_lo
	v_cmpx_ne_u32_e64 s24, v8
	s_xor_b32 s13, exec_lo, s13
	s_cbranch_execz .LBB173_32
; %bb.31:                               ;   in Loop: Header=BB173_30 Depth=2
	v_add_nc_u32_e32 v3, 1, v3
	s_mov_b32 s12, exec_lo
                                        ; implicit-def: $vgpr7
	s_delay_alu instid0(VALU_DEP_1)
	v_and_b32_e32 v3, 0x1fff, v3
	s_and_not1_saveexec_b32 s13, s13
	s_cbranch_execz .LBB173_34
	s_branch .LBB173_33
.LBB173_32:                             ;   in Loop: Header=BB173_30 Depth=2
	s_and_not1_saveexec_b32 s13, s13
	s_cbranch_execz .LBB173_34
.LBB173_33:                             ;   in Loop: Header=BB173_30 Depth=2
	v_mov_b32_e32 v8, s24
	s_and_not1_b32 s12, s12, exec_lo
	ds_cmpstore_rtn_b32 v7, v7, v6, v8
	s_wait_dscnt 0x0
	v_cmp_ne_u32_e32 vcc_lo, s24, v7
	s_and_b32 s14, vcc_lo, exec_lo
	s_delay_alu instid0(SALU_CYCLE_1)
	s_or_b32 s12, s12, s14
.LBB173_34:                             ;   in Loop: Header=BB173_30 Depth=2
	s_or_b32 exec_lo, exec_lo, s13
	s_mov_b32 s13, -1
                                        ; implicit-def: $vgpr7
                                        ; implicit-def: $vgpr8
	s_and_saveexec_b32 s14, s12
	s_cbranch_execz .LBB173_29
; %bb.35:                               ;   in Loop: Header=BB173_30 Depth=2
	v_lshl_add_u32 v7, v3, 2, 0
	ds_load_b32 v8, v7
	s_wait_dscnt 0x0
	v_cmp_eq_u32_e32 vcc_lo, v8, v6
	s_or_not1_b32 s13, vcc_lo, exec_lo
	s_branch .LBB173_29
.LBB173_36:
	s_or_b32 exec_lo, exec_lo, s2
.LBB173_37:
	s_clause 0x1
	s_load_b64 s[16:17], s[0:1], 0x80
	s_load_b64 s[22:23], s[0:1], 0x70
	v_mbcnt_lo_u32_b32 v1, -1, 0
	s_add_co_i32 s36, 0, 0x1003c
	s_wait_xcnt 0x0
	v_cmp_lt_u32_e64 s0, 63, v0
	v_cmp_lt_u32_e64 s1, 0x7f, v0
	v_dual_lshlrev_b32 v4, 2, v2 :: v_dual_bitop2_b32 v3, 31, v1 bitop3:0x14
	v_dual_mov_b32 v1, 0 :: v_dual_mov_b32 v7, s36
	v_cmp_lt_u32_e64 s2, 0xbf, v0
	v_cmp_lt_u32_e64 s3, 0xff, v0
	s_delay_alu instid0(VALU_DEP_4)
	v_lshrrev_b32_e64 v2, v3, -1
	v_add3_u32 v3, 0x10000, 0, v4
	v_cmp_lt_u32_e64 s4, 0x13f, v0
	v_cmp_lt_u32_e64 s5, 0x17f, v0
	;; [unrolled: 1-line block ×11, first 2 shown]
	v_or_b32_e32 v6, 0xfffffc00, v0
	s_mov_b32 s19, 0
	s_add_co_i32 s21, 0, 0x10000
	s_add_co_i32 s25, 0, 0x10004
	s_add_co_i32 s26, 0, 0x10008
	s_add_co_i32 s27, 0, 0x1000c
	s_add_co_i32 s28, 0, 0x10010
	s_add_co_i32 s29, 0, 0x10014
	s_add_co_i32 s30, 0, 0x10018
	s_add_co_i32 s31, 0, 0x1001c
	s_add_co_i32 s33, 0, 0x10020
	s_add_co_i32 s34, 0, 0x10024
	s_add_co_i32 s35, 0, 0x10028
	s_add_co_i32 s37, 0, 0x1002c
	s_add_co_i32 s38, 0, 0x10030
	s_add_co_i32 s39, 0, 0x10034
	s_add_co_i32 s40, 0, 0x10038
	s_wait_dscnt 0x0
	s_barrier_signal -1
	s_barrier_wait -1
	v_cmp_eq_u32_e32 vcc_lo, 0x3ff, v0
	s_branch .LBB173_39
.LBB173_38:                             ;   in Loop: Header=BB173_39 Depth=1
	s_or_b32 exec_lo, exec_lo, s15
	s_wait_dscnt 0x0
	s_barrier_signal -1
	s_barrier_wait -1
	ds_load_b32 v4, v7
	v_add_nc_u32_e32 v6, 0x400, v6
	v_add_nc_u32_e32 v12, 0x1000, v12
	s_delay_alu instid0(VALU_DEP_2)
	v_cmp_lt_u32_e64 s15, 0x1bff, v6
	s_or_b32 s19, s15, s19
	s_wait_dscnt 0x0
	v_add_nc_u32_e32 v1, v4, v1
	s_and_not1_b32 exec_lo, exec_lo, s19
	s_cbranch_execz .LBB173_73
.LBB173_39:                             ; =>This Inner Loop Header: Depth=1
	ds_load_2addr_stride64_b32 v[4:5], v12 offset1:128
	s_wait_dscnt 0x0
	s_barrier_signal -1
	s_barrier_wait -1
	v_cmp_gt_i32_e64 s15, s24, v4
	s_bcnt1_i32_b32 s41, s15
	s_delay_alu instid0(SALU_CYCLE_1) | instskip(NEXT) | instid1(VALU_DEP_1)
	v_dual_mov_b32 v9, s41 :: v_dual_bitop2_b32 v8, s15, v2 bitop3:0x40
	v_bcnt_u32_b32 v8, v8, 0
	ds_store_b32 v3, v9
	s_wait_dscnt 0x0
	s_barrier_signal -1
	s_barrier_wait -1
	s_and_saveexec_b32 s41, s0
	s_cbranch_execz .LBB173_56
; %bb.40:                               ;   in Loop: Header=BB173_39 Depth=1
	v_mov_b32_e32 v9, s21
	ds_load_b32 v9, v9
	s_wait_dscnt 0x0
	v_add_nc_u32_e32 v8, v9, v8
	s_or_b32 exec_lo, exec_lo, s41
	s_and_saveexec_b32 s41, s1
	s_cbranch_execnz .LBB173_57
.LBB173_41:                             ;   in Loop: Header=BB173_39 Depth=1
	s_or_b32 exec_lo, exec_lo, s41
	s_and_saveexec_b32 s41, s2
	s_cbranch_execz .LBB173_58
.LBB173_42:                             ;   in Loop: Header=BB173_39 Depth=1
	v_mov_b32_e32 v9, s26
	ds_load_b32 v9, v9
	s_wait_dscnt 0x0
	v_add_nc_u32_e32 v8, v9, v8
	s_or_b32 exec_lo, exec_lo, s41
	s_and_saveexec_b32 s41, s3
	s_cbranch_execnz .LBB173_59
.LBB173_43:                             ;   in Loop: Header=BB173_39 Depth=1
	s_or_b32 exec_lo, exec_lo, s41
	s_and_saveexec_b32 s41, s4
	s_cbranch_execz .LBB173_60
.LBB173_44:                             ;   in Loop: Header=BB173_39 Depth=1
	v_mov_b32_e32 v9, s28
	ds_load_b32 v9, v9
	s_wait_dscnt 0x0
	v_add_nc_u32_e32 v8, v9, v8
	s_or_b32 exec_lo, exec_lo, s41
	s_and_saveexec_b32 s41, s5
	s_cbranch_execnz .LBB173_61
.LBB173_45:                             ;   in Loop: Header=BB173_39 Depth=1
	s_or_b32 exec_lo, exec_lo, s41
	s_and_saveexec_b32 s41, s6
	s_cbranch_execz .LBB173_62
.LBB173_46:                             ;   in Loop: Header=BB173_39 Depth=1
	v_mov_b32_e32 v9, s30
	ds_load_b32 v9, v9
	s_wait_dscnt 0x0
	v_add_nc_u32_e32 v8, v9, v8
	s_or_b32 exec_lo, exec_lo, s41
	s_and_saveexec_b32 s41, s7
	s_cbranch_execnz .LBB173_63
.LBB173_47:                             ;   in Loop: Header=BB173_39 Depth=1
	s_or_b32 exec_lo, exec_lo, s41
	s_and_saveexec_b32 s41, s8
	s_cbranch_execz .LBB173_64
.LBB173_48:                             ;   in Loop: Header=BB173_39 Depth=1
	v_mov_b32_e32 v9, s33
	ds_load_b32 v9, v9
	s_wait_dscnt 0x0
	v_add_nc_u32_e32 v8, v9, v8
	s_or_b32 exec_lo, exec_lo, s41
	s_and_saveexec_b32 s41, s9
	s_cbranch_execnz .LBB173_65
.LBB173_49:                             ;   in Loop: Header=BB173_39 Depth=1
	s_or_b32 exec_lo, exec_lo, s41
	s_and_saveexec_b32 s41, s10
	s_cbranch_execz .LBB173_66
.LBB173_50:                             ;   in Loop: Header=BB173_39 Depth=1
	v_mov_b32_e32 v9, s35
	ds_load_b32 v9, v9
	s_wait_dscnt 0x0
	v_add_nc_u32_e32 v8, v9, v8
	s_or_b32 exec_lo, exec_lo, s41
	s_and_saveexec_b32 s41, s11
	s_cbranch_execnz .LBB173_67
.LBB173_51:                             ;   in Loop: Header=BB173_39 Depth=1
	s_or_b32 exec_lo, exec_lo, s41
	s_and_saveexec_b32 s41, s12
	s_cbranch_execz .LBB173_68
.LBB173_52:                             ;   in Loop: Header=BB173_39 Depth=1
	v_mov_b32_e32 v9, s38
	ds_load_b32 v9, v9
	s_wait_dscnt 0x0
	v_add_nc_u32_e32 v8, v9, v8
	s_or_b32 exec_lo, exec_lo, s41
	s_and_saveexec_b32 s41, s13
	s_cbranch_execnz .LBB173_69
.LBB173_53:                             ;   in Loop: Header=BB173_39 Depth=1
	s_or_b32 exec_lo, exec_lo, s41
	s_and_saveexec_b32 s41, s14
	s_cbranch_execz .LBB173_70
.LBB173_54:                             ;   in Loop: Header=BB173_39 Depth=1
	v_mov_b32_e32 v9, s40
	ds_load_b32 v9, v9
	s_wait_dscnt 0x0
	v_add_nc_u32_e32 v8, v9, v8
	s_or_b32 exec_lo, exec_lo, s41
	s_and_saveexec_b32 s41, s15
	s_cbranch_execnz .LBB173_71
.LBB173_55:                             ;   in Loop: Header=BB173_39 Depth=1
	s_or_b32 exec_lo, exec_lo, s41
	s_and_saveexec_b32 s15, vcc_lo
	s_cbranch_execz .LBB173_38
	s_branch .LBB173_72
.LBB173_56:                             ;   in Loop: Header=BB173_39 Depth=1
	s_or_b32 exec_lo, exec_lo, s41
	s_and_saveexec_b32 s41, s1
	s_cbranch_execz .LBB173_41
.LBB173_57:                             ;   in Loop: Header=BB173_39 Depth=1
	v_mov_b32_e32 v9, s25
	ds_load_b32 v9, v9
	s_wait_dscnt 0x0
	v_add_nc_u32_e32 v8, v9, v8
	s_or_b32 exec_lo, exec_lo, s41
	s_and_saveexec_b32 s41, s2
	s_cbranch_execnz .LBB173_42
.LBB173_58:                             ;   in Loop: Header=BB173_39 Depth=1
	s_or_b32 exec_lo, exec_lo, s41
	s_and_saveexec_b32 s41, s3
	s_cbranch_execz .LBB173_43
.LBB173_59:                             ;   in Loop: Header=BB173_39 Depth=1
	v_mov_b32_e32 v9, s27
	ds_load_b32 v9, v9
	s_wait_dscnt 0x0
	v_add_nc_u32_e32 v8, v9, v8
	s_or_b32 exec_lo, exec_lo, s41
	s_and_saveexec_b32 s41, s4
	s_cbranch_execnz .LBB173_44
.LBB173_60:                             ;   in Loop: Header=BB173_39 Depth=1
	s_or_b32 exec_lo, exec_lo, s41
	s_and_saveexec_b32 s41, s5
	s_cbranch_execz .LBB173_45
.LBB173_61:                             ;   in Loop: Header=BB173_39 Depth=1
	v_mov_b32_e32 v9, s29
	ds_load_b32 v9, v9
	s_wait_dscnt 0x0
	v_add_nc_u32_e32 v8, v9, v8
	s_or_b32 exec_lo, exec_lo, s41
	s_and_saveexec_b32 s41, s6
	s_cbranch_execnz .LBB173_46
.LBB173_62:                             ;   in Loop: Header=BB173_39 Depth=1
	s_or_b32 exec_lo, exec_lo, s41
	s_and_saveexec_b32 s41, s7
	s_cbranch_execz .LBB173_47
.LBB173_63:                             ;   in Loop: Header=BB173_39 Depth=1
	v_mov_b32_e32 v9, s31
	ds_load_b32 v9, v9
	s_wait_dscnt 0x0
	v_add_nc_u32_e32 v8, v9, v8
	s_or_b32 exec_lo, exec_lo, s41
	s_and_saveexec_b32 s41, s8
	s_cbranch_execnz .LBB173_48
.LBB173_64:                             ;   in Loop: Header=BB173_39 Depth=1
	s_or_b32 exec_lo, exec_lo, s41
	s_and_saveexec_b32 s41, s9
	s_cbranch_execz .LBB173_49
.LBB173_65:                             ;   in Loop: Header=BB173_39 Depth=1
	v_mov_b32_e32 v9, s34
	ds_load_b32 v9, v9
	s_wait_dscnt 0x0
	v_add_nc_u32_e32 v8, v9, v8
	s_or_b32 exec_lo, exec_lo, s41
	s_and_saveexec_b32 s41, s10
	s_cbranch_execnz .LBB173_50
.LBB173_66:                             ;   in Loop: Header=BB173_39 Depth=1
	s_or_b32 exec_lo, exec_lo, s41
	s_and_saveexec_b32 s41, s11
	s_cbranch_execz .LBB173_51
.LBB173_67:                             ;   in Loop: Header=BB173_39 Depth=1
	v_mov_b32_e32 v9, s37
	ds_load_b32 v9, v9
	s_wait_dscnt 0x0
	v_add_nc_u32_e32 v8, v9, v8
	s_or_b32 exec_lo, exec_lo, s41
	s_and_saveexec_b32 s41, s12
	s_cbranch_execnz .LBB173_52
.LBB173_68:                             ;   in Loop: Header=BB173_39 Depth=1
	s_or_b32 exec_lo, exec_lo, s41
	s_and_saveexec_b32 s41, s13
	s_cbranch_execz .LBB173_53
.LBB173_69:                             ;   in Loop: Header=BB173_39 Depth=1
	v_mov_b32_e32 v9, s39
	ds_load_b32 v9, v9
	s_wait_dscnt 0x0
	v_add_nc_u32_e32 v8, v9, v8
	s_or_b32 exec_lo, exec_lo, s41
	s_and_saveexec_b32 s41, s14
	s_cbranch_execnz .LBB173_54
.LBB173_70:                             ;   in Loop: Header=BB173_39 Depth=1
	s_or_b32 exec_lo, exec_lo, s41
	s_and_saveexec_b32 s41, s15
	s_cbranch_execz .LBB173_55
.LBB173_71:                             ;   in Loop: Header=BB173_39 Depth=1
	s_delay_alu instid0(VALU_DEP_1) | instskip(SKIP_1) | instid1(VALU_DEP_2)
	v_add3_u32 v9, v1, -1, v8
	v_add_nc_u32_e32 v10, v1, v8
	v_lshl_add_u32 v9, v9, 2, 0
	s_delay_alu instid0(VALU_DEP_2)
	v_lshl_add_u32 v10, v10, 2, 0
	ds_store_b32 v9, v4
	ds_store_b32 v10, v5 offset:32764
	s_or_b32 exec_lo, exec_lo, s41
	s_and_saveexec_b32 s15, vcc_lo
	s_cbranch_execz .LBB173_38
.LBB173_72:                             ;   in Loop: Header=BB173_39 Depth=1
	v_mov_b32_e32 v4, s36
	ds_store_b32 v4, v8
	s_branch .LBB173_38
.LBB173_73:
	s_or_b32 exec_lo, exec_lo, s19
	s_wait_kmcnt 0x0
	s_ashr_i32 s21, s20, 31
	s_delay_alu instid0(SALU_CYCLE_1) | instskip(NEXT) | instid1(SALU_CYCLE_1)
	s_lshl_b64 s[0:1], s[20:21], 3
	s_add_nc_u64 s[4:5], s[22:23], s[0:1]
	s_load_b128 s[0:3], s[4:5], 0x0
	s_wait_xcnt 0x0
	s_mov_b32 s4, exec_lo
	s_wait_kmcnt 0x0
	s_sub_co_i32 s3, s2, s0
	s_delay_alu instid0(SALU_CYCLE_1)
	v_cmpx_gt_i32_e64 s3, v0
	s_cbranch_execz .LBB173_83
; %bb.74:
	s_sub_co_i32 s4, s0, s2
	s_and_b32 s2, s3, 7
	s_cmp_lt_u32 s4, -7
	s_mov_b32 s19, 0
	s_cselect_b32 s4, -1, 0
	s_and_b32 s5, s3, -8
	s_cmp_lg_u32 s2, 0
	s_sub_nc_u64 s[0:1], s[0:1], s[18:19]
	s_cselect_b32 s6, -1, 0
	s_mov_b32 s7, 0
	s_branch .LBB173_76
.LBB173_75:                             ;   in Loop: Header=BB173_76 Depth=1
	v_add_nc_u32_e32 v0, 0x400, v0
	s_delay_alu instid0(VALU_DEP_2) | instskip(NEXT) | instid1(VALU_DEP_2)
	v_lshl_add_u64 v[4:5], v[4:5], 2, s[16:17]
	v_cmp_le_i32_e32 vcc_lo, s3, v0
	s_wait_dscnt 0x0
	global_store_b32 v[4:5], v3, off
	s_or_b32 s7, vcc_lo, s7
	s_wait_xcnt 0x0
	s_and_not1_b32 exec_lo, exec_lo, s7
	s_cbranch_execz .LBB173_83
.LBB173_76:                             ; =>This Loop Header: Depth=1
                                        ;     Child Loop BB173_78 Depth 2
                                        ;     Child Loop BB173_82 Depth 2
	v_lshl_add_u32 v1, v0, 2, 0
	v_mov_b64_e32 v[4:5], s[0:1]
	s_and_not1_b32 vcc_lo, exec_lo, s4
	s_mov_b32 s8, 0
	ds_load_2addr_stride64_b32 v[2:3], v1 offset1:128
	s_cbranch_vccnz .LBB173_80
; %bb.77:                               ;   in Loop: Header=BB173_76 Depth=1
	v_mov_b64_e32 v[4:5], s[0:1]
	s_mov_b32 s9, 0
.LBB173_78:                             ;   Parent Loop BB173_76 Depth=1
                                        ; =>  This Inner Loop Header: Depth=2
	s_delay_alu instid0(SALU_CYCLE_1)
	v_dual_mov_b32 v1, s9 :: v_dual_mov_b32 v11, s19
	v_mov_b32_e32 v17, s19
	s_add_co_i32 s8, s8, 8
	s_add_co_i32 s9, s9, 32
	ds_load_2addr_b32 v[6:7], v1 offset1:1
	ds_load_2addr_b32 v[8:9], v1 offset0:2 offset1:3
	ds_load_2addr_b32 v[12:13], v1 offset0:4 offset1:5
	;; [unrolled: 1-line block ×3, first 2 shown]
	s_cmp_eq_u32 s5, s8
	s_wait_dscnt 0x3
	v_cmp_gt_i32_e32 vcc_lo, v2, v6
	v_cndmask_b32_e64 v10, 0, 1, vcc_lo
	v_cmp_gt_i32_e32 vcc_lo, v2, v7
	v_mov_b32_e32 v7, s19
	s_delay_alu instid0(VALU_DEP_3) | instskip(SKIP_4) | instid1(VALU_DEP_3)
	v_add_nc_u64_e32 v[4:5], v[4:5], v[10:11]
	v_cndmask_b32_e64 v16, 0, 1, vcc_lo
	s_wait_dscnt 0x2
	v_cmp_gt_i32_e32 vcc_lo, v2, v8
	v_cndmask_b32_e64 v6, 0, 1, vcc_lo
	v_add_nc_u64_e32 v[4:5], v[4:5], v[16:17]
	v_cmp_gt_i32_e32 vcc_lo, v2, v9
	v_mov_b32_e32 v9, s19
	v_cndmask_b32_e64 v10, 0, 1, vcc_lo
	s_delay_alu instid0(VALU_DEP_4) | instskip(SKIP_3) | instid1(VALU_DEP_3)
	v_add_nc_u64_e32 v[4:5], v[4:5], v[6:7]
	s_wait_dscnt 0x1
	v_cmp_gt_i32_e32 vcc_lo, v2, v12
	v_cndmask_b32_e64 v6, 0, 1, vcc_lo
	v_add_nc_u64_e32 v[4:5], v[4:5], v[10:11]
	v_cmp_gt_i32_e32 vcc_lo, v2, v13
	v_cndmask_b32_e64 v8, 0, 1, vcc_lo
	s_delay_alu instid0(VALU_DEP_3) | instskip(SKIP_3) | instid1(VALU_DEP_3)
	v_add_nc_u64_e32 v[4:5], v[4:5], v[6:7]
	s_wait_dscnt 0x0
	v_cmp_gt_i32_e32 vcc_lo, v2, v14
	v_cndmask_b32_e64 v6, 0, 1, vcc_lo
	v_add_nc_u64_e32 v[4:5], v[4:5], v[8:9]
	v_cmp_gt_i32_e32 vcc_lo, v2, v15
	v_cndmask_b32_e64 v8, 0, 1, vcc_lo
	s_delay_alu instid0(VALU_DEP_3) | instskip(NEXT) | instid1(VALU_DEP_1)
	v_add_nc_u64_e32 v[4:5], v[4:5], v[6:7]
	v_add_nc_u64_e32 v[4:5], v[4:5], v[8:9]
	s_cbranch_scc0 .LBB173_78
; %bb.79:                               ;   in Loop: Header=BB173_76 Depth=1
	s_mov_b32 s8, s5
.LBB173_80:                             ;   in Loop: Header=BB173_76 Depth=1
	s_and_not1_b32 vcc_lo, exec_lo, s6
	s_cbranch_vccnz .LBB173_75
; %bb.81:                               ;   in Loop: Header=BB173_76 Depth=1
	s_lshl_b32 s8, s8, 2
	s_mov_b32 s9, s2
	s_add_co_i32 s8, s8, 0
.LBB173_82:                             ;   Parent Loop BB173_76 Depth=1
                                        ; =>  This Inner Loop Header: Depth=2
	s_delay_alu instid0(SALU_CYCLE_1)
	v_dual_mov_b32 v1, s8 :: v_dual_mov_b32 v7, s19
	s_add_co_i32 s9, s9, -1
	s_add_co_i32 s8, s8, 4
	s_cmp_lg_u32 s9, 0
	ds_load_b32 v1, v1
	s_wait_dscnt 0x0
	v_cmp_gt_i32_e32 vcc_lo, v2, v1
	v_cndmask_b32_e64 v6, 0, 1, vcc_lo
	s_delay_alu instid0(VALU_DEP_1)
	v_add_nc_u64_e32 v[4:5], v[4:5], v[6:7]
	s_cbranch_scc1 .LBB173_82
	s_branch .LBB173_75
.LBB173_83:
	s_endpgm
	.section	.rodata,"a",@progbits
	.p2align	6, 0x0
	.amdhsa_kernel _ZN9rocsparseL41csrgemm_numeric_fill_block_per_row_kernelILj1024ELj64ELj8192ELj137ELj64ElifEEvT5_PKS1_S3_NS_24const_host_device_scalarIT6_EEPKT4_S3_PKS5_S9_S3_SB_S6_S9_S3_SB_S9_S3_PS5_21rocsparse_index_base_SD_SD_SD_bbb
		.amdhsa_group_segment_fixed_size 0
		.amdhsa_private_segment_fixed_size 0
		.amdhsa_kernarg_size 156
		.amdhsa_user_sgpr_count 2
		.amdhsa_user_sgpr_dispatch_ptr 0
		.amdhsa_user_sgpr_queue_ptr 0
		.amdhsa_user_sgpr_kernarg_segment_ptr 1
		.amdhsa_user_sgpr_dispatch_id 0
		.amdhsa_user_sgpr_kernarg_preload_length 0
		.amdhsa_user_sgpr_kernarg_preload_offset 0
		.amdhsa_user_sgpr_private_segment_size 0
		.amdhsa_wavefront_size32 1
		.amdhsa_uses_dynamic_stack 0
		.amdhsa_enable_private_segment 0
		.amdhsa_system_sgpr_workgroup_id_x 1
		.amdhsa_system_sgpr_workgroup_id_y 0
		.amdhsa_system_sgpr_workgroup_id_z 0
		.amdhsa_system_sgpr_workgroup_info 0
		.amdhsa_system_vgpr_workitem_id 0
		.amdhsa_next_free_vgpr 18
		.amdhsa_next_free_sgpr 42
		.amdhsa_named_barrier_count 0
		.amdhsa_reserve_vcc 1
		.amdhsa_float_round_mode_32 0
		.amdhsa_float_round_mode_16_64 0
		.amdhsa_float_denorm_mode_32 3
		.amdhsa_float_denorm_mode_16_64 3
		.amdhsa_fp16_overflow 0
		.amdhsa_memory_ordered 1
		.amdhsa_forward_progress 1
		.amdhsa_inst_pref_size 27
		.amdhsa_round_robin_scheduling 0
		.amdhsa_exception_fp_ieee_invalid_op 0
		.amdhsa_exception_fp_denorm_src 0
		.amdhsa_exception_fp_ieee_div_zero 0
		.amdhsa_exception_fp_ieee_overflow 0
		.amdhsa_exception_fp_ieee_underflow 0
		.amdhsa_exception_fp_ieee_inexact 0
		.amdhsa_exception_int_div_zero 0
	.end_amdhsa_kernel
	.section	.text._ZN9rocsparseL41csrgemm_numeric_fill_block_per_row_kernelILj1024ELj64ELj8192ELj137ELj64ElifEEvT5_PKS1_S3_NS_24const_host_device_scalarIT6_EEPKT4_S3_PKS5_S9_S3_SB_S6_S9_S3_SB_S9_S3_PS5_21rocsparse_index_base_SD_SD_SD_bbb,"axG",@progbits,_ZN9rocsparseL41csrgemm_numeric_fill_block_per_row_kernelILj1024ELj64ELj8192ELj137ELj64ElifEEvT5_PKS1_S3_NS_24const_host_device_scalarIT6_EEPKT4_S3_PKS5_S9_S3_SB_S6_S9_S3_SB_S9_S3_PS5_21rocsparse_index_base_SD_SD_SD_bbb,comdat
.Lfunc_end173:
	.size	_ZN9rocsparseL41csrgemm_numeric_fill_block_per_row_kernelILj1024ELj64ELj8192ELj137ELj64ElifEEvT5_PKS1_S3_NS_24const_host_device_scalarIT6_EEPKT4_S3_PKS5_S9_S3_SB_S6_S9_S3_SB_S9_S3_PS5_21rocsparse_index_base_SD_SD_SD_bbb, .Lfunc_end173-_ZN9rocsparseL41csrgemm_numeric_fill_block_per_row_kernelILj1024ELj64ELj8192ELj137ELj64ElifEEvT5_PKS1_S3_NS_24const_host_device_scalarIT6_EEPKT4_S3_PKS5_S9_S3_SB_S6_S9_S3_SB_S9_S3_PS5_21rocsparse_index_base_SD_SD_SD_bbb
                                        ; -- End function
	.set _ZN9rocsparseL41csrgemm_numeric_fill_block_per_row_kernelILj1024ELj64ELj8192ELj137ELj64ElifEEvT5_PKS1_S3_NS_24const_host_device_scalarIT6_EEPKT4_S3_PKS5_S9_S3_SB_S6_S9_S3_SB_S9_S3_PS5_21rocsparse_index_base_SD_SD_SD_bbb.num_vgpr, 18
	.set _ZN9rocsparseL41csrgemm_numeric_fill_block_per_row_kernelILj1024ELj64ELj8192ELj137ELj64ElifEEvT5_PKS1_S3_NS_24const_host_device_scalarIT6_EEPKT4_S3_PKS5_S9_S3_SB_S6_S9_S3_SB_S9_S3_PS5_21rocsparse_index_base_SD_SD_SD_bbb.num_agpr, 0
	.set _ZN9rocsparseL41csrgemm_numeric_fill_block_per_row_kernelILj1024ELj64ELj8192ELj137ELj64ElifEEvT5_PKS1_S3_NS_24const_host_device_scalarIT6_EEPKT4_S3_PKS5_S9_S3_SB_S6_S9_S3_SB_S9_S3_PS5_21rocsparse_index_base_SD_SD_SD_bbb.numbered_sgpr, 42
	.set _ZN9rocsparseL41csrgemm_numeric_fill_block_per_row_kernelILj1024ELj64ELj8192ELj137ELj64ElifEEvT5_PKS1_S3_NS_24const_host_device_scalarIT6_EEPKT4_S3_PKS5_S9_S3_SB_S6_S9_S3_SB_S9_S3_PS5_21rocsparse_index_base_SD_SD_SD_bbb.num_named_barrier, 0
	.set _ZN9rocsparseL41csrgemm_numeric_fill_block_per_row_kernelILj1024ELj64ELj8192ELj137ELj64ElifEEvT5_PKS1_S3_NS_24const_host_device_scalarIT6_EEPKT4_S3_PKS5_S9_S3_SB_S6_S9_S3_SB_S9_S3_PS5_21rocsparse_index_base_SD_SD_SD_bbb.private_seg_size, 0
	.set _ZN9rocsparseL41csrgemm_numeric_fill_block_per_row_kernelILj1024ELj64ELj8192ELj137ELj64ElifEEvT5_PKS1_S3_NS_24const_host_device_scalarIT6_EEPKT4_S3_PKS5_S9_S3_SB_S6_S9_S3_SB_S9_S3_PS5_21rocsparse_index_base_SD_SD_SD_bbb.uses_vcc, 1
	.set _ZN9rocsparseL41csrgemm_numeric_fill_block_per_row_kernelILj1024ELj64ELj8192ELj137ELj64ElifEEvT5_PKS1_S3_NS_24const_host_device_scalarIT6_EEPKT4_S3_PKS5_S9_S3_SB_S6_S9_S3_SB_S9_S3_PS5_21rocsparse_index_base_SD_SD_SD_bbb.uses_flat_scratch, 0
	.set _ZN9rocsparseL41csrgemm_numeric_fill_block_per_row_kernelILj1024ELj64ELj8192ELj137ELj64ElifEEvT5_PKS1_S3_NS_24const_host_device_scalarIT6_EEPKT4_S3_PKS5_S9_S3_SB_S6_S9_S3_SB_S9_S3_PS5_21rocsparse_index_base_SD_SD_SD_bbb.has_dyn_sized_stack, 0
	.set _ZN9rocsparseL41csrgemm_numeric_fill_block_per_row_kernelILj1024ELj64ELj8192ELj137ELj64ElifEEvT5_PKS1_S3_NS_24const_host_device_scalarIT6_EEPKT4_S3_PKS5_S9_S3_SB_S6_S9_S3_SB_S9_S3_PS5_21rocsparse_index_base_SD_SD_SD_bbb.has_recursion, 0
	.set _ZN9rocsparseL41csrgemm_numeric_fill_block_per_row_kernelILj1024ELj64ELj8192ELj137ELj64ElifEEvT5_PKS1_S3_NS_24const_host_device_scalarIT6_EEPKT4_S3_PKS5_S9_S3_SB_S6_S9_S3_SB_S9_S3_PS5_21rocsparse_index_base_SD_SD_SD_bbb.has_indirect_call, 0
	.section	.AMDGPU.csdata,"",@progbits
; Kernel info:
; codeLenInByte = 3416
; TotalNumSgprs: 44
; NumVgprs: 18
; ScratchSize: 0
; MemoryBound: 0
; FloatMode: 240
; IeeeMode: 1
; LDSByteSize: 0 bytes/workgroup (compile time only)
; SGPRBlocks: 0
; VGPRBlocks: 1
; NumSGPRsForWavesPerEU: 44
; NumVGPRsForWavesPerEU: 18
; NamedBarCnt: 0
; Occupancy: 16
; WaveLimiterHint : 1
; COMPUTE_PGM_RSRC2:SCRATCH_EN: 0
; COMPUTE_PGM_RSRC2:USER_SGPR: 2
; COMPUTE_PGM_RSRC2:TRAP_HANDLER: 0
; COMPUTE_PGM_RSRC2:TGID_X_EN: 1
; COMPUTE_PGM_RSRC2:TGID_Y_EN: 0
; COMPUTE_PGM_RSRC2:TGID_Z_EN: 0
; COMPUTE_PGM_RSRC2:TIDIG_COMP_CNT: 0
	.section	.text._ZN9rocsparseL41csrgemm_numeric_fill_block_per_row_kernelILj1024ELj64ELj16384ELj137ELj32ElifEEvT5_PKS1_S3_NS_24const_host_device_scalarIT6_EEPKT4_S3_PKS5_S9_S3_SB_S6_S9_S3_SB_S9_S3_PS5_21rocsparse_index_base_SD_SD_SD_bbb,"axG",@progbits,_ZN9rocsparseL41csrgemm_numeric_fill_block_per_row_kernelILj1024ELj64ELj16384ELj137ELj32ElifEEvT5_PKS1_S3_NS_24const_host_device_scalarIT6_EEPKT4_S3_PKS5_S9_S3_SB_S6_S9_S3_SB_S9_S3_PS5_21rocsparse_index_base_SD_SD_SD_bbb,comdat
	.globl	_ZN9rocsparseL41csrgemm_numeric_fill_block_per_row_kernelILj1024ELj64ELj16384ELj137ELj32ElifEEvT5_PKS1_S3_NS_24const_host_device_scalarIT6_EEPKT4_S3_PKS5_S9_S3_SB_S6_S9_S3_SB_S9_S3_PS5_21rocsparse_index_base_SD_SD_SD_bbb ; -- Begin function _ZN9rocsparseL41csrgemm_numeric_fill_block_per_row_kernelILj1024ELj64ELj16384ELj137ELj32ElifEEvT5_PKS1_S3_NS_24const_host_device_scalarIT6_EEPKT4_S3_PKS5_S9_S3_SB_S6_S9_S3_SB_S9_S3_PS5_21rocsparse_index_base_SD_SD_SD_bbb
	.p2align	8
	.type	_ZN9rocsparseL41csrgemm_numeric_fill_block_per_row_kernelILj1024ELj64ELj16384ELj137ELj32ElifEEvT5_PKS1_S3_NS_24const_host_device_scalarIT6_EEPKT4_S3_PKS5_S9_S3_SB_S6_S9_S3_SB_S9_S3_PS5_21rocsparse_index_base_SD_SD_SD_bbb,@function
_ZN9rocsparseL41csrgemm_numeric_fill_block_per_row_kernelILj1024ELj64ELj16384ELj137ELj32ElifEEvT5_PKS1_S3_NS_24const_host_device_scalarIT6_EEPKT4_S3_PKS5_S9_S3_SB_S6_S9_S3_SB_S9_S3_PS5_21rocsparse_index_base_SD_SD_SD_bbb: ; @_ZN9rocsparseL41csrgemm_numeric_fill_block_per_row_kernelILj1024ELj64ELj16384ELj137ELj32ElifEEvT5_PKS1_S3_NS_24const_host_device_scalarIT6_EEPKT4_S3_PKS5_S9_S3_SB_S6_S9_S3_SB_S9_S3_PS5_21rocsparse_index_base_SD_SD_SD_bbb
; %bb.0:
	s_clause 0x3
	s_load_b32 s6, s[0:1], 0x98
	s_load_b64 s[4:5], s[0:1], 0x18
	s_load_b128 s[44:47], s[0:1], 0x88
	s_load_b64 s[2:3], s[0:1], 0x50
	s_wait_kmcnt 0x0
	s_and_b32 s8, 1, s6
	s_bitcmp1_b32 s6, 16
	s_cselect_b32 s7, -1, 0
	s_cmp_eq_u32 s8, 1
	s_cselect_b32 s23, -1, 0
	s_delay_alu instid0(SALU_CYCLE_1) | instskip(SKIP_2) | instid1(SALU_CYCLE_1)
	s_and_b32 s8, s23, exec_lo
	s_cselect_b32 s21, s4, 0
	s_xor_b32 s8, s23, -1
	s_or_b32 s8, s7, s8
	s_delay_alu instid0(SALU_CYCLE_1)
	s_and_b32 vcc_lo, exec_lo, s8
	s_cbranch_vccnz .LBB174_2
; %bb.1:
	s_load_b32 s21, s[4:5], 0x0
.LBB174_2:
	s_load_b128 s[16:19], s[0:1], 0x8
	s_bitcmp1_b32 s6, 8
	s_cselect_b32 s22, -1, 0
	s_wait_xcnt 0x0
	s_and_b32 s4, s22, exec_lo
	s_cselect_b32 s20, s2, 0
	s_xor_b32 s4, s22, -1
	s_delay_alu instid0(SALU_CYCLE_1) | instskip(NEXT) | instid1(SALU_CYCLE_1)
	s_or_b32 s4, s7, s4
	s_and_b32 vcc_lo, exec_lo, s4
	s_cbranch_vccnz .LBB174_4
; %bb.3:
	s_load_b32 s20, s[2:3], 0x0
.LBB174_4:
	s_clause 0x4
	s_load_b32 s33, s[0:1], 0x0
	s_load_b64 s[34:35], s[0:1], 0x80
	s_load_b256 s[36:43], s[0:1], 0x58
	s_load_b128 s[12:15], s[0:1], 0x40
	s_load_b256 s[4:11], s[0:1], 0x20
	v_lshl_add_u32 v10, v0, 2, 0
	v_or_b32_e32 v11, 0xfffffc00, v0
	v_mov_b32_e32 v1, 0
	s_wait_xcnt 0x0
	s_mov_b32 s0, 0
	s_delay_alu instid0(VALU_DEP_2)
	v_dual_mov_b32 v2, v10 :: v_dual_mov_b32 v4, v11
	s_wait_kmcnt 0x0
	v_mov_b32_e32 v3, s33
.LBB174_5:                              ; =>This Inner Loop Header: Depth=1
	s_delay_alu instid0(VALU_DEP_2) | instskip(NEXT) | instid1(VALU_DEP_3)
	v_add_nc_u32_e32 v4, 0x400, v4
	v_add_nc_u32_e32 v5, 0x10000, v2
	ds_store_b32 v2, v3
	v_add_nc_u32_e32 v2, 0x1000, v2
	v_cmp_lt_u32_e32 vcc_lo, 0x3bff, v4
	ds_store_b32 v5, v1
	s_or_b32 s0, vcc_lo, s0
	s_delay_alu instid0(SALU_CYCLE_1)
	s_and_not1_b32 exec_lo, exec_lo, s0
	s_cbranch_execnz .LBB174_5
; %bb.6:
	s_or_b32 exec_lo, exec_lo, s0
	s_wait_dscnt 0x0
	s_barrier_signal -1
	s_barrier_wait -1
	s_load_b32 s0, s[16:17], 0x0
	s_bfe_u32 s1, ttmp6, 0x4000c
	s_and_b32 s2, ttmp6, 15
	s_add_co_i32 s1, s1, 1
	s_getreg_b32 s3, hwreg(HW_REG_IB_STS2, 6, 4)
	s_mul_i32 s1, ttmp9, s1
	s_delay_alu instid0(SALU_CYCLE_1)
	s_add_co_i32 s2, s2, s1
	s_cmp_eq_u32 s3, 0
	s_cselect_b32 s1, ttmp9, s2
	s_and_b32 vcc_lo, s23, exec_lo
	s_wait_kmcnt 0x0
	s_add_co_i32 s0, s0, s1
	s_mov_b32 s1, 0
	s_load_b32 s48, s[18:19], s0 offset:0x0 scale_offset
	s_cbranch_vccz .LBB174_24
; %bb.7:
	s_wait_kmcnt 0x0
	s_ashr_i32 s49, s48, 31
	v_dual_mov_b32 v5, 0 :: v_dual_lshrrev_b32 v4, 6, v0
	s_lshl_b64 s[2:3], s[48:49], 3
	s_mov_b32 s0, s44
	s_add_nc_u64 s[2:3], s[4:5], s[2:3]
	s_mov_b32 s4, exec_lo
	s_load_b128 s[16:19], s[2:3], 0x0
	v_sub_nc_u64_e64 v[2:3], v[4:5], s[0:1]
	s_wait_kmcnt 0x0
	s_delay_alu instid0(VALU_DEP_1)
	v_add_nc_u64_e32 v[2:3], s[16:17], v[2:3]
	s_sub_nc_u64 s[0:1], s[18:19], s[0:1]
	s_delay_alu instid0(VALU_DEP_1) | instid1(SALU_CYCLE_1)
	v_cmpx_gt_i64_e64 s[0:1], v[2:3]
	s_cbranch_execz .LBB174_23
; %bb.8:
	v_and_b32_e32 v4, 63, v0
	s_mov_b32 s3, 0
	s_mov_b32 s2, s45
	;; [unrolled: 1-line block ×3, first 2 shown]
	s_delay_alu instid0(VALU_DEP_1)
	v_sub_nc_u64_e64 v[4:5], v[4:5], s[2:3]
	s_branch .LBB174_10
.LBB174_9:                              ;   in Loop: Header=BB174_10 Depth=1
	s_or_b32 exec_lo, exec_lo, s16
	v_add_nc_u64_e32 v[2:3], 16, v[2:3]
	s_delay_alu instid0(VALU_DEP_1) | instskip(SKIP_1) | instid1(SALU_CYCLE_1)
	v_cmp_le_i64_e32 vcc_lo, s[0:1], v[2:3]
	s_or_b32 s5, vcc_lo, s5
	s_and_not1_b32 exec_lo, exec_lo, s5
	s_cbranch_execz .LBB174_23
.LBB174_10:                             ; =>This Loop Header: Depth=1
                                        ;     Child Loop BB174_14 Depth 2
                                        ;       Child Loop BB174_17 Depth 3
	v_lshl_add_u64 v[6:7], v[2:3], 2, s[6:7]
	s_mov_b32 s16, exec_lo
	global_load_b32 v1, v[6:7], off
	s_wait_loadcnt 0x0
	s_wait_xcnt 0x0
	v_subrev_nc_u32_e32 v6, s44, v1
	s_delay_alu instid0(VALU_DEP_1) | instskip(NEXT) | instid1(VALU_DEP_1)
	v_ashrrev_i32_e32 v7, 31, v6
	v_lshl_add_u64 v[6:7], v[6:7], 3, s[10:11]
	global_load_b128 v[12:15], v[6:7], off
	s_wait_loadcnt 0x0
	s_wait_xcnt 0x0
	v_sub_nc_u64_e64 v[6:7], v[14:15], s[2:3]
	v_add_nc_u64_e32 v[8:9], v[12:13], v[4:5]
	s_delay_alu instid0(VALU_DEP_1)
	v_cmpx_lt_i64_e64 v[8:9], v[6:7]
	s_cbranch_execz .LBB174_9
; %bb.11:                               ;   in Loop: Header=BB174_10 Depth=1
	v_lshl_add_u64 v[12:13], v[2:3], 2, s[8:9]
	s_mov_b32 s17, 0
	global_load_b32 v1, v[12:13], off
	s_wait_loadcnt 0x0
	v_mul_f32_e32 v1, s21, v1
	s_branch .LBB174_14
.LBB174_12:                             ;   in Loop: Header=BB174_14 Depth=2
	s_or_b32 exec_lo, exec_lo, s19
.LBB174_13:                             ;   in Loop: Header=BB174_14 Depth=2
	s_delay_alu instid0(SALU_CYCLE_1) | instskip(SKIP_3) | instid1(VALU_DEP_2)
	s_or_b32 exec_lo, exec_lo, s18
	s_wait_loadcnt 0x0
	v_dual_mul_f32 v12, v1, v12 :: v_dual_lshlrev_b32 v13, 2, v13
	v_add_nc_u64_e32 v[8:9], 64, v[8:9]
	v_add3_u32 v13, 0, v13, 0x10000
	s_delay_alu instid0(VALU_DEP_2) | instskip(SKIP_2) | instid1(SALU_CYCLE_1)
	v_cmp_ge_i64_e32 vcc_lo, v[8:9], v[6:7]
	ds_add_f32 v13, v12
	s_or_b32 s17, vcc_lo, s17
	s_and_not1_b32 exec_lo, exec_lo, s17
	s_cbranch_execz .LBB174_9
.LBB174_14:                             ;   Parent Loop BB174_10 Depth=1
                                        ; =>  This Loop Header: Depth=2
                                        ;       Child Loop BB174_17 Depth 3
	s_wait_xcnt 0x0
	v_lshlrev_b64_e32 v[12:13], 2, v[8:9]
	s_mov_b32 s18, exec_lo
	s_delay_alu instid0(VALU_DEP_1)
	v_add_nc_u64_e32 v[14:15], s[12:13], v[12:13]
	v_add_nc_u64_e32 v[12:13], s[14:15], v[12:13]
	global_load_b32 v14, v[14:15], off
	global_load_b32 v12, v[12:13], off
	s_wait_loadcnt 0x1
	s_wait_xcnt 0x1
	v_subrev_nc_u32_e32 v14, s45, v14
	s_wait_xcnt 0x0
	s_delay_alu instid0(VALU_DEP_1) | instskip(NEXT) | instid1(VALU_DEP_1)
	v_mul_lo_u32 v13, 0x89, v14
	v_and_b32_e32 v13, 0x3fff, v13
	s_delay_alu instid0(VALU_DEP_1)
	v_lshl_add_u32 v15, v13, 2, 0
	ds_load_b32 v16, v15
	s_wait_dscnt 0x0
	v_cmpx_ne_u32_e64 v16, v14
	s_cbranch_execz .LBB174_13
; %bb.15:                               ;   in Loop: Header=BB174_14 Depth=2
	s_mov_b32 s19, 0
	s_branch .LBB174_17
.LBB174_16:                             ;   in Loop: Header=BB174_17 Depth=3
	s_or_b32 exec_lo, exec_lo, s25
	s_delay_alu instid0(SALU_CYCLE_1) | instskip(NEXT) | instid1(SALU_CYCLE_1)
	s_and_b32 s23, exec_lo, s24
	s_or_b32 s19, s23, s19
	s_delay_alu instid0(SALU_CYCLE_1)
	s_and_not1_b32 exec_lo, exec_lo, s19
	s_cbranch_execz .LBB174_12
.LBB174_17:                             ;   Parent Loop BB174_10 Depth=1
                                        ;     Parent Loop BB174_14 Depth=2
                                        ; =>    This Inner Loop Header: Depth=3
	s_mov_b32 s23, 0
	s_mov_b32 s24, exec_lo
	v_cmpx_ne_u32_e64 s33, v16
	s_xor_b32 s24, exec_lo, s24
	s_cbranch_execz .LBB174_19
; %bb.18:                               ;   in Loop: Header=BB174_17 Depth=3
	v_add_nc_u32_e32 v13, 1, v13
	s_mov_b32 s23, exec_lo
                                        ; implicit-def: $vgpr15
	s_delay_alu instid0(VALU_DEP_1)
	v_and_b32_e32 v13, 0x3fff, v13
	s_and_not1_saveexec_b32 s24, s24
	s_cbranch_execz .LBB174_21
	s_branch .LBB174_20
.LBB174_19:                             ;   in Loop: Header=BB174_17 Depth=3
	s_and_not1_saveexec_b32 s24, s24
	s_cbranch_execz .LBB174_21
.LBB174_20:                             ;   in Loop: Header=BB174_17 Depth=3
	v_mov_b32_e32 v16, s33
	s_and_not1_b32 s23, s23, exec_lo
	ds_cmpstore_rtn_b32 v15, v15, v14, v16
	s_wait_dscnt 0x0
	v_cmp_ne_u32_e32 vcc_lo, s33, v15
	s_and_b32 s25, vcc_lo, exec_lo
	s_delay_alu instid0(SALU_CYCLE_1)
	s_or_b32 s23, s23, s25
.LBB174_21:                             ;   in Loop: Header=BB174_17 Depth=3
	s_or_b32 exec_lo, exec_lo, s24
	s_mov_b32 s24, -1
                                        ; implicit-def: $vgpr15
                                        ; implicit-def: $vgpr16
	s_and_saveexec_b32 s25, s23
	s_cbranch_execz .LBB174_16
; %bb.22:                               ;   in Loop: Header=BB174_17 Depth=3
	v_lshl_add_u32 v15, v13, 2, 0
	ds_load_b32 v16, v15
	s_wait_dscnt 0x0
	v_cmp_eq_u32_e32 vcc_lo, v16, v14
	s_or_not1_b32 s24, vcc_lo, exec_lo
	s_branch .LBB174_16
.LBB174_23:
	s_or_b32 exec_lo, exec_lo, s4
.LBB174_24:
	s_delay_alu instid0(SALU_CYCLE_1)
	s_and_not1_b32 vcc_lo, exec_lo, s22
	s_cbranch_vccnz .LBB174_27
; %bb.25:
	s_wait_kmcnt 0x0
	s_ashr_i32 s49, s48, 31
	v_mov_b32_e32 v1, 0
	s_lshl_b64 s[0:1], s[48:49], 3
	s_delay_alu instid0(SALU_CYCLE_1) | instskip(SKIP_4) | instid1(SALU_CYCLE_1)
	s_add_nc_u64 s[0:1], s[36:37], s[0:1]
	s_load_b128 s[4:7], s[0:1], 0x0
	s_wait_xcnt 0x0
	s_mov_b32 s1, 0
	s_mov_b32 s0, s47
	v_sub_nc_u64_e64 v[2:3], v[0:1], s[0:1]
	s_wait_kmcnt 0x0
	s_delay_alu instid0(VALU_DEP_1) | instskip(SKIP_2) | instid1(VALU_DEP_1)
	v_add_nc_u64_e32 v[2:3], s[4:5], v[2:3]
	s_sub_nc_u64 s[2:3], s[6:7], s[0:1]
	s_mov_b32 s0, exec_lo
	v_cmpx_gt_i64_e64 s[2:3], v[2:3]
	s_cbranch_execnz .LBB174_97
.LBB174_26:
	s_or_b32 exec_lo, exec_lo, s0
.LBB174_27:
	v_mbcnt_lo_u32_b32 v1, -1, 0
	v_lshrrev_b32_e32 v2, 3, v0
	s_wait_xcnt 0x0
	v_cmp_lt_u32_e64 s0, 31, v0
	v_cmp_lt_u32_e64 s1, 63, v0
	;; [unrolled: 1-line block ×3, first 2 shown]
	v_xor_b32_e32 v3, 31, v1
	v_and_b32_e32 v4, 0x7c, v2
	v_mov_b32_e32 v1, 0
	v_cmp_lt_u32_e64 s3, 0x7f, v0
	v_cmp_lt_u32_e64 s4, 0x9f, v0
	v_lshrrev_b32_e64 v2, v3, -1
	v_add3_u32 v3, 0x20000, 0, v4
	v_cmp_lt_u32_e64 s5, 0xbf, v0
	v_cmp_lt_u32_e64 s6, 0xdf, v0
	;; [unrolled: 1-line block ×26, first 2 shown]
	s_mov_b32 s36, 0
	s_add_co_i32 s37, 0, 0x20000
	s_add_co_i32 s38, 0, 0x20004
	;; [unrolled: 1-line block ×32, first 2 shown]
	s_wait_dscnt 0x0
	s_barrier_signal -1
	s_barrier_wait -1
	v_cmp_eq_u32_e32 vcc_lo, 0x3ff, v0
	s_branch .LBB174_29
.LBB174_28:                             ;   in Loop: Header=BB174_29 Depth=1
	s_or_b32 exec_lo, exec_lo, s31
	v_dual_mov_b32 v4, s72 :: v_dual_add_nc_u32 v11, 0x400, v11
	s_wait_dscnt 0x0
	s_barrier_signal -1
	s_barrier_wait -1
	ds_load_b32 v4, v4
	v_cmp_lt_u32_e64 s31, 0x3bff, v11
	v_add_nc_u32_e32 v10, 0x1000, v10
	s_or_b32 s36, s31, s36
	s_wait_dscnt 0x0
	v_add_nc_u32_e32 v1, v4, v1
	s_and_not1_b32 exec_lo, exec_lo, s36
	s_cbranch_execz .LBB174_106
.LBB174_29:                             ; =>This Inner Loop Header: Depth=1
	ds_load_b32 v4, v10
	v_add_nc_u32_e32 v5, 0x10000, v10
	ds_load_b32 v5, v5
	s_wait_dscnt 0x0
	s_barrier_signal -1
	s_barrier_wait -1
	v_cmp_gt_i32_e64 s31, s33, v4
	s_bcnt1_i32_b32 s73, s31
	s_delay_alu instid0(SALU_CYCLE_1) | instskip(NEXT) | instid1(VALU_DEP_1)
	v_dual_mov_b32 v7, s73 :: v_dual_bitop2_b32 v6, s31, v2 bitop3:0x40
	v_bcnt_u32_b32 v6, v6, 0
	ds_store_b32 v3, v7
	s_wait_dscnt 0x0
	s_barrier_signal -1
	s_barrier_wait -1
	s_and_saveexec_b32 s73, s0
	s_cbranch_execz .LBB174_62
; %bb.30:                               ;   in Loop: Header=BB174_29 Depth=1
	v_mov_b32_e32 v7, s37
	ds_load_b32 v7, v7
	s_wait_dscnt 0x0
	v_add_nc_u32_e32 v6, v7, v6
	s_or_b32 exec_lo, exec_lo, s73
	s_and_saveexec_b32 s73, s1
	s_cbranch_execnz .LBB174_63
.LBB174_31:                             ;   in Loop: Header=BB174_29 Depth=1
	s_or_b32 exec_lo, exec_lo, s73
	s_and_saveexec_b32 s73, s2
	s_cbranch_execz .LBB174_64
.LBB174_32:                             ;   in Loop: Header=BB174_29 Depth=1
	v_mov_b32_e32 v7, s39
	ds_load_b32 v7, v7
	s_wait_dscnt 0x0
	v_add_nc_u32_e32 v6, v7, v6
	s_or_b32 exec_lo, exec_lo, s73
	s_and_saveexec_b32 s73, s3
	s_cbranch_execnz .LBB174_65
.LBB174_33:                             ;   in Loop: Header=BB174_29 Depth=1
	s_or_b32 exec_lo, exec_lo, s73
	s_and_saveexec_b32 s73, s4
	s_cbranch_execz .LBB174_66
.LBB174_34:                             ;   in Loop: Header=BB174_29 Depth=1
	v_mov_b32_e32 v7, s41
	ds_load_b32 v7, v7
	s_wait_dscnt 0x0
	v_add_nc_u32_e32 v6, v7, v6
	s_or_b32 exec_lo, exec_lo, s73
	s_and_saveexec_b32 s73, s5
	s_cbranch_execnz .LBB174_67
.LBB174_35:                             ;   in Loop: Header=BB174_29 Depth=1
	s_or_b32 exec_lo, exec_lo, s73
	s_and_saveexec_b32 s73, s6
	s_cbranch_execz .LBB174_68
.LBB174_36:                             ;   in Loop: Header=BB174_29 Depth=1
	v_mov_b32_e32 v7, s45
	ds_load_b32 v7, v7
	s_wait_dscnt 0x0
	v_add_nc_u32_e32 v6, v7, v6
	s_or_b32 exec_lo, exec_lo, s73
	s_and_saveexec_b32 s73, s7
	s_cbranch_execnz .LBB174_69
.LBB174_37:                             ;   in Loop: Header=BB174_29 Depth=1
	s_or_b32 exec_lo, exec_lo, s73
	s_and_saveexec_b32 s73, s8
	s_cbranch_execz .LBB174_70
.LBB174_38:                             ;   in Loop: Header=BB174_29 Depth=1
	v_mov_b32_e32 v7, s49
	ds_load_b32 v7, v7
	s_wait_dscnt 0x0
	v_add_nc_u32_e32 v6, v7, v6
	s_or_b32 exec_lo, exec_lo, s73
	s_and_saveexec_b32 s73, s9
	s_cbranch_execnz .LBB174_71
.LBB174_39:                             ;   in Loop: Header=BB174_29 Depth=1
	s_or_b32 exec_lo, exec_lo, s73
	s_and_saveexec_b32 s73, s10
	s_cbranch_execz .LBB174_72
.LBB174_40:                             ;   in Loop: Header=BB174_29 Depth=1
	v_mov_b32_e32 v7, s51
	ds_load_b32 v7, v7
	s_wait_dscnt 0x0
	v_add_nc_u32_e32 v6, v7, v6
	s_or_b32 exec_lo, exec_lo, s73
	s_and_saveexec_b32 s73, s11
	s_cbranch_execnz .LBB174_73
.LBB174_41:                             ;   in Loop: Header=BB174_29 Depth=1
	s_or_b32 exec_lo, exec_lo, s73
	s_and_saveexec_b32 s73, s12
	s_cbranch_execz .LBB174_74
.LBB174_42:                             ;   in Loop: Header=BB174_29 Depth=1
	v_mov_b32_e32 v7, s53
	ds_load_b32 v7, v7
	s_wait_dscnt 0x0
	v_add_nc_u32_e32 v6, v7, v6
	s_or_b32 exec_lo, exec_lo, s73
	s_and_saveexec_b32 s73, s13
	s_cbranch_execnz .LBB174_75
.LBB174_43:                             ;   in Loop: Header=BB174_29 Depth=1
	s_or_b32 exec_lo, exec_lo, s73
	s_and_saveexec_b32 s73, s14
	s_cbranch_execz .LBB174_76
.LBB174_44:                             ;   in Loop: Header=BB174_29 Depth=1
	v_mov_b32_e32 v7, s55
	ds_load_b32 v7, v7
	s_wait_dscnt 0x0
	v_add_nc_u32_e32 v6, v7, v6
	s_or_b32 exec_lo, exec_lo, s73
	s_and_saveexec_b32 s73, s15
	s_cbranch_execnz .LBB174_77
.LBB174_45:                             ;   in Loop: Header=BB174_29 Depth=1
	s_or_b32 exec_lo, exec_lo, s73
	s_and_saveexec_b32 s73, s16
	s_cbranch_execz .LBB174_78
.LBB174_46:                             ;   in Loop: Header=BB174_29 Depth=1
	v_mov_b32_e32 v7, s57
	ds_load_b32 v7, v7
	s_wait_dscnt 0x0
	v_add_nc_u32_e32 v6, v7, v6
	s_or_b32 exec_lo, exec_lo, s73
	s_and_saveexec_b32 s73, s17
	s_cbranch_execnz .LBB174_79
.LBB174_47:                             ;   in Loop: Header=BB174_29 Depth=1
	s_or_b32 exec_lo, exec_lo, s73
	s_and_saveexec_b32 s73, s18
	s_cbranch_execz .LBB174_80
.LBB174_48:                             ;   in Loop: Header=BB174_29 Depth=1
	v_mov_b32_e32 v7, s59
	ds_load_b32 v7, v7
	s_wait_dscnt 0x0
	v_add_nc_u32_e32 v6, v7, v6
	s_or_b32 exec_lo, exec_lo, s73
	s_and_saveexec_b32 s73, s19
	s_cbranch_execnz .LBB174_81
.LBB174_49:                             ;   in Loop: Header=BB174_29 Depth=1
	s_or_b32 exec_lo, exec_lo, s73
	s_and_saveexec_b32 s73, s20
	s_cbranch_execz .LBB174_82
.LBB174_50:                             ;   in Loop: Header=BB174_29 Depth=1
	v_mov_b32_e32 v7, s61
	ds_load_b32 v7, v7
	s_wait_dscnt 0x0
	v_add_nc_u32_e32 v6, v7, v6
	s_or_b32 exec_lo, exec_lo, s73
	s_and_saveexec_b32 s73, s21
	s_cbranch_execnz .LBB174_83
.LBB174_51:                             ;   in Loop: Header=BB174_29 Depth=1
	s_or_b32 exec_lo, exec_lo, s73
	s_and_saveexec_b32 s73, s22
	s_cbranch_execz .LBB174_84
.LBB174_52:                             ;   in Loop: Header=BB174_29 Depth=1
	v_mov_b32_e32 v7, s63
	ds_load_b32 v7, v7
	s_wait_dscnt 0x0
	v_add_nc_u32_e32 v6, v7, v6
	s_or_b32 exec_lo, exec_lo, s73
	s_and_saveexec_b32 s73, s23
	s_cbranch_execnz .LBB174_85
.LBB174_53:                             ;   in Loop: Header=BB174_29 Depth=1
	s_or_b32 exec_lo, exec_lo, s73
	s_and_saveexec_b32 s73, s24
	s_cbranch_execz .LBB174_86
.LBB174_54:                             ;   in Loop: Header=BB174_29 Depth=1
	v_mov_b32_e32 v7, s65
	ds_load_b32 v7, v7
	s_wait_dscnt 0x0
	v_add_nc_u32_e32 v6, v7, v6
	s_or_b32 exec_lo, exec_lo, s73
	s_and_saveexec_b32 s73, s25
	s_cbranch_execnz .LBB174_87
.LBB174_55:                             ;   in Loop: Header=BB174_29 Depth=1
	s_or_b32 exec_lo, exec_lo, s73
	s_and_saveexec_b32 s73, s26
	s_cbranch_execz .LBB174_88
.LBB174_56:                             ;   in Loop: Header=BB174_29 Depth=1
	v_mov_b32_e32 v7, s67
	ds_load_b32 v7, v7
	s_wait_dscnt 0x0
	v_add_nc_u32_e32 v6, v7, v6
	s_or_b32 exec_lo, exec_lo, s73
	s_and_saveexec_b32 s73, s27
	s_cbranch_execnz .LBB174_89
.LBB174_57:                             ;   in Loop: Header=BB174_29 Depth=1
	s_or_b32 exec_lo, exec_lo, s73
	s_and_saveexec_b32 s73, s28
	s_cbranch_execz .LBB174_90
.LBB174_58:                             ;   in Loop: Header=BB174_29 Depth=1
	v_mov_b32_e32 v7, s69
	ds_load_b32 v7, v7
	s_wait_dscnt 0x0
	v_add_nc_u32_e32 v6, v7, v6
	s_or_b32 exec_lo, exec_lo, s73
	s_and_saveexec_b32 s73, s29
	s_cbranch_execnz .LBB174_91
.LBB174_59:                             ;   in Loop: Header=BB174_29 Depth=1
	s_or_b32 exec_lo, exec_lo, s73
	s_and_saveexec_b32 s73, s30
	s_cbranch_execz .LBB174_92
.LBB174_60:                             ;   in Loop: Header=BB174_29 Depth=1
	v_mov_b32_e32 v7, s71
	ds_load_b32 v7, v7
	s_wait_dscnt 0x0
	v_add_nc_u32_e32 v6, v7, v6
	s_or_b32 exec_lo, exec_lo, s73
	s_and_saveexec_b32 s73, s31
	s_cbranch_execnz .LBB174_93
.LBB174_61:                             ;   in Loop: Header=BB174_29 Depth=1
	s_or_b32 exec_lo, exec_lo, s73
	s_and_saveexec_b32 s31, vcc_lo
	s_cbranch_execz .LBB174_28
	s_branch .LBB174_94
.LBB174_62:                             ;   in Loop: Header=BB174_29 Depth=1
	s_or_b32 exec_lo, exec_lo, s73
	s_and_saveexec_b32 s73, s1
	s_cbranch_execz .LBB174_31
.LBB174_63:                             ;   in Loop: Header=BB174_29 Depth=1
	v_mov_b32_e32 v7, s38
	ds_load_b32 v7, v7
	s_wait_dscnt 0x0
	v_add_nc_u32_e32 v6, v7, v6
	s_or_b32 exec_lo, exec_lo, s73
	s_and_saveexec_b32 s73, s2
	s_cbranch_execnz .LBB174_32
.LBB174_64:                             ;   in Loop: Header=BB174_29 Depth=1
	s_or_b32 exec_lo, exec_lo, s73
	s_and_saveexec_b32 s73, s3
	s_cbranch_execz .LBB174_33
.LBB174_65:                             ;   in Loop: Header=BB174_29 Depth=1
	v_mov_b32_e32 v7, s40
	ds_load_b32 v7, v7
	s_wait_dscnt 0x0
	v_add_nc_u32_e32 v6, v7, v6
	s_or_b32 exec_lo, exec_lo, s73
	s_and_saveexec_b32 s73, s4
	s_cbranch_execnz .LBB174_34
.LBB174_66:                             ;   in Loop: Header=BB174_29 Depth=1
	s_or_b32 exec_lo, exec_lo, s73
	s_and_saveexec_b32 s73, s5
	s_cbranch_execz .LBB174_35
.LBB174_67:                             ;   in Loop: Header=BB174_29 Depth=1
	v_mov_b32_e32 v7, s44
	ds_load_b32 v7, v7
	s_wait_dscnt 0x0
	v_add_nc_u32_e32 v6, v7, v6
	s_or_b32 exec_lo, exec_lo, s73
	s_and_saveexec_b32 s73, s6
	s_cbranch_execnz .LBB174_36
.LBB174_68:                             ;   in Loop: Header=BB174_29 Depth=1
	s_or_b32 exec_lo, exec_lo, s73
	s_and_saveexec_b32 s73, s7
	s_cbranch_execz .LBB174_37
.LBB174_69:                             ;   in Loop: Header=BB174_29 Depth=1
	v_mov_b32_e32 v7, s47
	ds_load_b32 v7, v7
	s_wait_dscnt 0x0
	v_add_nc_u32_e32 v6, v7, v6
	s_or_b32 exec_lo, exec_lo, s73
	s_and_saveexec_b32 s73, s8
	s_cbranch_execnz .LBB174_38
.LBB174_70:                             ;   in Loop: Header=BB174_29 Depth=1
	s_or_b32 exec_lo, exec_lo, s73
	s_and_saveexec_b32 s73, s9
	s_cbranch_execz .LBB174_39
.LBB174_71:                             ;   in Loop: Header=BB174_29 Depth=1
	v_mov_b32_e32 v7, s50
	ds_load_b32 v7, v7
	s_wait_dscnt 0x0
	v_add_nc_u32_e32 v6, v7, v6
	s_or_b32 exec_lo, exec_lo, s73
	s_and_saveexec_b32 s73, s10
	s_cbranch_execnz .LBB174_40
.LBB174_72:                             ;   in Loop: Header=BB174_29 Depth=1
	s_or_b32 exec_lo, exec_lo, s73
	s_and_saveexec_b32 s73, s11
	s_cbranch_execz .LBB174_41
.LBB174_73:                             ;   in Loop: Header=BB174_29 Depth=1
	v_mov_b32_e32 v7, s52
	ds_load_b32 v7, v7
	s_wait_dscnt 0x0
	v_add_nc_u32_e32 v6, v7, v6
	s_or_b32 exec_lo, exec_lo, s73
	s_and_saveexec_b32 s73, s12
	s_cbranch_execnz .LBB174_42
.LBB174_74:                             ;   in Loop: Header=BB174_29 Depth=1
	s_or_b32 exec_lo, exec_lo, s73
	s_and_saveexec_b32 s73, s13
	s_cbranch_execz .LBB174_43
.LBB174_75:                             ;   in Loop: Header=BB174_29 Depth=1
	v_mov_b32_e32 v7, s54
	ds_load_b32 v7, v7
	s_wait_dscnt 0x0
	v_add_nc_u32_e32 v6, v7, v6
	s_or_b32 exec_lo, exec_lo, s73
	s_and_saveexec_b32 s73, s14
	s_cbranch_execnz .LBB174_44
.LBB174_76:                             ;   in Loop: Header=BB174_29 Depth=1
	s_or_b32 exec_lo, exec_lo, s73
	s_and_saveexec_b32 s73, s15
	s_cbranch_execz .LBB174_45
.LBB174_77:                             ;   in Loop: Header=BB174_29 Depth=1
	v_mov_b32_e32 v7, s56
	ds_load_b32 v7, v7
	s_wait_dscnt 0x0
	v_add_nc_u32_e32 v6, v7, v6
	s_or_b32 exec_lo, exec_lo, s73
	s_and_saveexec_b32 s73, s16
	s_cbranch_execnz .LBB174_46
.LBB174_78:                             ;   in Loop: Header=BB174_29 Depth=1
	s_or_b32 exec_lo, exec_lo, s73
	s_and_saveexec_b32 s73, s17
	s_cbranch_execz .LBB174_47
.LBB174_79:                             ;   in Loop: Header=BB174_29 Depth=1
	v_mov_b32_e32 v7, s58
	ds_load_b32 v7, v7
	s_wait_dscnt 0x0
	v_add_nc_u32_e32 v6, v7, v6
	s_or_b32 exec_lo, exec_lo, s73
	s_and_saveexec_b32 s73, s18
	s_cbranch_execnz .LBB174_48
.LBB174_80:                             ;   in Loop: Header=BB174_29 Depth=1
	s_or_b32 exec_lo, exec_lo, s73
	s_and_saveexec_b32 s73, s19
	s_cbranch_execz .LBB174_49
.LBB174_81:                             ;   in Loop: Header=BB174_29 Depth=1
	v_mov_b32_e32 v7, s60
	ds_load_b32 v7, v7
	s_wait_dscnt 0x0
	v_add_nc_u32_e32 v6, v7, v6
	s_or_b32 exec_lo, exec_lo, s73
	s_and_saveexec_b32 s73, s20
	s_cbranch_execnz .LBB174_50
.LBB174_82:                             ;   in Loop: Header=BB174_29 Depth=1
	s_or_b32 exec_lo, exec_lo, s73
	s_and_saveexec_b32 s73, s21
	s_cbranch_execz .LBB174_51
.LBB174_83:                             ;   in Loop: Header=BB174_29 Depth=1
	v_mov_b32_e32 v7, s62
	ds_load_b32 v7, v7
	s_wait_dscnt 0x0
	v_add_nc_u32_e32 v6, v7, v6
	s_or_b32 exec_lo, exec_lo, s73
	s_and_saveexec_b32 s73, s22
	s_cbranch_execnz .LBB174_52
.LBB174_84:                             ;   in Loop: Header=BB174_29 Depth=1
	s_or_b32 exec_lo, exec_lo, s73
	s_and_saveexec_b32 s73, s23
	s_cbranch_execz .LBB174_53
.LBB174_85:                             ;   in Loop: Header=BB174_29 Depth=1
	v_mov_b32_e32 v7, s64
	ds_load_b32 v7, v7
	s_wait_dscnt 0x0
	v_add_nc_u32_e32 v6, v7, v6
	s_or_b32 exec_lo, exec_lo, s73
	s_and_saveexec_b32 s73, s24
	s_cbranch_execnz .LBB174_54
.LBB174_86:                             ;   in Loop: Header=BB174_29 Depth=1
	s_or_b32 exec_lo, exec_lo, s73
	s_and_saveexec_b32 s73, s25
	s_cbranch_execz .LBB174_55
.LBB174_87:                             ;   in Loop: Header=BB174_29 Depth=1
	v_mov_b32_e32 v7, s66
	ds_load_b32 v7, v7
	s_wait_dscnt 0x0
	v_add_nc_u32_e32 v6, v7, v6
	s_or_b32 exec_lo, exec_lo, s73
	s_and_saveexec_b32 s73, s26
	s_cbranch_execnz .LBB174_56
.LBB174_88:                             ;   in Loop: Header=BB174_29 Depth=1
	s_or_b32 exec_lo, exec_lo, s73
	s_and_saveexec_b32 s73, s27
	s_cbranch_execz .LBB174_57
.LBB174_89:                             ;   in Loop: Header=BB174_29 Depth=1
	v_mov_b32_e32 v7, s68
	ds_load_b32 v7, v7
	s_wait_dscnt 0x0
	v_add_nc_u32_e32 v6, v7, v6
	s_or_b32 exec_lo, exec_lo, s73
	s_and_saveexec_b32 s73, s28
	s_cbranch_execnz .LBB174_58
.LBB174_90:                             ;   in Loop: Header=BB174_29 Depth=1
	s_or_b32 exec_lo, exec_lo, s73
	s_and_saveexec_b32 s73, s29
	s_cbranch_execz .LBB174_59
.LBB174_91:                             ;   in Loop: Header=BB174_29 Depth=1
	v_mov_b32_e32 v7, s70
	ds_load_b32 v7, v7
	s_wait_dscnt 0x0
	v_add_nc_u32_e32 v6, v7, v6
	s_or_b32 exec_lo, exec_lo, s73
	s_and_saveexec_b32 s73, s30
	s_cbranch_execnz .LBB174_60
.LBB174_92:                             ;   in Loop: Header=BB174_29 Depth=1
	s_or_b32 exec_lo, exec_lo, s73
	s_and_saveexec_b32 s73, s31
	s_cbranch_execz .LBB174_61
.LBB174_93:                             ;   in Loop: Header=BB174_29 Depth=1
	s_delay_alu instid0(VALU_DEP_1) | instskip(SKIP_1) | instid1(VALU_DEP_2)
	v_add3_u32 v7, v1, -1, v6
	v_add_nc_u32_e32 v8, v1, v6
	v_lshl_add_u32 v7, v7, 2, 0
	s_delay_alu instid0(VALU_DEP_2)
	v_lshl_add_u32 v8, v8, 2, 0
	ds_store_b32 v7, v4
	ds_store_b32 v8, v5 offset:65532
	s_or_b32 exec_lo, exec_lo, s73
	s_and_saveexec_b32 s31, vcc_lo
	s_cbranch_execz .LBB174_28
.LBB174_94:                             ;   in Loop: Header=BB174_29 Depth=1
	v_mov_b32_e32 v4, s72
	ds_store_b32 v4, v6
	s_branch .LBB174_28
.LBB174_95:                             ;   in Loop: Header=BB174_97 Depth=1
	s_or_b32 exec_lo, exec_lo, s5
.LBB174_96:                             ;   in Loop: Header=BB174_97 Depth=1
	s_delay_alu instid0(SALU_CYCLE_1) | instskip(SKIP_3) | instid1(VALU_DEP_2)
	s_or_b32 exec_lo, exec_lo, s4
	s_wait_loadcnt 0x0
	v_dual_mul_f32 v1, s20, v1 :: v_dual_lshlrev_b32 v4, 2, v4
	v_add_nc_u64_e32 v[2:3], 0x400, v[2:3]
	v_add3_u32 v4, 0, v4, 0x10000
	s_delay_alu instid0(VALU_DEP_2) | instskip(SKIP_2) | instid1(SALU_CYCLE_1)
	v_cmp_le_i64_e32 vcc_lo, s[2:3], v[2:3]
	ds_add_f32 v4, v1
	s_or_b32 s1, vcc_lo, s1
	s_and_not1_b32 exec_lo, exec_lo, s1
	s_cbranch_execz .LBB174_26
.LBB174_97:                             ; =>This Loop Header: Depth=1
                                        ;     Child Loop BB174_100 Depth 2
	v_lshlrev_b64_e32 v[4:5], 2, v[2:3]
	s_mov_b32 s4, exec_lo
	s_delay_alu instid0(VALU_DEP_1)
	v_add_nc_u64_e32 v[6:7], s[38:39], v[4:5]
	v_add_nc_u64_e32 v[4:5], s[40:41], v[4:5]
	global_load_b32 v6, v[6:7], off
	global_load_b32 v1, v[4:5], off
	s_wait_loadcnt 0x1
	s_wait_xcnt 0x0
	v_subrev_nc_u32_e32 v5, s47, v6
	s_delay_alu instid0(VALU_DEP_1) | instskip(NEXT) | instid1(VALU_DEP_1)
	v_mul_lo_u32 v4, 0x89, v5
	v_and_b32_e32 v4, 0x3fff, v4
	s_delay_alu instid0(VALU_DEP_1)
	v_lshl_add_u32 v6, v4, 2, 0
	ds_load_b32 v7, v6
	s_wait_dscnt 0x0
	v_cmpx_ne_u32_e64 v7, v5
	s_cbranch_execz .LBB174_96
; %bb.98:                               ;   in Loop: Header=BB174_97 Depth=1
	s_mov_b32 s5, 0
	s_branch .LBB174_100
.LBB174_99:                             ;   in Loop: Header=BB174_100 Depth=2
	s_or_b32 exec_lo, exec_lo, s8
	s_delay_alu instid0(SALU_CYCLE_1) | instskip(NEXT) | instid1(SALU_CYCLE_1)
	s_and_b32 s6, exec_lo, s7
	s_or_b32 s5, s6, s5
	s_delay_alu instid0(SALU_CYCLE_1)
	s_and_not1_b32 exec_lo, exec_lo, s5
	s_cbranch_execz .LBB174_95
.LBB174_100:                            ;   Parent Loop BB174_97 Depth=1
                                        ; =>  This Inner Loop Header: Depth=2
	s_mov_b32 s6, 0
	s_mov_b32 s7, exec_lo
	v_cmpx_ne_u32_e64 s33, v7
	s_xor_b32 s7, exec_lo, s7
	s_cbranch_execz .LBB174_102
; %bb.101:                              ;   in Loop: Header=BB174_100 Depth=2
	v_add_nc_u32_e32 v4, 1, v4
	s_mov_b32 s6, exec_lo
                                        ; implicit-def: $vgpr6
	s_delay_alu instid0(VALU_DEP_1)
	v_and_b32_e32 v4, 0x3fff, v4
	s_and_not1_saveexec_b32 s7, s7
	s_cbranch_execz .LBB174_104
	s_branch .LBB174_103
.LBB174_102:                            ;   in Loop: Header=BB174_100 Depth=2
	s_and_not1_saveexec_b32 s7, s7
	s_cbranch_execz .LBB174_104
.LBB174_103:                            ;   in Loop: Header=BB174_100 Depth=2
	v_mov_b32_e32 v7, s33
	s_and_not1_b32 s6, s6, exec_lo
	ds_cmpstore_rtn_b32 v6, v6, v5, v7
	s_wait_dscnt 0x0
	v_cmp_ne_u32_e32 vcc_lo, s33, v6
	s_and_b32 s8, vcc_lo, exec_lo
	s_delay_alu instid0(SALU_CYCLE_1)
	s_or_b32 s6, s6, s8
.LBB174_104:                            ;   in Loop: Header=BB174_100 Depth=2
	s_or_b32 exec_lo, exec_lo, s7
	s_mov_b32 s7, -1
                                        ; implicit-def: $vgpr6
                                        ; implicit-def: $vgpr7
	s_and_saveexec_b32 s8, s6
	s_cbranch_execz .LBB174_99
; %bb.105:                              ;   in Loop: Header=BB174_100 Depth=2
	v_lshl_add_u32 v6, v4, 2, 0
	ds_load_b32 v7, v6
	s_wait_dscnt 0x0
	v_cmp_eq_u32_e32 vcc_lo, v7, v5
	s_or_not1_b32 s7, vcc_lo, exec_lo
	s_branch .LBB174_99
.LBB174_106:
	s_or_b32 exec_lo, exec_lo, s36
	s_wait_kmcnt 0x0
	s_ashr_i32 s49, s48, 31
	s_delay_alu instid0(SALU_CYCLE_1) | instskip(NEXT) | instid1(SALU_CYCLE_1)
	s_lshl_b64 s[0:1], s[48:49], 3
	s_add_nc_u64 s[4:5], s[42:43], s[0:1]
	s_load_b128 s[0:3], s[4:5], 0x0
	s_wait_xcnt 0x0
	s_mov_b32 s4, exec_lo
	s_wait_kmcnt 0x0
	s_sub_co_i32 s3, s2, s0
	s_delay_alu instid0(SALU_CYCLE_1)
	v_cmpx_gt_i32_e64 s3, v0
	s_cbranch_execz .LBB174_116
; %bb.107:
	s_sub_co_i32 s4, s0, s2
	s_and_b32 s2, s3, 7
	s_cmp_lt_u32 s4, -7
	s_mov_b32 s47, 0
	s_cselect_b32 s4, -1, 0
	s_and_b32 s5, s3, -8
	s_cmp_lg_u32 s2, 0
	s_sub_nc_u64 s[0:1], s[0:1], s[46:47]
	s_cselect_b32 s6, -1, 0
	s_mov_b32 s7, 0
	s_branch .LBB174_109
.LBB174_108:                            ;   in Loop: Header=BB174_109 Depth=1
	v_add_nc_u32_e32 v0, 0x400, v0
	s_delay_alu instid0(VALU_DEP_2) | instskip(NEXT) | instid1(VALU_DEP_2)
	v_lshl_add_u64 v[2:3], v[2:3], 2, s[34:35]
	v_cmp_le_i32_e32 vcc_lo, s3, v0
	s_wait_dscnt 0x0
	global_store_b32 v[2:3], v1, off
	s_or_b32 s7, vcc_lo, s7
	s_wait_xcnt 0x0
	s_and_not1_b32 exec_lo, exec_lo, s7
	s_cbranch_execz .LBB174_116
.LBB174_109:                            ; =>This Loop Header: Depth=1
                                        ;     Child Loop BB174_111 Depth 2
                                        ;     Child Loop BB174_115 Depth 2
	v_lshl_add_u32 v1, v0, 2, 0
	s_and_not1_b32 vcc_lo, exec_lo, s4
	s_mov_b32 s8, 0
	s_delay_alu instid0(VALU_DEP_1)
	v_add_nc_u32_e32 v2, 0x10000, v1
	ds_load_b32 v4, v1
	ds_load_b32 v1, v2
	v_mov_b64_e32 v[2:3], s[0:1]
	s_cbranch_vccnz .LBB174_113
; %bb.110:                              ;   in Loop: Header=BB174_109 Depth=1
	v_mov_b64_e32 v[2:3], s[0:1]
	s_mov_b32 s9, 0
.LBB174_111:                            ;   Parent Loop BB174_109 Depth=1
                                        ; =>  This Inner Loop Header: Depth=2
	s_delay_alu instid0(SALU_CYCLE_1)
	v_dual_mov_b32 v5, s9 :: v_dual_mov_b32 v11, s47
	v_mov_b32_e32 v17, s47
	s_add_co_i32 s8, s8, 8
	s_add_co_i32 s9, s9, 32
	ds_load_2addr_b32 v[6:7], v5 offset1:1
	ds_load_2addr_b32 v[8:9], v5 offset0:2 offset1:3
	ds_load_2addr_b32 v[12:13], v5 offset0:4 offset1:5
	;; [unrolled: 1-line block ×3, first 2 shown]
	s_cmp_eq_u32 s5, s8
	s_wait_dscnt 0x3
	v_cmp_gt_i32_e32 vcc_lo, v4, v6
	v_cndmask_b32_e64 v10, 0, 1, vcc_lo
	v_cmp_gt_i32_e32 vcc_lo, v4, v7
	v_mov_b32_e32 v7, s47
	s_delay_alu instid0(VALU_DEP_3) | instskip(SKIP_4) | instid1(VALU_DEP_3)
	v_add_nc_u64_e32 v[2:3], v[2:3], v[10:11]
	v_cndmask_b32_e64 v16, 0, 1, vcc_lo
	s_wait_dscnt 0x2
	v_cmp_gt_i32_e32 vcc_lo, v4, v8
	v_cndmask_b32_e64 v6, 0, 1, vcc_lo
	v_add_nc_u64_e32 v[2:3], v[2:3], v[16:17]
	v_cmp_gt_i32_e32 vcc_lo, v4, v9
	v_mov_b32_e32 v9, s47
	v_cndmask_b32_e64 v10, 0, 1, vcc_lo
	s_delay_alu instid0(VALU_DEP_4) | instskip(SKIP_3) | instid1(VALU_DEP_3)
	v_add_nc_u64_e32 v[2:3], v[2:3], v[6:7]
	s_wait_dscnt 0x1
	v_cmp_gt_i32_e32 vcc_lo, v4, v12
	v_cndmask_b32_e64 v6, 0, 1, vcc_lo
	v_add_nc_u64_e32 v[2:3], v[2:3], v[10:11]
	v_cmp_gt_i32_e32 vcc_lo, v4, v13
	v_cndmask_b32_e64 v8, 0, 1, vcc_lo
	s_delay_alu instid0(VALU_DEP_3) | instskip(SKIP_3) | instid1(VALU_DEP_3)
	v_add_nc_u64_e32 v[2:3], v[2:3], v[6:7]
	s_wait_dscnt 0x0
	v_cmp_gt_i32_e32 vcc_lo, v4, v14
	v_cndmask_b32_e64 v6, 0, 1, vcc_lo
	v_add_nc_u64_e32 v[2:3], v[2:3], v[8:9]
	v_cmp_gt_i32_e32 vcc_lo, v4, v15
	v_cndmask_b32_e64 v8, 0, 1, vcc_lo
	s_delay_alu instid0(VALU_DEP_3) | instskip(NEXT) | instid1(VALU_DEP_1)
	v_add_nc_u64_e32 v[2:3], v[2:3], v[6:7]
	v_add_nc_u64_e32 v[2:3], v[2:3], v[8:9]
	s_cbranch_scc0 .LBB174_111
; %bb.112:                              ;   in Loop: Header=BB174_109 Depth=1
	s_mov_b32 s8, s5
.LBB174_113:                            ;   in Loop: Header=BB174_109 Depth=1
	s_and_not1_b32 vcc_lo, exec_lo, s6
	s_cbranch_vccnz .LBB174_108
; %bb.114:                              ;   in Loop: Header=BB174_109 Depth=1
	s_lshl_b32 s8, s8, 2
	s_mov_b32 s9, s2
	s_add_co_i32 s8, s8, 0
.LBB174_115:                            ;   Parent Loop BB174_109 Depth=1
                                        ; =>  This Inner Loop Header: Depth=2
	s_delay_alu instid0(SALU_CYCLE_1)
	v_dual_mov_b32 v5, s8 :: v_dual_mov_b32 v7, s47
	s_add_co_i32 s9, s9, -1
	s_add_co_i32 s8, s8, 4
	s_cmp_lg_u32 s9, 0
	ds_load_b32 v5, v5
	s_wait_dscnt 0x0
	v_cmp_gt_i32_e32 vcc_lo, v4, v5
	v_cndmask_b32_e64 v6, 0, 1, vcc_lo
	s_delay_alu instid0(VALU_DEP_1)
	v_add_nc_u64_e32 v[2:3], v[2:3], v[6:7]
	s_cbranch_scc1 .LBB174_115
	s_branch .LBB174_108
.LBB174_116:
	s_endpgm
	.section	.rodata,"a",@progbits
	.p2align	6, 0x0
	.amdhsa_kernel _ZN9rocsparseL41csrgemm_numeric_fill_block_per_row_kernelILj1024ELj64ELj16384ELj137ELj32ElifEEvT5_PKS1_S3_NS_24const_host_device_scalarIT6_EEPKT4_S3_PKS5_S9_S3_SB_S6_S9_S3_SB_S9_S3_PS5_21rocsparse_index_base_SD_SD_SD_bbb
		.amdhsa_group_segment_fixed_size 0
		.amdhsa_private_segment_fixed_size 0
		.amdhsa_kernarg_size 156
		.amdhsa_user_sgpr_count 2
		.amdhsa_user_sgpr_dispatch_ptr 0
		.amdhsa_user_sgpr_queue_ptr 0
		.amdhsa_user_sgpr_kernarg_segment_ptr 1
		.amdhsa_user_sgpr_dispatch_id 0
		.amdhsa_user_sgpr_kernarg_preload_length 0
		.amdhsa_user_sgpr_kernarg_preload_offset 0
		.amdhsa_user_sgpr_private_segment_size 0
		.amdhsa_wavefront_size32 1
		.amdhsa_uses_dynamic_stack 0
		.amdhsa_enable_private_segment 0
		.amdhsa_system_sgpr_workgroup_id_x 1
		.amdhsa_system_sgpr_workgroup_id_y 0
		.amdhsa_system_sgpr_workgroup_id_z 0
		.amdhsa_system_sgpr_workgroup_info 0
		.amdhsa_system_vgpr_workitem_id 0
		.amdhsa_next_free_vgpr 18
		.amdhsa_next_free_sgpr 74
		.amdhsa_named_barrier_count 0
		.amdhsa_reserve_vcc 1
		.amdhsa_float_round_mode_32 0
		.amdhsa_float_round_mode_16_64 0
		.amdhsa_float_denorm_mode_32 3
		.amdhsa_float_denorm_mode_16_64 3
		.amdhsa_fp16_overflow 0
		.amdhsa_memory_ordered 1
		.amdhsa_forward_progress 1
		.amdhsa_inst_pref_size 35
		.amdhsa_round_robin_scheduling 0
		.amdhsa_exception_fp_ieee_invalid_op 0
		.amdhsa_exception_fp_denorm_src 0
		.amdhsa_exception_fp_ieee_div_zero 0
		.amdhsa_exception_fp_ieee_overflow 0
		.amdhsa_exception_fp_ieee_underflow 0
		.amdhsa_exception_fp_ieee_inexact 0
		.amdhsa_exception_int_div_zero 0
	.end_amdhsa_kernel
	.section	.text._ZN9rocsparseL41csrgemm_numeric_fill_block_per_row_kernelILj1024ELj64ELj16384ELj137ELj32ElifEEvT5_PKS1_S3_NS_24const_host_device_scalarIT6_EEPKT4_S3_PKS5_S9_S3_SB_S6_S9_S3_SB_S9_S3_PS5_21rocsparse_index_base_SD_SD_SD_bbb,"axG",@progbits,_ZN9rocsparseL41csrgemm_numeric_fill_block_per_row_kernelILj1024ELj64ELj16384ELj137ELj32ElifEEvT5_PKS1_S3_NS_24const_host_device_scalarIT6_EEPKT4_S3_PKS5_S9_S3_SB_S6_S9_S3_SB_S9_S3_PS5_21rocsparse_index_base_SD_SD_SD_bbb,comdat
.Lfunc_end174:
	.size	_ZN9rocsparseL41csrgemm_numeric_fill_block_per_row_kernelILj1024ELj64ELj16384ELj137ELj32ElifEEvT5_PKS1_S3_NS_24const_host_device_scalarIT6_EEPKT4_S3_PKS5_S9_S3_SB_S6_S9_S3_SB_S9_S3_PS5_21rocsparse_index_base_SD_SD_SD_bbb, .Lfunc_end174-_ZN9rocsparseL41csrgemm_numeric_fill_block_per_row_kernelILj1024ELj64ELj16384ELj137ELj32ElifEEvT5_PKS1_S3_NS_24const_host_device_scalarIT6_EEPKT4_S3_PKS5_S9_S3_SB_S6_S9_S3_SB_S9_S3_PS5_21rocsparse_index_base_SD_SD_SD_bbb
                                        ; -- End function
	.set _ZN9rocsparseL41csrgemm_numeric_fill_block_per_row_kernelILj1024ELj64ELj16384ELj137ELj32ElifEEvT5_PKS1_S3_NS_24const_host_device_scalarIT6_EEPKT4_S3_PKS5_S9_S3_SB_S6_S9_S3_SB_S9_S3_PS5_21rocsparse_index_base_SD_SD_SD_bbb.num_vgpr, 18
	.set _ZN9rocsparseL41csrgemm_numeric_fill_block_per_row_kernelILj1024ELj64ELj16384ELj137ELj32ElifEEvT5_PKS1_S3_NS_24const_host_device_scalarIT6_EEPKT4_S3_PKS5_S9_S3_SB_S6_S9_S3_SB_S9_S3_PS5_21rocsparse_index_base_SD_SD_SD_bbb.num_agpr, 0
	.set _ZN9rocsparseL41csrgemm_numeric_fill_block_per_row_kernelILj1024ELj64ELj16384ELj137ELj32ElifEEvT5_PKS1_S3_NS_24const_host_device_scalarIT6_EEPKT4_S3_PKS5_S9_S3_SB_S6_S9_S3_SB_S9_S3_PS5_21rocsparse_index_base_SD_SD_SD_bbb.numbered_sgpr, 74
	.set _ZN9rocsparseL41csrgemm_numeric_fill_block_per_row_kernelILj1024ELj64ELj16384ELj137ELj32ElifEEvT5_PKS1_S3_NS_24const_host_device_scalarIT6_EEPKT4_S3_PKS5_S9_S3_SB_S6_S9_S3_SB_S9_S3_PS5_21rocsparse_index_base_SD_SD_SD_bbb.num_named_barrier, 0
	.set _ZN9rocsparseL41csrgemm_numeric_fill_block_per_row_kernelILj1024ELj64ELj16384ELj137ELj32ElifEEvT5_PKS1_S3_NS_24const_host_device_scalarIT6_EEPKT4_S3_PKS5_S9_S3_SB_S6_S9_S3_SB_S9_S3_PS5_21rocsparse_index_base_SD_SD_SD_bbb.private_seg_size, 0
	.set _ZN9rocsparseL41csrgemm_numeric_fill_block_per_row_kernelILj1024ELj64ELj16384ELj137ELj32ElifEEvT5_PKS1_S3_NS_24const_host_device_scalarIT6_EEPKT4_S3_PKS5_S9_S3_SB_S6_S9_S3_SB_S9_S3_PS5_21rocsparse_index_base_SD_SD_SD_bbb.uses_vcc, 1
	.set _ZN9rocsparseL41csrgemm_numeric_fill_block_per_row_kernelILj1024ELj64ELj16384ELj137ELj32ElifEEvT5_PKS1_S3_NS_24const_host_device_scalarIT6_EEPKT4_S3_PKS5_S9_S3_SB_S6_S9_S3_SB_S9_S3_PS5_21rocsparse_index_base_SD_SD_SD_bbb.uses_flat_scratch, 0
	.set _ZN9rocsparseL41csrgemm_numeric_fill_block_per_row_kernelILj1024ELj64ELj16384ELj137ELj32ElifEEvT5_PKS1_S3_NS_24const_host_device_scalarIT6_EEPKT4_S3_PKS5_S9_S3_SB_S6_S9_S3_SB_S9_S3_PS5_21rocsparse_index_base_SD_SD_SD_bbb.has_dyn_sized_stack, 0
	.set _ZN9rocsparseL41csrgemm_numeric_fill_block_per_row_kernelILj1024ELj64ELj16384ELj137ELj32ElifEEvT5_PKS1_S3_NS_24const_host_device_scalarIT6_EEPKT4_S3_PKS5_S9_S3_SB_S6_S9_S3_SB_S9_S3_PS5_21rocsparse_index_base_SD_SD_SD_bbb.has_recursion, 0
	.set _ZN9rocsparseL41csrgemm_numeric_fill_block_per_row_kernelILj1024ELj64ELj16384ELj137ELj32ElifEEvT5_PKS1_S3_NS_24const_host_device_scalarIT6_EEPKT4_S3_PKS5_S9_S3_SB_S6_S9_S3_SB_S9_S3_PS5_21rocsparse_index_base_SD_SD_SD_bbb.has_indirect_call, 0
	.section	.AMDGPU.csdata,"",@progbits
; Kernel info:
; codeLenInByte = 4432
; TotalNumSgprs: 76
; NumVgprs: 18
; ScratchSize: 0
; MemoryBound: 0
; FloatMode: 240
; IeeeMode: 1
; LDSByteSize: 0 bytes/workgroup (compile time only)
; SGPRBlocks: 0
; VGPRBlocks: 1
; NumSGPRsForWavesPerEU: 76
; NumVGPRsForWavesPerEU: 18
; NamedBarCnt: 0
; Occupancy: 16
; WaveLimiterHint : 1
; COMPUTE_PGM_RSRC2:SCRATCH_EN: 0
; COMPUTE_PGM_RSRC2:USER_SGPR: 2
; COMPUTE_PGM_RSRC2:TRAP_HANDLER: 0
; COMPUTE_PGM_RSRC2:TGID_X_EN: 1
; COMPUTE_PGM_RSRC2:TGID_Y_EN: 0
; COMPUTE_PGM_RSRC2:TGID_Z_EN: 0
; COMPUTE_PGM_RSRC2:TIDIG_COMP_CNT: 0
	.section	.text._ZN9rocsparseL41csrgemm_numeric_fill_block_per_row_kernelILj1024ELj64ELj16384ELj137ELj64ElifEEvT5_PKS1_S3_NS_24const_host_device_scalarIT6_EEPKT4_S3_PKS5_S9_S3_SB_S6_S9_S3_SB_S9_S3_PS5_21rocsparse_index_base_SD_SD_SD_bbb,"axG",@progbits,_ZN9rocsparseL41csrgemm_numeric_fill_block_per_row_kernelILj1024ELj64ELj16384ELj137ELj64ElifEEvT5_PKS1_S3_NS_24const_host_device_scalarIT6_EEPKT4_S3_PKS5_S9_S3_SB_S6_S9_S3_SB_S9_S3_PS5_21rocsparse_index_base_SD_SD_SD_bbb,comdat
	.globl	_ZN9rocsparseL41csrgemm_numeric_fill_block_per_row_kernelILj1024ELj64ELj16384ELj137ELj64ElifEEvT5_PKS1_S3_NS_24const_host_device_scalarIT6_EEPKT4_S3_PKS5_S9_S3_SB_S6_S9_S3_SB_S9_S3_PS5_21rocsparse_index_base_SD_SD_SD_bbb ; -- Begin function _ZN9rocsparseL41csrgemm_numeric_fill_block_per_row_kernelILj1024ELj64ELj16384ELj137ELj64ElifEEvT5_PKS1_S3_NS_24const_host_device_scalarIT6_EEPKT4_S3_PKS5_S9_S3_SB_S6_S9_S3_SB_S9_S3_PS5_21rocsparse_index_base_SD_SD_SD_bbb
	.p2align	8
	.type	_ZN9rocsparseL41csrgemm_numeric_fill_block_per_row_kernelILj1024ELj64ELj16384ELj137ELj64ElifEEvT5_PKS1_S3_NS_24const_host_device_scalarIT6_EEPKT4_S3_PKS5_S9_S3_SB_S6_S9_S3_SB_S9_S3_PS5_21rocsparse_index_base_SD_SD_SD_bbb,@function
_ZN9rocsparseL41csrgemm_numeric_fill_block_per_row_kernelILj1024ELj64ELj16384ELj137ELj64ElifEEvT5_PKS1_S3_NS_24const_host_device_scalarIT6_EEPKT4_S3_PKS5_S9_S3_SB_S6_S9_S3_SB_S9_S3_PS5_21rocsparse_index_base_SD_SD_SD_bbb: ; @_ZN9rocsparseL41csrgemm_numeric_fill_block_per_row_kernelILj1024ELj64ELj16384ELj137ELj64ElifEEvT5_PKS1_S3_NS_24const_host_device_scalarIT6_EEPKT4_S3_PKS5_S9_S3_SB_S6_S9_S3_SB_S9_S3_PS5_21rocsparse_index_base_SD_SD_SD_bbb
; %bb.0:
	s_clause 0x3
	s_load_b32 s6, s[0:1], 0x98
	s_load_b64 s[4:5], s[0:1], 0x18
	s_load_b128 s[20:23], s[0:1], 0x88
	s_load_b64 s[2:3], s[0:1], 0x50
	s_wait_kmcnt 0x0
	s_and_b32 s8, 1, s6
	s_bitcmp1_b32 s6, 16
	s_cselect_b32 s7, -1, 0
	s_cmp_eq_u32 s8, 1
	s_cselect_b32 s39, -1, 0
	s_delay_alu instid0(SALU_CYCLE_1) | instskip(SKIP_2) | instid1(SALU_CYCLE_1)
	s_and_b32 s8, s39, exec_lo
	s_cselect_b32 s37, s4, 0
	s_xor_b32 s8, s39, -1
	s_or_b32 s8, s7, s8
	s_delay_alu instid0(SALU_CYCLE_1)
	s_and_b32 vcc_lo, exec_lo, s8
	s_cbranch_vccnz .LBB175_2
; %bb.1:
	s_load_b32 s37, s[4:5], 0x0
.LBB175_2:
	s_load_b128 s[28:31], s[0:1], 0x8
	s_bitcmp1_b32 s6, 8
	s_cselect_b32 s38, -1, 0
	s_wait_xcnt 0x0
	s_and_b32 s4, s38, exec_lo
	s_cselect_b32 s36, s2, 0
	s_xor_b32 s4, s38, -1
	s_delay_alu instid0(SALU_CYCLE_1) | instskip(NEXT) | instid1(SALU_CYCLE_1)
	s_or_b32 s4, s7, s4
	s_and_b32 vcc_lo, exec_lo, s4
	s_cbranch_vccnz .LBB175_4
; %bb.3:
	s_load_b32 s36, s[2:3], 0x0
.LBB175_4:
	s_clause 0x4
	s_load_b32 s33, s[0:1], 0x0
	s_load_b64 s[34:35], s[0:1], 0x80
	s_load_b256 s[12:19], s[0:1], 0x58
	s_load_b128 s[24:27], s[0:1], 0x40
	s_load_b256 s[4:11], s[0:1], 0x20
	v_lshl_add_u32 v12, v0, 2, 0
	v_or_b32_e32 v13, 0xfffffc00, v0
	v_mov_b32_e32 v1, 0
	s_wait_xcnt 0x0
	s_mov_b32 s0, 0
	s_delay_alu instid0(VALU_DEP_2)
	v_dual_mov_b32 v2, v12 :: v_dual_mov_b32 v4, v13
	s_wait_kmcnt 0x0
	v_mov_b32_e32 v3, s33
.LBB175_5:                              ; =>This Inner Loop Header: Depth=1
	s_delay_alu instid0(VALU_DEP_2) | instskip(NEXT) | instid1(VALU_DEP_3)
	v_add_nc_u32_e32 v4, 0x400, v4
	v_add_nc_u32_e32 v5, 0x10000, v2
	ds_store_b32 v2, v3
	v_add_nc_u32_e32 v2, 0x1000, v2
	v_cmp_lt_u32_e32 vcc_lo, 0x3bff, v4
	ds_store_b32 v5, v1
	s_or_b32 s0, vcc_lo, s0
	s_delay_alu instid0(SALU_CYCLE_1)
	s_and_not1_b32 exec_lo, exec_lo, s0
	s_cbranch_execnz .LBB175_5
; %bb.6:
	s_or_b32 exec_lo, exec_lo, s0
	s_wait_dscnt 0x0
	s_barrier_signal -1
	s_barrier_wait -1
	s_load_b32 s0, s[28:29], 0x0
	s_bfe_u32 s1, ttmp6, 0x4000c
	s_and_b32 s2, ttmp6, 15
	s_add_co_i32 s1, s1, 1
	s_getreg_b32 s3, hwreg(HW_REG_IB_STS2, 6, 4)
	s_mul_i32 s1, ttmp9, s1
	v_lshrrev_b32_e32 v2, 6, v0
	s_add_co_i32 s2, s2, s1
	s_cmp_eq_u32 s3, 0
	s_cselect_b32 s1, ttmp9, s2
	s_and_b32 vcc_lo, s39, exec_lo
	s_wait_kmcnt 0x0
	s_add_co_i32 s0, s0, s1
	s_mov_b32 s1, 0
	s_load_b32 s28, s[30:31], s0 offset:0x0 scale_offset
	s_cbranch_vccz .LBB175_24
; %bb.7:
	s_wait_kmcnt 0x0
	s_ashr_i32 s29, s28, 31
	v_mov_b32_e32 v3, 0
	s_lshl_b64 s[2:3], s[28:29], 3
	s_mov_b32 s0, s20
	s_add_nc_u64 s[2:3], s[4:5], s[2:3]
	s_mov_b32 s4, exec_lo
	s_load_b128 s[40:43], s[2:3], 0x0
	v_sub_nc_u64_e64 v[4:5], v[2:3], s[0:1]
	s_wait_kmcnt 0x0
	s_delay_alu instid0(VALU_DEP_1)
	v_add_nc_u64_e32 v[4:5], s[40:41], v[4:5]
	s_sub_nc_u64 s[0:1], s[42:43], s[0:1]
	s_delay_alu instid0(VALU_DEP_1) | instid1(SALU_CYCLE_1)
	v_cmpx_gt_i64_e64 s[0:1], v[4:5]
	s_cbranch_execz .LBB175_23
; %bb.8:
	v_dual_mov_b32 v7, v3 :: v_dual_bitop2_b32 v6, 63, v0 bitop3:0x40
	s_mov_b32 s3, 0
	s_mov_b32 s2, s21
	;; [unrolled: 1-line block ×3, first 2 shown]
	s_delay_alu instid0(VALU_DEP_1)
	v_sub_nc_u64_e64 v[6:7], v[6:7], s[2:3]
	s_branch .LBB175_10
.LBB175_9:                              ;   in Loop: Header=BB175_10 Depth=1
	s_or_b32 exec_lo, exec_lo, s29
	v_add_nc_u64_e32 v[4:5], 16, v[4:5]
	s_delay_alu instid0(VALU_DEP_1) | instskip(SKIP_1) | instid1(SALU_CYCLE_1)
	v_cmp_le_i64_e32 vcc_lo, s[0:1], v[4:5]
	s_or_b32 s5, vcc_lo, s5
	s_and_not1_b32 exec_lo, exec_lo, s5
	s_cbranch_execz .LBB175_23
.LBB175_10:                             ; =>This Loop Header: Depth=1
                                        ;     Child Loop BB175_14 Depth 2
                                        ;       Child Loop BB175_17 Depth 3
	v_lshl_add_u64 v[8:9], v[4:5], 2, s[6:7]
	s_mov_b32 s29, exec_lo
	global_load_b32 v1, v[8:9], off
	s_wait_loadcnt 0x0
	s_wait_xcnt 0x0
	v_subrev_nc_u32_e32 v8, s20, v1
	s_delay_alu instid0(VALU_DEP_1) | instskip(NEXT) | instid1(VALU_DEP_1)
	v_ashrrev_i32_e32 v9, 31, v8
	v_lshl_add_u64 v[8:9], v[8:9], 3, s[10:11]
	global_load_b128 v[14:17], v[8:9], off
	s_wait_loadcnt 0x0
	s_wait_xcnt 0x0
	v_sub_nc_u64_e64 v[8:9], v[16:17], s[2:3]
	v_add_nc_u64_e32 v[10:11], v[14:15], v[6:7]
	s_delay_alu instid0(VALU_DEP_1)
	v_cmpx_lt_i64_e64 v[10:11], v[8:9]
	s_cbranch_execz .LBB175_9
; %bb.11:                               ;   in Loop: Header=BB175_10 Depth=1
	v_lshl_add_u64 v[14:15], v[4:5], 2, s[8:9]
	s_mov_b32 s30, 0
	global_load_b32 v1, v[14:15], off
	s_wait_loadcnt 0x0
	v_mul_f32_e32 v1, s37, v1
	s_branch .LBB175_14
.LBB175_12:                             ;   in Loop: Header=BB175_14 Depth=2
	s_or_b32 exec_lo, exec_lo, s39
.LBB175_13:                             ;   in Loop: Header=BB175_14 Depth=2
	s_delay_alu instid0(SALU_CYCLE_1) | instskip(SKIP_3) | instid1(VALU_DEP_2)
	s_or_b32 exec_lo, exec_lo, s31
	s_wait_loadcnt 0x0
	v_dual_mul_f32 v3, v1, v3 :: v_dual_lshlrev_b32 v14, 2, v14
	v_add_nc_u64_e32 v[10:11], 64, v[10:11]
	v_add3_u32 v14, 0, v14, 0x10000
	s_delay_alu instid0(VALU_DEP_2) | instskip(SKIP_2) | instid1(SALU_CYCLE_1)
	v_cmp_ge_i64_e32 vcc_lo, v[10:11], v[8:9]
	ds_add_f32 v14, v3
	s_or_b32 s30, vcc_lo, s30
	s_and_not1_b32 exec_lo, exec_lo, s30
	s_cbranch_execz .LBB175_9
.LBB175_14:                             ;   Parent Loop BB175_10 Depth=1
                                        ; =>  This Loop Header: Depth=2
                                        ;       Child Loop BB175_17 Depth 3
	s_wait_xcnt 0x0
	v_lshlrev_b64_e32 v[14:15], 2, v[10:11]
	s_mov_b32 s31, exec_lo
	s_delay_alu instid0(VALU_DEP_1)
	v_add_nc_u64_e32 v[16:17], s[24:25], v[14:15]
	v_add_nc_u64_e32 v[14:15], s[26:27], v[14:15]
	global_load_b32 v16, v[16:17], off
	global_load_b32 v3, v[14:15], off
	s_wait_loadcnt 0x1
	s_wait_xcnt 0x0
	v_subrev_nc_u32_e32 v15, s21, v16
	s_delay_alu instid0(VALU_DEP_1) | instskip(NEXT) | instid1(VALU_DEP_1)
	v_mul_lo_u32 v14, 0x89, v15
	v_and_b32_e32 v14, 0x3fff, v14
	s_delay_alu instid0(VALU_DEP_1)
	v_lshl_add_u32 v16, v14, 2, 0
	ds_load_b32 v17, v16
	s_wait_dscnt 0x0
	v_cmpx_ne_u32_e64 v17, v15
	s_cbranch_execz .LBB175_13
; %bb.15:                               ;   in Loop: Header=BB175_14 Depth=2
	s_mov_b32 s39, 0
	s_branch .LBB175_17
.LBB175_16:                             ;   in Loop: Header=BB175_17 Depth=3
	s_or_b32 exec_lo, exec_lo, s42
	s_delay_alu instid0(SALU_CYCLE_1) | instskip(NEXT) | instid1(SALU_CYCLE_1)
	s_and_b32 s40, exec_lo, s41
	s_or_b32 s39, s40, s39
	s_delay_alu instid0(SALU_CYCLE_1)
	s_and_not1_b32 exec_lo, exec_lo, s39
	s_cbranch_execz .LBB175_12
.LBB175_17:                             ;   Parent Loop BB175_10 Depth=1
                                        ;     Parent Loop BB175_14 Depth=2
                                        ; =>    This Inner Loop Header: Depth=3
	s_mov_b32 s40, 0
	s_mov_b32 s41, exec_lo
	v_cmpx_ne_u32_e64 s33, v17
	s_xor_b32 s41, exec_lo, s41
	s_cbranch_execz .LBB175_19
; %bb.18:                               ;   in Loop: Header=BB175_17 Depth=3
	v_add_nc_u32_e32 v14, 1, v14
	s_mov_b32 s40, exec_lo
                                        ; implicit-def: $vgpr16
	s_delay_alu instid0(VALU_DEP_1)
	v_and_b32_e32 v14, 0x3fff, v14
	s_and_not1_saveexec_b32 s41, s41
	s_cbranch_execz .LBB175_21
	s_branch .LBB175_20
.LBB175_19:                             ;   in Loop: Header=BB175_17 Depth=3
	s_and_not1_saveexec_b32 s41, s41
	s_cbranch_execz .LBB175_21
.LBB175_20:                             ;   in Loop: Header=BB175_17 Depth=3
	v_mov_b32_e32 v17, s33
	s_and_not1_b32 s40, s40, exec_lo
	ds_cmpstore_rtn_b32 v16, v16, v15, v17
	s_wait_dscnt 0x0
	v_cmp_ne_u32_e32 vcc_lo, s33, v16
	s_and_b32 s42, vcc_lo, exec_lo
	s_delay_alu instid0(SALU_CYCLE_1)
	s_or_b32 s40, s40, s42
.LBB175_21:                             ;   in Loop: Header=BB175_17 Depth=3
	s_or_b32 exec_lo, exec_lo, s41
	s_mov_b32 s41, -1
                                        ; implicit-def: $vgpr16
                                        ; implicit-def: $vgpr17
	s_and_saveexec_b32 s42, s40
	s_cbranch_execz .LBB175_16
; %bb.22:                               ;   in Loop: Header=BB175_17 Depth=3
	v_lshl_add_u32 v16, v14, 2, 0
	ds_load_b32 v17, v16
	s_wait_dscnt 0x0
	v_cmp_eq_u32_e32 vcc_lo, v17, v15
	s_or_not1_b32 s41, vcc_lo, exec_lo
	s_branch .LBB175_16
.LBB175_23:
	s_or_b32 exec_lo, exec_lo, s4
.LBB175_24:
	s_delay_alu instid0(SALU_CYCLE_1)
	s_and_not1_b32 vcc_lo, exec_lo, s38
	s_cbranch_vccnz .LBB175_27
; %bb.25:
	s_wait_kmcnt 0x0
	s_ashr_i32 s29, s28, 31
	v_mov_b32_e32 v1, 0
	s_lshl_b64 s[0:1], s[28:29], 3
	s_delay_alu instid0(SALU_CYCLE_1) | instskip(SKIP_4) | instid1(SALU_CYCLE_1)
	s_add_nc_u64 s[0:1], s[12:13], s[0:1]
	s_load_b128 s[4:7], s[0:1], 0x0
	s_wait_xcnt 0x0
	s_mov_b32 s1, 0
	s_mov_b32 s0, s23
	v_sub_nc_u64_e64 v[4:5], v[0:1], s[0:1]
	s_wait_kmcnt 0x0
	s_delay_alu instid0(VALU_DEP_1) | instskip(SKIP_2) | instid1(VALU_DEP_1)
	v_add_nc_u64_e32 v[4:5], s[4:5], v[4:5]
	s_sub_nc_u64 s[2:3], s[6:7], s[0:1]
	s_mov_b32 s0, exec_lo
	v_cmpx_gt_i64_e64 s[2:3], v[4:5]
	s_cbranch_execnz .LBB175_65
.LBB175_26:
	s_or_b32 exec_lo, exec_lo, s0
.LBB175_27:
	v_mbcnt_lo_u32_b32 v1, -1, 0
	v_lshlrev_b32_e32 v2, 2, v2
	s_add_co_i32 s36, 0, 0x2003c
	s_wait_xcnt 0x0
	v_cmp_lt_u32_e64 s0, 63, v0
	v_cmp_lt_u32_e64 s1, 0x7f, v0
	v_dual_mov_b32 v1, 0 :: v_dual_bitop2_b32 v4, 31, v1 bitop3:0x14
	v_add3_u32 v3, 0x20000, 0, v2
	v_cmp_lt_u32_e64 s2, 0xbf, v0
	v_cmp_lt_u32_e64 s3, 0xff, v0
	s_delay_alu instid0(VALU_DEP_4)
	v_lshrrev_b32_e64 v2, v4, -1
	v_cmp_lt_u32_e64 s4, 0x13f, v0
	v_cmp_lt_u32_e64 s5, 0x17f, v0
	v_cmp_lt_u32_e64 s6, 0x1bf, v0
	v_cmp_lt_u32_e64 s7, 0x1ff, v0
	v_cmp_lt_u32_e64 s8, 0x23f, v0
	v_cmp_lt_u32_e64 s9, 0x27f, v0
	v_cmp_lt_u32_e64 s10, 0x2bf, v0
	v_cmp_lt_u32_e64 s11, 0x2ff, v0
	v_cmp_lt_u32_e64 s12, 0x33f, v0
	v_cmp_lt_u32_e64 s13, 0x37f, v0
	v_cmp_lt_u32_e64 s14, 0x3bf, v0
	v_mov_b32_e32 v4, s36
	s_mov_b32 s16, 0
	s_add_co_i32 s17, 0, 0x20000
	s_add_co_i32 s20, 0, 0x20004
	;; [unrolled: 1-line block ×15, first 2 shown]
	s_wait_dscnt 0x0
	s_barrier_signal -1
	s_barrier_wait -1
	v_cmp_eq_u32_e32 vcc_lo, 0x3ff, v0
	s_branch .LBB175_29
.LBB175_28:                             ;   in Loop: Header=BB175_29 Depth=1
	s_or_b32 exec_lo, exec_lo, s15
	s_wait_dscnt 0x0
	s_barrier_signal -1
	s_barrier_wait -1
	ds_load_b32 v5, v4
	v_add_nc_u32_e32 v13, 0x400, v13
	v_add_nc_u32_e32 v12, 0x1000, v12
	s_delay_alu instid0(VALU_DEP_2)
	v_cmp_lt_u32_e64 s15, 0x3bff, v13
	s_or_b32 s16, s15, s16
	s_wait_dscnt 0x0
	v_add_nc_u32_e32 v1, v5, v1
	s_and_not1_b32 exec_lo, exec_lo, s16
	s_cbranch_execz .LBB175_74
.LBB175_29:                             ; =>This Inner Loop Header: Depth=1
	ds_load_b32 v5, v12
	v_add_nc_u32_e32 v6, 0x10000, v12
	ds_load_b32 v6, v6
	s_wait_dscnt 0x0
	s_barrier_signal -1
	s_barrier_wait -1
	v_cmp_gt_i32_e64 s15, s33, v5
	s_bcnt1_i32_b32 s41, s15
	s_delay_alu instid0(SALU_CYCLE_1) | instskip(NEXT) | instid1(VALU_DEP_1)
	v_dual_mov_b32 v8, s41 :: v_dual_bitop2_b32 v7, s15, v2 bitop3:0x40
	v_bcnt_u32_b32 v7, v7, 0
	ds_store_b32 v3, v8
	s_wait_dscnt 0x0
	s_barrier_signal -1
	s_barrier_wait -1
	s_and_saveexec_b32 s41, s0
	s_cbranch_execz .LBB175_46
; %bb.30:                               ;   in Loop: Header=BB175_29 Depth=1
	v_mov_b32_e32 v8, s17
	ds_load_b32 v8, v8
	s_wait_dscnt 0x0
	v_add_nc_u32_e32 v7, v8, v7
	s_or_b32 exec_lo, exec_lo, s41
	s_and_saveexec_b32 s41, s1
	s_cbranch_execnz .LBB175_47
.LBB175_31:                             ;   in Loop: Header=BB175_29 Depth=1
	s_or_b32 exec_lo, exec_lo, s41
	s_and_saveexec_b32 s41, s2
	s_cbranch_execz .LBB175_48
.LBB175_32:                             ;   in Loop: Header=BB175_29 Depth=1
	v_mov_b32_e32 v8, s21
	ds_load_b32 v8, v8
	s_wait_dscnt 0x0
	v_add_nc_u32_e32 v7, v8, v7
	s_or_b32 exec_lo, exec_lo, s41
	s_and_saveexec_b32 s41, s3
	s_cbranch_execnz .LBB175_49
.LBB175_33:                             ;   in Loop: Header=BB175_29 Depth=1
	s_or_b32 exec_lo, exec_lo, s41
	s_and_saveexec_b32 s41, s4
	s_cbranch_execz .LBB175_50
.LBB175_34:                             ;   in Loop: Header=BB175_29 Depth=1
	v_mov_b32_e32 v8, s24
	ds_load_b32 v8, v8
	s_wait_dscnt 0x0
	v_add_nc_u32_e32 v7, v8, v7
	s_or_b32 exec_lo, exec_lo, s41
	s_and_saveexec_b32 s41, s5
	s_cbranch_execnz .LBB175_51
.LBB175_35:                             ;   in Loop: Header=BB175_29 Depth=1
	s_or_b32 exec_lo, exec_lo, s41
	s_and_saveexec_b32 s41, s6
	s_cbranch_execz .LBB175_52
.LBB175_36:                             ;   in Loop: Header=BB175_29 Depth=1
	v_mov_b32_e32 v8, s26
	ds_load_b32 v8, v8
	s_wait_dscnt 0x0
	v_add_nc_u32_e32 v7, v8, v7
	s_or_b32 exec_lo, exec_lo, s41
	s_and_saveexec_b32 s41, s7
	s_cbranch_execnz .LBB175_53
.LBB175_37:                             ;   in Loop: Header=BB175_29 Depth=1
	s_or_b32 exec_lo, exec_lo, s41
	s_and_saveexec_b32 s41, s8
	s_cbranch_execz .LBB175_54
.LBB175_38:                             ;   in Loop: Header=BB175_29 Depth=1
	v_mov_b32_e32 v8, s29
	ds_load_b32 v8, v8
	s_wait_dscnt 0x0
	v_add_nc_u32_e32 v7, v8, v7
	s_or_b32 exec_lo, exec_lo, s41
	s_and_saveexec_b32 s41, s9
	s_cbranch_execnz .LBB175_55
.LBB175_39:                             ;   in Loop: Header=BB175_29 Depth=1
	s_or_b32 exec_lo, exec_lo, s41
	s_and_saveexec_b32 s41, s10
	s_cbranch_execz .LBB175_56
.LBB175_40:                             ;   in Loop: Header=BB175_29 Depth=1
	v_mov_b32_e32 v8, s31
	ds_load_b32 v8, v8
	s_wait_dscnt 0x0
	v_add_nc_u32_e32 v7, v8, v7
	s_or_b32 exec_lo, exec_lo, s41
	s_and_saveexec_b32 s41, s11
	s_cbranch_execnz .LBB175_57
.LBB175_41:                             ;   in Loop: Header=BB175_29 Depth=1
	s_or_b32 exec_lo, exec_lo, s41
	s_and_saveexec_b32 s41, s12
	s_cbranch_execz .LBB175_58
.LBB175_42:                             ;   in Loop: Header=BB175_29 Depth=1
	v_mov_b32_e32 v8, s38
	ds_load_b32 v8, v8
	s_wait_dscnt 0x0
	v_add_nc_u32_e32 v7, v8, v7
	s_or_b32 exec_lo, exec_lo, s41
	s_and_saveexec_b32 s41, s13
	s_cbranch_execnz .LBB175_59
.LBB175_43:                             ;   in Loop: Header=BB175_29 Depth=1
	s_or_b32 exec_lo, exec_lo, s41
	s_and_saveexec_b32 s41, s14
	s_cbranch_execz .LBB175_60
.LBB175_44:                             ;   in Loop: Header=BB175_29 Depth=1
	v_mov_b32_e32 v8, s40
	ds_load_b32 v8, v8
	s_wait_dscnt 0x0
	v_add_nc_u32_e32 v7, v8, v7
	s_or_b32 exec_lo, exec_lo, s41
	s_and_saveexec_b32 s41, s15
	s_cbranch_execnz .LBB175_61
.LBB175_45:                             ;   in Loop: Header=BB175_29 Depth=1
	s_or_b32 exec_lo, exec_lo, s41
	s_and_saveexec_b32 s15, vcc_lo
	s_cbranch_execz .LBB175_28
	s_branch .LBB175_62
.LBB175_46:                             ;   in Loop: Header=BB175_29 Depth=1
	s_or_b32 exec_lo, exec_lo, s41
	s_and_saveexec_b32 s41, s1
	s_cbranch_execz .LBB175_31
.LBB175_47:                             ;   in Loop: Header=BB175_29 Depth=1
	v_mov_b32_e32 v8, s20
	ds_load_b32 v8, v8
	s_wait_dscnt 0x0
	v_add_nc_u32_e32 v7, v8, v7
	s_or_b32 exec_lo, exec_lo, s41
	s_and_saveexec_b32 s41, s2
	s_cbranch_execnz .LBB175_32
.LBB175_48:                             ;   in Loop: Header=BB175_29 Depth=1
	s_or_b32 exec_lo, exec_lo, s41
	s_and_saveexec_b32 s41, s3
	s_cbranch_execz .LBB175_33
.LBB175_49:                             ;   in Loop: Header=BB175_29 Depth=1
	v_mov_b32_e32 v8, s23
	ds_load_b32 v8, v8
	s_wait_dscnt 0x0
	v_add_nc_u32_e32 v7, v8, v7
	s_or_b32 exec_lo, exec_lo, s41
	s_and_saveexec_b32 s41, s4
	s_cbranch_execnz .LBB175_34
.LBB175_50:                             ;   in Loop: Header=BB175_29 Depth=1
	s_or_b32 exec_lo, exec_lo, s41
	s_and_saveexec_b32 s41, s5
	s_cbranch_execz .LBB175_35
.LBB175_51:                             ;   in Loop: Header=BB175_29 Depth=1
	v_mov_b32_e32 v8, s25
	ds_load_b32 v8, v8
	s_wait_dscnt 0x0
	v_add_nc_u32_e32 v7, v8, v7
	s_or_b32 exec_lo, exec_lo, s41
	s_and_saveexec_b32 s41, s6
	s_cbranch_execnz .LBB175_36
.LBB175_52:                             ;   in Loop: Header=BB175_29 Depth=1
	s_or_b32 exec_lo, exec_lo, s41
	s_and_saveexec_b32 s41, s7
	s_cbranch_execz .LBB175_37
.LBB175_53:                             ;   in Loop: Header=BB175_29 Depth=1
	v_mov_b32_e32 v8, s27
	ds_load_b32 v8, v8
	s_wait_dscnt 0x0
	v_add_nc_u32_e32 v7, v8, v7
	s_or_b32 exec_lo, exec_lo, s41
	s_and_saveexec_b32 s41, s8
	s_cbranch_execnz .LBB175_38
.LBB175_54:                             ;   in Loop: Header=BB175_29 Depth=1
	s_or_b32 exec_lo, exec_lo, s41
	s_and_saveexec_b32 s41, s9
	s_cbranch_execz .LBB175_39
.LBB175_55:                             ;   in Loop: Header=BB175_29 Depth=1
	v_mov_b32_e32 v8, s30
	ds_load_b32 v8, v8
	s_wait_dscnt 0x0
	v_add_nc_u32_e32 v7, v8, v7
	s_or_b32 exec_lo, exec_lo, s41
	s_and_saveexec_b32 s41, s10
	s_cbranch_execnz .LBB175_40
.LBB175_56:                             ;   in Loop: Header=BB175_29 Depth=1
	s_or_b32 exec_lo, exec_lo, s41
	s_and_saveexec_b32 s41, s11
	s_cbranch_execz .LBB175_41
.LBB175_57:                             ;   in Loop: Header=BB175_29 Depth=1
	v_mov_b32_e32 v8, s37
	ds_load_b32 v8, v8
	s_wait_dscnt 0x0
	v_add_nc_u32_e32 v7, v8, v7
	s_or_b32 exec_lo, exec_lo, s41
	s_and_saveexec_b32 s41, s12
	s_cbranch_execnz .LBB175_42
.LBB175_58:                             ;   in Loop: Header=BB175_29 Depth=1
	s_or_b32 exec_lo, exec_lo, s41
	s_and_saveexec_b32 s41, s13
	s_cbranch_execz .LBB175_43
.LBB175_59:                             ;   in Loop: Header=BB175_29 Depth=1
	v_mov_b32_e32 v8, s39
	ds_load_b32 v8, v8
	s_wait_dscnt 0x0
	v_add_nc_u32_e32 v7, v8, v7
	s_or_b32 exec_lo, exec_lo, s41
	s_and_saveexec_b32 s41, s14
	s_cbranch_execnz .LBB175_44
.LBB175_60:                             ;   in Loop: Header=BB175_29 Depth=1
	s_or_b32 exec_lo, exec_lo, s41
	s_and_saveexec_b32 s41, s15
	s_cbranch_execz .LBB175_45
.LBB175_61:                             ;   in Loop: Header=BB175_29 Depth=1
	s_delay_alu instid0(VALU_DEP_1) | instskip(SKIP_1) | instid1(VALU_DEP_2)
	v_add3_u32 v8, v1, -1, v7
	v_add_nc_u32_e32 v9, v1, v7
	v_lshl_add_u32 v8, v8, 2, 0
	s_delay_alu instid0(VALU_DEP_2)
	v_lshl_add_u32 v9, v9, 2, 0
	ds_store_b32 v8, v5
	ds_store_b32 v9, v6 offset:65532
	s_or_b32 exec_lo, exec_lo, s41
	s_and_saveexec_b32 s15, vcc_lo
	s_cbranch_execz .LBB175_28
.LBB175_62:                             ;   in Loop: Header=BB175_29 Depth=1
	v_mov_b32_e32 v5, s36
	ds_store_b32 v5, v7
	s_branch .LBB175_28
.LBB175_63:                             ;   in Loop: Header=BB175_65 Depth=1
	s_or_b32 exec_lo, exec_lo, s5
.LBB175_64:                             ;   in Loop: Header=BB175_65 Depth=1
	s_delay_alu instid0(SALU_CYCLE_1) | instskip(SKIP_3) | instid1(VALU_DEP_2)
	s_or_b32 exec_lo, exec_lo, s4
	s_wait_loadcnt 0x0
	v_dual_lshlrev_b32 v3, 2, v3 :: v_dual_mul_f32 v1, s36, v1
	v_add_nc_u64_e32 v[4:5], 0x400, v[4:5]
	v_add3_u32 v3, 0, v3, 0x10000
	s_delay_alu instid0(VALU_DEP_2) | instskip(SKIP_2) | instid1(SALU_CYCLE_1)
	v_cmp_le_i64_e32 vcc_lo, s[2:3], v[4:5]
	ds_add_f32 v3, v1
	s_or_b32 s1, vcc_lo, s1
	s_and_not1_b32 exec_lo, exec_lo, s1
	s_cbranch_execz .LBB175_26
.LBB175_65:                             ; =>This Loop Header: Depth=1
                                        ;     Child Loop BB175_68 Depth 2
	v_lshlrev_b64_e32 v[6:7], 2, v[4:5]
	s_mov_b32 s4, exec_lo
	s_delay_alu instid0(VALU_DEP_1)
	v_add_nc_u64_e32 v[8:9], s[14:15], v[6:7]
	v_add_nc_u64_e32 v[6:7], s[16:17], v[6:7]
	global_load_b32 v3, v[8:9], off
	global_load_b32 v1, v[6:7], off
	s_wait_loadcnt 0x1
	s_wait_xcnt 0x0
	v_subrev_nc_u32_e32 v6, s23, v3
	s_delay_alu instid0(VALU_DEP_1) | instskip(NEXT) | instid1(VALU_DEP_1)
	v_mul_lo_u32 v3, 0x89, v6
	v_and_b32_e32 v3, 0x3fff, v3
	s_delay_alu instid0(VALU_DEP_1)
	v_lshl_add_u32 v7, v3, 2, 0
	ds_load_b32 v8, v7
	s_wait_dscnt 0x0
	v_cmpx_ne_u32_e64 v8, v6
	s_cbranch_execz .LBB175_64
; %bb.66:                               ;   in Loop: Header=BB175_65 Depth=1
	s_mov_b32 s5, 0
	s_branch .LBB175_68
.LBB175_67:                             ;   in Loop: Header=BB175_68 Depth=2
	s_or_b32 exec_lo, exec_lo, s8
	s_delay_alu instid0(SALU_CYCLE_1) | instskip(NEXT) | instid1(SALU_CYCLE_1)
	s_and_b32 s6, exec_lo, s7
	s_or_b32 s5, s6, s5
	s_delay_alu instid0(SALU_CYCLE_1)
	s_and_not1_b32 exec_lo, exec_lo, s5
	s_cbranch_execz .LBB175_63
.LBB175_68:                             ;   Parent Loop BB175_65 Depth=1
                                        ; =>  This Inner Loop Header: Depth=2
	s_mov_b32 s6, 0
	s_mov_b32 s7, exec_lo
	v_cmpx_ne_u32_e64 s33, v8
	s_xor_b32 s7, exec_lo, s7
	s_cbranch_execz .LBB175_70
; %bb.69:                               ;   in Loop: Header=BB175_68 Depth=2
	v_add_nc_u32_e32 v3, 1, v3
	s_mov_b32 s6, exec_lo
                                        ; implicit-def: $vgpr7
	s_delay_alu instid0(VALU_DEP_1)
	v_and_b32_e32 v3, 0x3fff, v3
	s_and_not1_saveexec_b32 s7, s7
	s_cbranch_execz .LBB175_72
	s_branch .LBB175_71
.LBB175_70:                             ;   in Loop: Header=BB175_68 Depth=2
	s_and_not1_saveexec_b32 s7, s7
	s_cbranch_execz .LBB175_72
.LBB175_71:                             ;   in Loop: Header=BB175_68 Depth=2
	v_mov_b32_e32 v8, s33
	s_and_not1_b32 s6, s6, exec_lo
	ds_cmpstore_rtn_b32 v7, v7, v6, v8
	s_wait_dscnt 0x0
	v_cmp_ne_u32_e32 vcc_lo, s33, v7
	s_and_b32 s8, vcc_lo, exec_lo
	s_delay_alu instid0(SALU_CYCLE_1)
	s_or_b32 s6, s6, s8
.LBB175_72:                             ;   in Loop: Header=BB175_68 Depth=2
	s_or_b32 exec_lo, exec_lo, s7
	s_mov_b32 s7, -1
                                        ; implicit-def: $vgpr7
                                        ; implicit-def: $vgpr8
	s_and_saveexec_b32 s8, s6
	s_cbranch_execz .LBB175_67
; %bb.73:                               ;   in Loop: Header=BB175_68 Depth=2
	v_lshl_add_u32 v7, v3, 2, 0
	ds_load_b32 v8, v7
	s_wait_dscnt 0x0
	v_cmp_eq_u32_e32 vcc_lo, v8, v6
	s_or_not1_b32 s7, vcc_lo, exec_lo
	s_branch .LBB175_67
.LBB175_74:
	s_or_b32 exec_lo, exec_lo, s16
	s_wait_kmcnt 0x0
	s_ashr_i32 s29, s28, 31
	s_delay_alu instid0(SALU_CYCLE_1) | instskip(NEXT) | instid1(SALU_CYCLE_1)
	s_lshl_b64 s[0:1], s[28:29], 3
	s_add_nc_u64 s[4:5], s[18:19], s[0:1]
	s_load_b128 s[0:3], s[4:5], 0x0
	s_wait_xcnt 0x0
	s_mov_b32 s4, exec_lo
	s_wait_kmcnt 0x0
	s_sub_co_i32 s3, s2, s0
	s_delay_alu instid0(SALU_CYCLE_1)
	v_cmpx_gt_i32_e64 s3, v0
	s_cbranch_execz .LBB175_84
; %bb.75:
	s_sub_co_i32 s4, s0, s2
	s_and_b32 s2, s3, 7
	s_cmp_lt_u32 s4, -7
	s_mov_b32 s23, 0
	s_cselect_b32 s4, -1, 0
	s_and_b32 s5, s3, -8
	s_cmp_lg_u32 s2, 0
	s_sub_nc_u64 s[0:1], s[0:1], s[22:23]
	s_cselect_b32 s6, -1, 0
	s_mov_b32 s7, 0
	s_branch .LBB175_77
.LBB175_76:                             ;   in Loop: Header=BB175_77 Depth=1
	v_add_nc_u32_e32 v0, 0x400, v0
	s_delay_alu instid0(VALU_DEP_2) | instskip(NEXT) | instid1(VALU_DEP_2)
	v_lshl_add_u64 v[2:3], v[2:3], 2, s[34:35]
	v_cmp_le_i32_e32 vcc_lo, s3, v0
	s_wait_dscnt 0x0
	global_store_b32 v[2:3], v1, off
	s_or_b32 s7, vcc_lo, s7
	s_wait_xcnt 0x0
	s_and_not1_b32 exec_lo, exec_lo, s7
	s_cbranch_execz .LBB175_84
.LBB175_77:                             ; =>This Loop Header: Depth=1
                                        ;     Child Loop BB175_79 Depth 2
                                        ;     Child Loop BB175_83 Depth 2
	v_lshl_add_u32 v1, v0, 2, 0
	s_and_not1_b32 vcc_lo, exec_lo, s4
	s_mov_b32 s8, 0
	s_delay_alu instid0(VALU_DEP_1)
	v_add_nc_u32_e32 v2, 0x10000, v1
	ds_load_b32 v4, v1
	ds_load_b32 v1, v2
	v_mov_b64_e32 v[2:3], s[0:1]
	s_cbranch_vccnz .LBB175_81
; %bb.78:                               ;   in Loop: Header=BB175_77 Depth=1
	v_mov_b64_e32 v[2:3], s[0:1]
	s_mov_b32 s9, 0
.LBB175_79:                             ;   Parent Loop BB175_77 Depth=1
                                        ; =>  This Inner Loop Header: Depth=2
	s_delay_alu instid0(SALU_CYCLE_1)
	v_dual_mov_b32 v5, s9 :: v_dual_mov_b32 v11, s23
	v_mov_b32_e32 v17, s23
	s_add_co_i32 s8, s8, 8
	s_add_co_i32 s9, s9, 32
	ds_load_2addr_b32 v[6:7], v5 offset1:1
	ds_load_2addr_b32 v[8:9], v5 offset0:2 offset1:3
	ds_load_2addr_b32 v[12:13], v5 offset0:4 offset1:5
	;; [unrolled: 1-line block ×3, first 2 shown]
	s_cmp_eq_u32 s5, s8
	s_wait_dscnt 0x3
	v_cmp_gt_i32_e32 vcc_lo, v4, v6
	v_cndmask_b32_e64 v10, 0, 1, vcc_lo
	v_cmp_gt_i32_e32 vcc_lo, v4, v7
	v_mov_b32_e32 v7, s23
	s_delay_alu instid0(VALU_DEP_3) | instskip(SKIP_4) | instid1(VALU_DEP_3)
	v_add_nc_u64_e32 v[2:3], v[2:3], v[10:11]
	v_cndmask_b32_e64 v16, 0, 1, vcc_lo
	s_wait_dscnt 0x2
	v_cmp_gt_i32_e32 vcc_lo, v4, v8
	v_cndmask_b32_e64 v6, 0, 1, vcc_lo
	v_add_nc_u64_e32 v[2:3], v[2:3], v[16:17]
	v_cmp_gt_i32_e32 vcc_lo, v4, v9
	v_mov_b32_e32 v9, s23
	v_cndmask_b32_e64 v10, 0, 1, vcc_lo
	s_delay_alu instid0(VALU_DEP_4) | instskip(SKIP_3) | instid1(VALU_DEP_3)
	v_add_nc_u64_e32 v[2:3], v[2:3], v[6:7]
	s_wait_dscnt 0x1
	v_cmp_gt_i32_e32 vcc_lo, v4, v12
	v_cndmask_b32_e64 v6, 0, 1, vcc_lo
	v_add_nc_u64_e32 v[2:3], v[2:3], v[10:11]
	v_cmp_gt_i32_e32 vcc_lo, v4, v13
	v_cndmask_b32_e64 v8, 0, 1, vcc_lo
	s_delay_alu instid0(VALU_DEP_3) | instskip(SKIP_3) | instid1(VALU_DEP_3)
	v_add_nc_u64_e32 v[2:3], v[2:3], v[6:7]
	s_wait_dscnt 0x0
	v_cmp_gt_i32_e32 vcc_lo, v4, v14
	v_cndmask_b32_e64 v6, 0, 1, vcc_lo
	v_add_nc_u64_e32 v[2:3], v[2:3], v[8:9]
	v_cmp_gt_i32_e32 vcc_lo, v4, v15
	v_cndmask_b32_e64 v8, 0, 1, vcc_lo
	s_delay_alu instid0(VALU_DEP_3) | instskip(NEXT) | instid1(VALU_DEP_1)
	v_add_nc_u64_e32 v[2:3], v[2:3], v[6:7]
	v_add_nc_u64_e32 v[2:3], v[2:3], v[8:9]
	s_cbranch_scc0 .LBB175_79
; %bb.80:                               ;   in Loop: Header=BB175_77 Depth=1
	s_mov_b32 s8, s5
.LBB175_81:                             ;   in Loop: Header=BB175_77 Depth=1
	s_and_not1_b32 vcc_lo, exec_lo, s6
	s_cbranch_vccnz .LBB175_76
; %bb.82:                               ;   in Loop: Header=BB175_77 Depth=1
	s_lshl_b32 s8, s8, 2
	s_mov_b32 s9, s2
	s_add_co_i32 s8, s8, 0
.LBB175_83:                             ;   Parent Loop BB175_77 Depth=1
                                        ; =>  This Inner Loop Header: Depth=2
	s_delay_alu instid0(SALU_CYCLE_1)
	v_dual_mov_b32 v5, s8 :: v_dual_mov_b32 v7, s23
	s_add_co_i32 s9, s9, -1
	s_add_co_i32 s8, s8, 4
	s_cmp_lg_u32 s9, 0
	ds_load_b32 v5, v5
	s_wait_dscnt 0x0
	v_cmp_gt_i32_e32 vcc_lo, v4, v5
	v_cndmask_b32_e64 v6, 0, 1, vcc_lo
	s_delay_alu instid0(VALU_DEP_1)
	v_add_nc_u64_e32 v[2:3], v[2:3], v[6:7]
	s_cbranch_scc1 .LBB175_83
	s_branch .LBB175_76
.LBB175_84:
	s_endpgm
	.section	.rodata,"a",@progbits
	.p2align	6, 0x0
	.amdhsa_kernel _ZN9rocsparseL41csrgemm_numeric_fill_block_per_row_kernelILj1024ELj64ELj16384ELj137ELj64ElifEEvT5_PKS1_S3_NS_24const_host_device_scalarIT6_EEPKT4_S3_PKS5_S9_S3_SB_S6_S9_S3_SB_S9_S3_PS5_21rocsparse_index_base_SD_SD_SD_bbb
		.amdhsa_group_segment_fixed_size 0
		.amdhsa_private_segment_fixed_size 0
		.amdhsa_kernarg_size 156
		.amdhsa_user_sgpr_count 2
		.amdhsa_user_sgpr_dispatch_ptr 0
		.amdhsa_user_sgpr_queue_ptr 0
		.amdhsa_user_sgpr_kernarg_segment_ptr 1
		.amdhsa_user_sgpr_dispatch_id 0
		.amdhsa_user_sgpr_kernarg_preload_length 0
		.amdhsa_user_sgpr_kernarg_preload_offset 0
		.amdhsa_user_sgpr_private_segment_size 0
		.amdhsa_wavefront_size32 1
		.amdhsa_uses_dynamic_stack 0
		.amdhsa_enable_private_segment 0
		.amdhsa_system_sgpr_workgroup_id_x 1
		.amdhsa_system_sgpr_workgroup_id_y 0
		.amdhsa_system_sgpr_workgroup_id_z 0
		.amdhsa_system_sgpr_workgroup_info 0
		.amdhsa_system_vgpr_workitem_id 0
		.amdhsa_next_free_vgpr 18
		.amdhsa_next_free_sgpr 44
		.amdhsa_named_barrier_count 0
		.amdhsa_reserve_vcc 1
		.amdhsa_float_round_mode_32 0
		.amdhsa_float_round_mode_16_64 0
		.amdhsa_float_denorm_mode_32 3
		.amdhsa_float_denorm_mode_16_64 3
		.amdhsa_fp16_overflow 0
		.amdhsa_memory_ordered 1
		.amdhsa_forward_progress 1
		.amdhsa_inst_pref_size 27
		.amdhsa_round_robin_scheduling 0
		.amdhsa_exception_fp_ieee_invalid_op 0
		.amdhsa_exception_fp_denorm_src 0
		.amdhsa_exception_fp_ieee_div_zero 0
		.amdhsa_exception_fp_ieee_overflow 0
		.amdhsa_exception_fp_ieee_underflow 0
		.amdhsa_exception_fp_ieee_inexact 0
		.amdhsa_exception_int_div_zero 0
	.end_amdhsa_kernel
	.section	.text._ZN9rocsparseL41csrgemm_numeric_fill_block_per_row_kernelILj1024ELj64ELj16384ELj137ELj64ElifEEvT5_PKS1_S3_NS_24const_host_device_scalarIT6_EEPKT4_S3_PKS5_S9_S3_SB_S6_S9_S3_SB_S9_S3_PS5_21rocsparse_index_base_SD_SD_SD_bbb,"axG",@progbits,_ZN9rocsparseL41csrgemm_numeric_fill_block_per_row_kernelILj1024ELj64ELj16384ELj137ELj64ElifEEvT5_PKS1_S3_NS_24const_host_device_scalarIT6_EEPKT4_S3_PKS5_S9_S3_SB_S6_S9_S3_SB_S9_S3_PS5_21rocsparse_index_base_SD_SD_SD_bbb,comdat
.Lfunc_end175:
	.size	_ZN9rocsparseL41csrgemm_numeric_fill_block_per_row_kernelILj1024ELj64ELj16384ELj137ELj64ElifEEvT5_PKS1_S3_NS_24const_host_device_scalarIT6_EEPKT4_S3_PKS5_S9_S3_SB_S6_S9_S3_SB_S9_S3_PS5_21rocsparse_index_base_SD_SD_SD_bbb, .Lfunc_end175-_ZN9rocsparseL41csrgemm_numeric_fill_block_per_row_kernelILj1024ELj64ELj16384ELj137ELj64ElifEEvT5_PKS1_S3_NS_24const_host_device_scalarIT6_EEPKT4_S3_PKS5_S9_S3_SB_S6_S9_S3_SB_S9_S3_PS5_21rocsparse_index_base_SD_SD_SD_bbb
                                        ; -- End function
	.set _ZN9rocsparseL41csrgemm_numeric_fill_block_per_row_kernelILj1024ELj64ELj16384ELj137ELj64ElifEEvT5_PKS1_S3_NS_24const_host_device_scalarIT6_EEPKT4_S3_PKS5_S9_S3_SB_S6_S9_S3_SB_S9_S3_PS5_21rocsparse_index_base_SD_SD_SD_bbb.num_vgpr, 18
	.set _ZN9rocsparseL41csrgemm_numeric_fill_block_per_row_kernelILj1024ELj64ELj16384ELj137ELj64ElifEEvT5_PKS1_S3_NS_24const_host_device_scalarIT6_EEPKT4_S3_PKS5_S9_S3_SB_S6_S9_S3_SB_S9_S3_PS5_21rocsparse_index_base_SD_SD_SD_bbb.num_agpr, 0
	.set _ZN9rocsparseL41csrgemm_numeric_fill_block_per_row_kernelILj1024ELj64ELj16384ELj137ELj64ElifEEvT5_PKS1_S3_NS_24const_host_device_scalarIT6_EEPKT4_S3_PKS5_S9_S3_SB_S6_S9_S3_SB_S9_S3_PS5_21rocsparse_index_base_SD_SD_SD_bbb.numbered_sgpr, 44
	.set _ZN9rocsparseL41csrgemm_numeric_fill_block_per_row_kernelILj1024ELj64ELj16384ELj137ELj64ElifEEvT5_PKS1_S3_NS_24const_host_device_scalarIT6_EEPKT4_S3_PKS5_S9_S3_SB_S6_S9_S3_SB_S9_S3_PS5_21rocsparse_index_base_SD_SD_SD_bbb.num_named_barrier, 0
	.set _ZN9rocsparseL41csrgemm_numeric_fill_block_per_row_kernelILj1024ELj64ELj16384ELj137ELj64ElifEEvT5_PKS1_S3_NS_24const_host_device_scalarIT6_EEPKT4_S3_PKS5_S9_S3_SB_S6_S9_S3_SB_S9_S3_PS5_21rocsparse_index_base_SD_SD_SD_bbb.private_seg_size, 0
	.set _ZN9rocsparseL41csrgemm_numeric_fill_block_per_row_kernelILj1024ELj64ELj16384ELj137ELj64ElifEEvT5_PKS1_S3_NS_24const_host_device_scalarIT6_EEPKT4_S3_PKS5_S9_S3_SB_S6_S9_S3_SB_S9_S3_PS5_21rocsparse_index_base_SD_SD_SD_bbb.uses_vcc, 1
	.set _ZN9rocsparseL41csrgemm_numeric_fill_block_per_row_kernelILj1024ELj64ELj16384ELj137ELj64ElifEEvT5_PKS1_S3_NS_24const_host_device_scalarIT6_EEPKT4_S3_PKS5_S9_S3_SB_S6_S9_S3_SB_S9_S3_PS5_21rocsparse_index_base_SD_SD_SD_bbb.uses_flat_scratch, 0
	.set _ZN9rocsparseL41csrgemm_numeric_fill_block_per_row_kernelILj1024ELj64ELj16384ELj137ELj64ElifEEvT5_PKS1_S3_NS_24const_host_device_scalarIT6_EEPKT4_S3_PKS5_S9_S3_SB_S6_S9_S3_SB_S9_S3_PS5_21rocsparse_index_base_SD_SD_SD_bbb.has_dyn_sized_stack, 0
	.set _ZN9rocsparseL41csrgemm_numeric_fill_block_per_row_kernelILj1024ELj64ELj16384ELj137ELj64ElifEEvT5_PKS1_S3_NS_24const_host_device_scalarIT6_EEPKT4_S3_PKS5_S9_S3_SB_S6_S9_S3_SB_S9_S3_PS5_21rocsparse_index_base_SD_SD_SD_bbb.has_recursion, 0
	.set _ZN9rocsparseL41csrgemm_numeric_fill_block_per_row_kernelILj1024ELj64ELj16384ELj137ELj64ElifEEvT5_PKS1_S3_NS_24const_host_device_scalarIT6_EEPKT4_S3_PKS5_S9_S3_SB_S6_S9_S3_SB_S9_S3_PS5_21rocsparse_index_base_SD_SD_SD_bbb.has_indirect_call, 0
	.section	.AMDGPU.csdata,"",@progbits
; Kernel info:
; codeLenInByte = 3420
; TotalNumSgprs: 46
; NumVgprs: 18
; ScratchSize: 0
; MemoryBound: 0
; FloatMode: 240
; IeeeMode: 1
; LDSByteSize: 0 bytes/workgroup (compile time only)
; SGPRBlocks: 0
; VGPRBlocks: 1
; NumSGPRsForWavesPerEU: 46
; NumVGPRsForWavesPerEU: 18
; NamedBarCnt: 0
; Occupancy: 16
; WaveLimiterHint : 1
; COMPUTE_PGM_RSRC2:SCRATCH_EN: 0
; COMPUTE_PGM_RSRC2:USER_SGPR: 2
; COMPUTE_PGM_RSRC2:TRAP_HANDLER: 0
; COMPUTE_PGM_RSRC2:TGID_X_EN: 1
; COMPUTE_PGM_RSRC2:TGID_Y_EN: 0
; COMPUTE_PGM_RSRC2:TGID_Z_EN: 0
; COMPUTE_PGM_RSRC2:TIDIG_COMP_CNT: 0
	.section	.text._ZN9rocsparseL41csrgemm_numeric_fill_block_per_row_kernelILj1024ELj64ELj32768ELj137ELj32ElifEEvT5_PKS1_S3_NS_24const_host_device_scalarIT6_EEPKT4_S3_PKS5_S9_S3_SB_S6_S9_S3_SB_S9_S3_PS5_21rocsparse_index_base_SD_SD_SD_bbb,"axG",@progbits,_ZN9rocsparseL41csrgemm_numeric_fill_block_per_row_kernelILj1024ELj64ELj32768ELj137ELj32ElifEEvT5_PKS1_S3_NS_24const_host_device_scalarIT6_EEPKT4_S3_PKS5_S9_S3_SB_S6_S9_S3_SB_S9_S3_PS5_21rocsparse_index_base_SD_SD_SD_bbb,comdat
	.globl	_ZN9rocsparseL41csrgemm_numeric_fill_block_per_row_kernelILj1024ELj64ELj32768ELj137ELj32ElifEEvT5_PKS1_S3_NS_24const_host_device_scalarIT6_EEPKT4_S3_PKS5_S9_S3_SB_S6_S9_S3_SB_S9_S3_PS5_21rocsparse_index_base_SD_SD_SD_bbb ; -- Begin function _ZN9rocsparseL41csrgemm_numeric_fill_block_per_row_kernelILj1024ELj64ELj32768ELj137ELj32ElifEEvT5_PKS1_S3_NS_24const_host_device_scalarIT6_EEPKT4_S3_PKS5_S9_S3_SB_S6_S9_S3_SB_S9_S3_PS5_21rocsparse_index_base_SD_SD_SD_bbb
	.p2align	8
	.type	_ZN9rocsparseL41csrgemm_numeric_fill_block_per_row_kernelILj1024ELj64ELj32768ELj137ELj32ElifEEvT5_PKS1_S3_NS_24const_host_device_scalarIT6_EEPKT4_S3_PKS5_S9_S3_SB_S6_S9_S3_SB_S9_S3_PS5_21rocsparse_index_base_SD_SD_SD_bbb,@function
_ZN9rocsparseL41csrgemm_numeric_fill_block_per_row_kernelILj1024ELj64ELj32768ELj137ELj32ElifEEvT5_PKS1_S3_NS_24const_host_device_scalarIT6_EEPKT4_S3_PKS5_S9_S3_SB_S6_S9_S3_SB_S9_S3_PS5_21rocsparse_index_base_SD_SD_SD_bbb: ; @_ZN9rocsparseL41csrgemm_numeric_fill_block_per_row_kernelILj1024ELj64ELj32768ELj137ELj32ElifEEvT5_PKS1_S3_NS_24const_host_device_scalarIT6_EEPKT4_S3_PKS5_S9_S3_SB_S6_S9_S3_SB_S9_S3_PS5_21rocsparse_index_base_SD_SD_SD_bbb
; %bb.0:
	s_clause 0x3
	s_load_b32 s6, s[0:1], 0x98
	s_load_b64 s[4:5], s[0:1], 0x18
	s_load_b128 s[44:47], s[0:1], 0x88
	s_load_b64 s[2:3], s[0:1], 0x50
	s_wait_kmcnt 0x0
	s_and_b32 s8, 1, s6
	s_bitcmp1_b32 s6, 16
	s_cselect_b32 s7, -1, 0
	s_cmp_eq_u32 s8, 1
	s_cselect_b32 s23, -1, 0
	s_delay_alu instid0(SALU_CYCLE_1) | instskip(SKIP_2) | instid1(SALU_CYCLE_1)
	s_and_b32 s8, s23, exec_lo
	s_cselect_b32 s21, s4, 0
	s_xor_b32 s8, s23, -1
	s_or_b32 s8, s7, s8
	s_delay_alu instid0(SALU_CYCLE_1)
	s_and_b32 vcc_lo, exec_lo, s8
	s_cbranch_vccnz .LBB176_2
; %bb.1:
	s_load_b32 s21, s[4:5], 0x0
.LBB176_2:
	s_load_b128 s[16:19], s[0:1], 0x8
	s_bitcmp1_b32 s6, 8
	s_cselect_b32 s22, -1, 0
	s_wait_xcnt 0x0
	s_and_b32 s4, s22, exec_lo
	s_cselect_b32 s20, s2, 0
	s_xor_b32 s4, s22, -1
	s_delay_alu instid0(SALU_CYCLE_1) | instskip(NEXT) | instid1(SALU_CYCLE_1)
	s_or_b32 s4, s7, s4
	s_and_b32 vcc_lo, exec_lo, s4
	s_cbranch_vccnz .LBB176_4
; %bb.3:
	s_load_b32 s20, s[2:3], 0x0
.LBB176_4:
	s_clause 0x4
	s_load_b32 s33, s[0:1], 0x0
	s_load_b64 s[34:35], s[0:1], 0x80
	s_load_b256 s[36:43], s[0:1], 0x58
	s_load_b128 s[12:15], s[0:1], 0x40
	s_load_b256 s[4:11], s[0:1], 0x20
	v_lshl_add_u32 v10, v0, 2, 0
	v_or_b32_e32 v11, 0xfffffc00, v0
	v_mov_b32_e32 v1, 0
	s_wait_xcnt 0x0
	s_mov_b32 s0, 0
	s_delay_alu instid0(VALU_DEP_2)
	v_dual_mov_b32 v2, v10 :: v_dual_mov_b32 v4, v11
	s_wait_kmcnt 0x0
	v_mov_b32_e32 v3, s33
.LBB176_5:                              ; =>This Inner Loop Header: Depth=1
	s_delay_alu instid0(VALU_DEP_2) | instskip(NEXT) | instid1(VALU_DEP_3)
	v_add_nc_u32_e32 v4, 0x400, v4
	v_add_nc_u32_e32 v5, 0x20000, v2
	ds_store_b32 v2, v3
	v_add_nc_u32_e32 v2, 0x1000, v2
	v_cmp_lt_u32_e32 vcc_lo, 0x7bff, v4
	ds_store_b32 v5, v1
	s_or_b32 s0, vcc_lo, s0
	s_delay_alu instid0(SALU_CYCLE_1)
	s_and_not1_b32 exec_lo, exec_lo, s0
	s_cbranch_execnz .LBB176_5
; %bb.6:
	s_or_b32 exec_lo, exec_lo, s0
	s_wait_dscnt 0x0
	s_barrier_signal -1
	s_barrier_wait -1
	s_load_b32 s0, s[16:17], 0x0
	s_bfe_u32 s1, ttmp6, 0x4000c
	s_and_b32 s2, ttmp6, 15
	s_add_co_i32 s1, s1, 1
	s_getreg_b32 s3, hwreg(HW_REG_IB_STS2, 6, 4)
	s_mul_i32 s1, ttmp9, s1
	s_delay_alu instid0(SALU_CYCLE_1)
	s_add_co_i32 s2, s2, s1
	s_cmp_eq_u32 s3, 0
	s_cselect_b32 s1, ttmp9, s2
	s_and_b32 vcc_lo, s23, exec_lo
	s_wait_kmcnt 0x0
	s_add_co_i32 s0, s0, s1
	s_mov_b32 s1, 0
	s_load_b32 s48, s[18:19], s0 offset:0x0 scale_offset
	s_cbranch_vccz .LBB176_24
; %bb.7:
	s_wait_kmcnt 0x0
	s_ashr_i32 s49, s48, 31
	v_dual_mov_b32 v5, 0 :: v_dual_lshrrev_b32 v4, 6, v0
	s_lshl_b64 s[2:3], s[48:49], 3
	s_mov_b32 s0, s44
	s_add_nc_u64 s[2:3], s[4:5], s[2:3]
	s_mov_b32 s4, exec_lo
	s_load_b128 s[16:19], s[2:3], 0x0
	v_sub_nc_u64_e64 v[2:3], v[4:5], s[0:1]
	s_wait_kmcnt 0x0
	s_delay_alu instid0(VALU_DEP_1)
	v_add_nc_u64_e32 v[2:3], s[16:17], v[2:3]
	s_sub_nc_u64 s[0:1], s[18:19], s[0:1]
	s_delay_alu instid0(VALU_DEP_1) | instid1(SALU_CYCLE_1)
	v_cmpx_gt_i64_e64 s[0:1], v[2:3]
	s_cbranch_execz .LBB176_23
; %bb.8:
	v_and_b32_e32 v4, 63, v0
	s_mov_b32 s3, 0
	s_mov_b32 s2, s45
	;; [unrolled: 1-line block ×3, first 2 shown]
	s_delay_alu instid0(VALU_DEP_1)
	v_sub_nc_u64_e64 v[4:5], v[4:5], s[2:3]
	s_branch .LBB176_10
.LBB176_9:                              ;   in Loop: Header=BB176_10 Depth=1
	s_or_b32 exec_lo, exec_lo, s16
	v_add_nc_u64_e32 v[2:3], 16, v[2:3]
	s_delay_alu instid0(VALU_DEP_1) | instskip(SKIP_1) | instid1(SALU_CYCLE_1)
	v_cmp_le_i64_e32 vcc_lo, s[0:1], v[2:3]
	s_or_b32 s5, vcc_lo, s5
	s_and_not1_b32 exec_lo, exec_lo, s5
	s_cbranch_execz .LBB176_23
.LBB176_10:                             ; =>This Loop Header: Depth=1
                                        ;     Child Loop BB176_14 Depth 2
                                        ;       Child Loop BB176_17 Depth 3
	v_lshl_add_u64 v[6:7], v[2:3], 2, s[6:7]
	s_mov_b32 s16, exec_lo
	global_load_b32 v1, v[6:7], off
	s_wait_loadcnt 0x0
	s_wait_xcnt 0x0
	v_subrev_nc_u32_e32 v6, s44, v1
	s_delay_alu instid0(VALU_DEP_1) | instskip(NEXT) | instid1(VALU_DEP_1)
	v_ashrrev_i32_e32 v7, 31, v6
	v_lshl_add_u64 v[6:7], v[6:7], 3, s[10:11]
	global_load_b128 v[12:15], v[6:7], off
	s_wait_loadcnt 0x0
	s_wait_xcnt 0x0
	v_sub_nc_u64_e64 v[6:7], v[14:15], s[2:3]
	v_add_nc_u64_e32 v[8:9], v[12:13], v[4:5]
	s_delay_alu instid0(VALU_DEP_1)
	v_cmpx_lt_i64_e64 v[8:9], v[6:7]
	s_cbranch_execz .LBB176_9
; %bb.11:                               ;   in Loop: Header=BB176_10 Depth=1
	v_lshl_add_u64 v[12:13], v[2:3], 2, s[8:9]
	s_mov_b32 s17, 0
	global_load_b32 v1, v[12:13], off
	s_wait_loadcnt 0x0
	v_mul_f32_e32 v1, s21, v1
	s_branch .LBB176_14
.LBB176_12:                             ;   in Loop: Header=BB176_14 Depth=2
	s_or_b32 exec_lo, exec_lo, s19
.LBB176_13:                             ;   in Loop: Header=BB176_14 Depth=2
	s_delay_alu instid0(SALU_CYCLE_1) | instskip(SKIP_3) | instid1(VALU_DEP_2)
	s_or_b32 exec_lo, exec_lo, s18
	s_wait_loadcnt 0x0
	v_dual_mul_f32 v12, v1, v12 :: v_dual_lshlrev_b32 v13, 2, v13
	v_add_nc_u64_e32 v[8:9], 64, v[8:9]
	v_add3_u32 v13, 0, v13, 0x20000
	s_delay_alu instid0(VALU_DEP_2) | instskip(SKIP_2) | instid1(SALU_CYCLE_1)
	v_cmp_ge_i64_e32 vcc_lo, v[8:9], v[6:7]
	ds_add_f32 v13, v12
	s_or_b32 s17, vcc_lo, s17
	s_and_not1_b32 exec_lo, exec_lo, s17
	s_cbranch_execz .LBB176_9
.LBB176_14:                             ;   Parent Loop BB176_10 Depth=1
                                        ; =>  This Loop Header: Depth=2
                                        ;       Child Loop BB176_17 Depth 3
	s_wait_xcnt 0x0
	v_lshlrev_b64_e32 v[12:13], 2, v[8:9]
	s_mov_b32 s18, exec_lo
	s_delay_alu instid0(VALU_DEP_1)
	v_add_nc_u64_e32 v[14:15], s[12:13], v[12:13]
	v_add_nc_u64_e32 v[12:13], s[14:15], v[12:13]
	global_load_b32 v14, v[14:15], off
	global_load_b32 v12, v[12:13], off
	s_wait_loadcnt 0x1
	s_wait_xcnt 0x1
	v_subrev_nc_u32_e32 v14, s45, v14
	s_wait_xcnt 0x0
	s_delay_alu instid0(VALU_DEP_1) | instskip(NEXT) | instid1(VALU_DEP_1)
	v_mul_lo_u32 v13, 0x89, v14
	v_and_b32_e32 v13, 0x7fff, v13
	s_delay_alu instid0(VALU_DEP_1)
	v_lshl_add_u32 v15, v13, 2, 0
	ds_load_b32 v16, v15
	s_wait_dscnt 0x0
	v_cmpx_ne_u32_e64 v16, v14
	s_cbranch_execz .LBB176_13
; %bb.15:                               ;   in Loop: Header=BB176_14 Depth=2
	s_mov_b32 s19, 0
	s_branch .LBB176_17
.LBB176_16:                             ;   in Loop: Header=BB176_17 Depth=3
	s_or_b32 exec_lo, exec_lo, s25
	s_delay_alu instid0(SALU_CYCLE_1) | instskip(NEXT) | instid1(SALU_CYCLE_1)
	s_and_b32 s23, exec_lo, s24
	s_or_b32 s19, s23, s19
	s_delay_alu instid0(SALU_CYCLE_1)
	s_and_not1_b32 exec_lo, exec_lo, s19
	s_cbranch_execz .LBB176_12
.LBB176_17:                             ;   Parent Loop BB176_10 Depth=1
                                        ;     Parent Loop BB176_14 Depth=2
                                        ; =>    This Inner Loop Header: Depth=3
	s_mov_b32 s23, 0
	s_mov_b32 s24, exec_lo
	v_cmpx_ne_u32_e64 s33, v16
	s_xor_b32 s24, exec_lo, s24
	s_cbranch_execz .LBB176_19
; %bb.18:                               ;   in Loop: Header=BB176_17 Depth=3
	v_add_nc_u32_e32 v13, 1, v13
	s_mov_b32 s23, exec_lo
                                        ; implicit-def: $vgpr15
	s_delay_alu instid0(VALU_DEP_1)
	v_and_b32_e32 v13, 0x7fff, v13
	s_and_not1_saveexec_b32 s24, s24
	s_cbranch_execz .LBB176_21
	s_branch .LBB176_20
.LBB176_19:                             ;   in Loop: Header=BB176_17 Depth=3
	s_and_not1_saveexec_b32 s24, s24
	s_cbranch_execz .LBB176_21
.LBB176_20:                             ;   in Loop: Header=BB176_17 Depth=3
	v_mov_b32_e32 v16, s33
	s_and_not1_b32 s23, s23, exec_lo
	ds_cmpstore_rtn_b32 v15, v15, v14, v16
	s_wait_dscnt 0x0
	v_cmp_ne_u32_e32 vcc_lo, s33, v15
	s_and_b32 s25, vcc_lo, exec_lo
	s_delay_alu instid0(SALU_CYCLE_1)
	s_or_b32 s23, s23, s25
.LBB176_21:                             ;   in Loop: Header=BB176_17 Depth=3
	s_or_b32 exec_lo, exec_lo, s24
	s_mov_b32 s24, -1
                                        ; implicit-def: $vgpr15
                                        ; implicit-def: $vgpr16
	s_and_saveexec_b32 s25, s23
	s_cbranch_execz .LBB176_16
; %bb.22:                               ;   in Loop: Header=BB176_17 Depth=3
	v_lshl_add_u32 v15, v13, 2, 0
	ds_load_b32 v16, v15
	s_wait_dscnt 0x0
	v_cmp_eq_u32_e32 vcc_lo, v16, v14
	s_or_not1_b32 s24, vcc_lo, exec_lo
	s_branch .LBB176_16
.LBB176_23:
	s_or_b32 exec_lo, exec_lo, s4
.LBB176_24:
	s_delay_alu instid0(SALU_CYCLE_1)
	s_and_not1_b32 vcc_lo, exec_lo, s22
	s_cbranch_vccnz .LBB176_27
; %bb.25:
	s_wait_kmcnt 0x0
	s_ashr_i32 s49, s48, 31
	v_mov_b32_e32 v1, 0
	s_lshl_b64 s[0:1], s[48:49], 3
	s_delay_alu instid0(SALU_CYCLE_1) | instskip(SKIP_4) | instid1(SALU_CYCLE_1)
	s_add_nc_u64 s[0:1], s[36:37], s[0:1]
	s_load_b128 s[4:7], s[0:1], 0x0
	s_wait_xcnt 0x0
	s_mov_b32 s1, 0
	s_mov_b32 s0, s47
	v_sub_nc_u64_e64 v[2:3], v[0:1], s[0:1]
	s_wait_kmcnt 0x0
	s_delay_alu instid0(VALU_DEP_1) | instskip(SKIP_2) | instid1(VALU_DEP_1)
	v_add_nc_u64_e32 v[2:3], s[4:5], v[2:3]
	s_sub_nc_u64 s[2:3], s[6:7], s[0:1]
	s_mov_b32 s0, exec_lo
	v_cmpx_gt_i64_e64 s[2:3], v[2:3]
	s_cbranch_execnz .LBB176_97
.LBB176_26:
	s_or_b32 exec_lo, exec_lo, s0
.LBB176_27:
	v_mbcnt_lo_u32_b32 v1, -1, 0
	v_lshrrev_b32_e32 v2, 3, v0
	s_wait_xcnt 0x0
	v_cmp_lt_u32_e64 s0, 31, v0
	v_cmp_lt_u32_e64 s1, 63, v0
	v_cmp_lt_u32_e64 s2, 0x5f, v0
	v_xor_b32_e32 v3, 31, v1
	v_and_b32_e32 v4, 0x7c, v2
	v_mov_b32_e32 v1, 0
	v_cmp_lt_u32_e64 s3, 0x7f, v0
	v_cmp_lt_u32_e64 s4, 0x9f, v0
	v_lshrrev_b32_e64 v2, v3, -1
	v_add3_u32 v3, 0x40000, 0, v4
	v_cmp_lt_u32_e64 s5, 0xbf, v0
	v_cmp_lt_u32_e64 s6, 0xdf, v0
	;; [unrolled: 1-line block ×26, first 2 shown]
	s_mov_b32 s36, 0
	s_add_co_i32 s37, 0, 0x40000
	s_add_co_i32 s38, 0, 0x40004
	;; [unrolled: 1-line block ×32, first 2 shown]
	s_wait_dscnt 0x0
	s_barrier_signal -1
	s_barrier_wait -1
	v_cmp_eq_u32_e32 vcc_lo, 0x3ff, v0
	s_branch .LBB176_29
.LBB176_28:                             ;   in Loop: Header=BB176_29 Depth=1
	s_or_b32 exec_lo, exec_lo, s31
	v_dual_mov_b32 v4, s72 :: v_dual_add_nc_u32 v11, 0x400, v11
	s_wait_dscnt 0x0
	s_barrier_signal -1
	s_barrier_wait -1
	ds_load_b32 v4, v4
	v_cmp_lt_u32_e64 s31, 0x7bff, v11
	v_add_nc_u32_e32 v10, 0x1000, v10
	s_or_b32 s36, s31, s36
	s_wait_dscnt 0x0
	v_add_nc_u32_e32 v1, v4, v1
	s_and_not1_b32 exec_lo, exec_lo, s36
	s_cbranch_execz .LBB176_106
.LBB176_29:                             ; =>This Inner Loop Header: Depth=1
	ds_load_b32 v4, v10
	v_add_nc_u32_e32 v5, 0x20000, v10
	ds_load_b32 v5, v5
	s_wait_dscnt 0x0
	s_barrier_signal -1
	s_barrier_wait -1
	v_cmp_gt_i32_e64 s31, s33, v4
	s_bcnt1_i32_b32 s73, s31
	s_delay_alu instid0(SALU_CYCLE_1) | instskip(NEXT) | instid1(VALU_DEP_1)
	v_dual_mov_b32 v7, s73 :: v_dual_bitop2_b32 v6, s31, v2 bitop3:0x40
	v_bcnt_u32_b32 v6, v6, 0
	ds_store_b32 v3, v7
	s_wait_dscnt 0x0
	s_barrier_signal -1
	s_barrier_wait -1
	s_and_saveexec_b32 s73, s0
	s_cbranch_execz .LBB176_62
; %bb.30:                               ;   in Loop: Header=BB176_29 Depth=1
	v_mov_b32_e32 v7, s37
	ds_load_b32 v7, v7
	s_wait_dscnt 0x0
	v_add_nc_u32_e32 v6, v7, v6
	s_or_b32 exec_lo, exec_lo, s73
	s_and_saveexec_b32 s73, s1
	s_cbranch_execnz .LBB176_63
.LBB176_31:                             ;   in Loop: Header=BB176_29 Depth=1
	s_or_b32 exec_lo, exec_lo, s73
	s_and_saveexec_b32 s73, s2
	s_cbranch_execz .LBB176_64
.LBB176_32:                             ;   in Loop: Header=BB176_29 Depth=1
	v_mov_b32_e32 v7, s39
	ds_load_b32 v7, v7
	s_wait_dscnt 0x0
	v_add_nc_u32_e32 v6, v7, v6
	s_or_b32 exec_lo, exec_lo, s73
	s_and_saveexec_b32 s73, s3
	s_cbranch_execnz .LBB176_65
.LBB176_33:                             ;   in Loop: Header=BB176_29 Depth=1
	s_or_b32 exec_lo, exec_lo, s73
	s_and_saveexec_b32 s73, s4
	s_cbranch_execz .LBB176_66
.LBB176_34:                             ;   in Loop: Header=BB176_29 Depth=1
	v_mov_b32_e32 v7, s41
	ds_load_b32 v7, v7
	s_wait_dscnt 0x0
	v_add_nc_u32_e32 v6, v7, v6
	s_or_b32 exec_lo, exec_lo, s73
	s_and_saveexec_b32 s73, s5
	s_cbranch_execnz .LBB176_67
.LBB176_35:                             ;   in Loop: Header=BB176_29 Depth=1
	s_or_b32 exec_lo, exec_lo, s73
	s_and_saveexec_b32 s73, s6
	s_cbranch_execz .LBB176_68
.LBB176_36:                             ;   in Loop: Header=BB176_29 Depth=1
	v_mov_b32_e32 v7, s45
	ds_load_b32 v7, v7
	s_wait_dscnt 0x0
	v_add_nc_u32_e32 v6, v7, v6
	s_or_b32 exec_lo, exec_lo, s73
	s_and_saveexec_b32 s73, s7
	s_cbranch_execnz .LBB176_69
.LBB176_37:                             ;   in Loop: Header=BB176_29 Depth=1
	s_or_b32 exec_lo, exec_lo, s73
	s_and_saveexec_b32 s73, s8
	s_cbranch_execz .LBB176_70
.LBB176_38:                             ;   in Loop: Header=BB176_29 Depth=1
	v_mov_b32_e32 v7, s49
	ds_load_b32 v7, v7
	s_wait_dscnt 0x0
	v_add_nc_u32_e32 v6, v7, v6
	s_or_b32 exec_lo, exec_lo, s73
	s_and_saveexec_b32 s73, s9
	s_cbranch_execnz .LBB176_71
.LBB176_39:                             ;   in Loop: Header=BB176_29 Depth=1
	s_or_b32 exec_lo, exec_lo, s73
	s_and_saveexec_b32 s73, s10
	s_cbranch_execz .LBB176_72
.LBB176_40:                             ;   in Loop: Header=BB176_29 Depth=1
	v_mov_b32_e32 v7, s51
	ds_load_b32 v7, v7
	s_wait_dscnt 0x0
	v_add_nc_u32_e32 v6, v7, v6
	s_or_b32 exec_lo, exec_lo, s73
	s_and_saveexec_b32 s73, s11
	s_cbranch_execnz .LBB176_73
.LBB176_41:                             ;   in Loop: Header=BB176_29 Depth=1
	s_or_b32 exec_lo, exec_lo, s73
	s_and_saveexec_b32 s73, s12
	s_cbranch_execz .LBB176_74
.LBB176_42:                             ;   in Loop: Header=BB176_29 Depth=1
	v_mov_b32_e32 v7, s53
	ds_load_b32 v7, v7
	s_wait_dscnt 0x0
	v_add_nc_u32_e32 v6, v7, v6
	s_or_b32 exec_lo, exec_lo, s73
	s_and_saveexec_b32 s73, s13
	s_cbranch_execnz .LBB176_75
.LBB176_43:                             ;   in Loop: Header=BB176_29 Depth=1
	s_or_b32 exec_lo, exec_lo, s73
	s_and_saveexec_b32 s73, s14
	s_cbranch_execz .LBB176_76
.LBB176_44:                             ;   in Loop: Header=BB176_29 Depth=1
	v_mov_b32_e32 v7, s55
	ds_load_b32 v7, v7
	s_wait_dscnt 0x0
	v_add_nc_u32_e32 v6, v7, v6
	s_or_b32 exec_lo, exec_lo, s73
	s_and_saveexec_b32 s73, s15
	s_cbranch_execnz .LBB176_77
.LBB176_45:                             ;   in Loop: Header=BB176_29 Depth=1
	s_or_b32 exec_lo, exec_lo, s73
	s_and_saveexec_b32 s73, s16
	s_cbranch_execz .LBB176_78
.LBB176_46:                             ;   in Loop: Header=BB176_29 Depth=1
	v_mov_b32_e32 v7, s57
	ds_load_b32 v7, v7
	s_wait_dscnt 0x0
	v_add_nc_u32_e32 v6, v7, v6
	s_or_b32 exec_lo, exec_lo, s73
	s_and_saveexec_b32 s73, s17
	s_cbranch_execnz .LBB176_79
.LBB176_47:                             ;   in Loop: Header=BB176_29 Depth=1
	s_or_b32 exec_lo, exec_lo, s73
	s_and_saveexec_b32 s73, s18
	s_cbranch_execz .LBB176_80
.LBB176_48:                             ;   in Loop: Header=BB176_29 Depth=1
	v_mov_b32_e32 v7, s59
	ds_load_b32 v7, v7
	s_wait_dscnt 0x0
	v_add_nc_u32_e32 v6, v7, v6
	s_or_b32 exec_lo, exec_lo, s73
	s_and_saveexec_b32 s73, s19
	s_cbranch_execnz .LBB176_81
.LBB176_49:                             ;   in Loop: Header=BB176_29 Depth=1
	s_or_b32 exec_lo, exec_lo, s73
	s_and_saveexec_b32 s73, s20
	s_cbranch_execz .LBB176_82
.LBB176_50:                             ;   in Loop: Header=BB176_29 Depth=1
	v_mov_b32_e32 v7, s61
	ds_load_b32 v7, v7
	s_wait_dscnt 0x0
	v_add_nc_u32_e32 v6, v7, v6
	s_or_b32 exec_lo, exec_lo, s73
	s_and_saveexec_b32 s73, s21
	s_cbranch_execnz .LBB176_83
.LBB176_51:                             ;   in Loop: Header=BB176_29 Depth=1
	s_or_b32 exec_lo, exec_lo, s73
	s_and_saveexec_b32 s73, s22
	s_cbranch_execz .LBB176_84
.LBB176_52:                             ;   in Loop: Header=BB176_29 Depth=1
	v_mov_b32_e32 v7, s63
	ds_load_b32 v7, v7
	s_wait_dscnt 0x0
	v_add_nc_u32_e32 v6, v7, v6
	s_or_b32 exec_lo, exec_lo, s73
	s_and_saveexec_b32 s73, s23
	s_cbranch_execnz .LBB176_85
.LBB176_53:                             ;   in Loop: Header=BB176_29 Depth=1
	s_or_b32 exec_lo, exec_lo, s73
	s_and_saveexec_b32 s73, s24
	s_cbranch_execz .LBB176_86
.LBB176_54:                             ;   in Loop: Header=BB176_29 Depth=1
	v_mov_b32_e32 v7, s65
	ds_load_b32 v7, v7
	s_wait_dscnt 0x0
	v_add_nc_u32_e32 v6, v7, v6
	s_or_b32 exec_lo, exec_lo, s73
	s_and_saveexec_b32 s73, s25
	s_cbranch_execnz .LBB176_87
.LBB176_55:                             ;   in Loop: Header=BB176_29 Depth=1
	s_or_b32 exec_lo, exec_lo, s73
	s_and_saveexec_b32 s73, s26
	s_cbranch_execz .LBB176_88
.LBB176_56:                             ;   in Loop: Header=BB176_29 Depth=1
	v_mov_b32_e32 v7, s67
	ds_load_b32 v7, v7
	s_wait_dscnt 0x0
	v_add_nc_u32_e32 v6, v7, v6
	s_or_b32 exec_lo, exec_lo, s73
	s_and_saveexec_b32 s73, s27
	s_cbranch_execnz .LBB176_89
.LBB176_57:                             ;   in Loop: Header=BB176_29 Depth=1
	s_or_b32 exec_lo, exec_lo, s73
	s_and_saveexec_b32 s73, s28
	s_cbranch_execz .LBB176_90
.LBB176_58:                             ;   in Loop: Header=BB176_29 Depth=1
	v_mov_b32_e32 v7, s69
	ds_load_b32 v7, v7
	s_wait_dscnt 0x0
	v_add_nc_u32_e32 v6, v7, v6
	s_or_b32 exec_lo, exec_lo, s73
	s_and_saveexec_b32 s73, s29
	s_cbranch_execnz .LBB176_91
.LBB176_59:                             ;   in Loop: Header=BB176_29 Depth=1
	s_or_b32 exec_lo, exec_lo, s73
	s_and_saveexec_b32 s73, s30
	s_cbranch_execz .LBB176_92
.LBB176_60:                             ;   in Loop: Header=BB176_29 Depth=1
	v_mov_b32_e32 v7, s71
	ds_load_b32 v7, v7
	s_wait_dscnt 0x0
	v_add_nc_u32_e32 v6, v7, v6
	s_or_b32 exec_lo, exec_lo, s73
	s_and_saveexec_b32 s73, s31
	s_cbranch_execnz .LBB176_93
.LBB176_61:                             ;   in Loop: Header=BB176_29 Depth=1
	s_or_b32 exec_lo, exec_lo, s73
	s_and_saveexec_b32 s31, vcc_lo
	s_cbranch_execz .LBB176_28
	s_branch .LBB176_94
.LBB176_62:                             ;   in Loop: Header=BB176_29 Depth=1
	s_or_b32 exec_lo, exec_lo, s73
	s_and_saveexec_b32 s73, s1
	s_cbranch_execz .LBB176_31
.LBB176_63:                             ;   in Loop: Header=BB176_29 Depth=1
	v_mov_b32_e32 v7, s38
	ds_load_b32 v7, v7
	s_wait_dscnt 0x0
	v_add_nc_u32_e32 v6, v7, v6
	s_or_b32 exec_lo, exec_lo, s73
	s_and_saveexec_b32 s73, s2
	s_cbranch_execnz .LBB176_32
.LBB176_64:                             ;   in Loop: Header=BB176_29 Depth=1
	s_or_b32 exec_lo, exec_lo, s73
	s_and_saveexec_b32 s73, s3
	s_cbranch_execz .LBB176_33
.LBB176_65:                             ;   in Loop: Header=BB176_29 Depth=1
	v_mov_b32_e32 v7, s40
	ds_load_b32 v7, v7
	s_wait_dscnt 0x0
	v_add_nc_u32_e32 v6, v7, v6
	s_or_b32 exec_lo, exec_lo, s73
	s_and_saveexec_b32 s73, s4
	s_cbranch_execnz .LBB176_34
.LBB176_66:                             ;   in Loop: Header=BB176_29 Depth=1
	s_or_b32 exec_lo, exec_lo, s73
	s_and_saveexec_b32 s73, s5
	s_cbranch_execz .LBB176_35
.LBB176_67:                             ;   in Loop: Header=BB176_29 Depth=1
	v_mov_b32_e32 v7, s44
	ds_load_b32 v7, v7
	s_wait_dscnt 0x0
	v_add_nc_u32_e32 v6, v7, v6
	s_or_b32 exec_lo, exec_lo, s73
	s_and_saveexec_b32 s73, s6
	s_cbranch_execnz .LBB176_36
.LBB176_68:                             ;   in Loop: Header=BB176_29 Depth=1
	s_or_b32 exec_lo, exec_lo, s73
	s_and_saveexec_b32 s73, s7
	s_cbranch_execz .LBB176_37
.LBB176_69:                             ;   in Loop: Header=BB176_29 Depth=1
	v_mov_b32_e32 v7, s47
	ds_load_b32 v7, v7
	s_wait_dscnt 0x0
	v_add_nc_u32_e32 v6, v7, v6
	s_or_b32 exec_lo, exec_lo, s73
	s_and_saveexec_b32 s73, s8
	s_cbranch_execnz .LBB176_38
.LBB176_70:                             ;   in Loop: Header=BB176_29 Depth=1
	s_or_b32 exec_lo, exec_lo, s73
	s_and_saveexec_b32 s73, s9
	s_cbranch_execz .LBB176_39
.LBB176_71:                             ;   in Loop: Header=BB176_29 Depth=1
	v_mov_b32_e32 v7, s50
	ds_load_b32 v7, v7
	s_wait_dscnt 0x0
	v_add_nc_u32_e32 v6, v7, v6
	s_or_b32 exec_lo, exec_lo, s73
	s_and_saveexec_b32 s73, s10
	s_cbranch_execnz .LBB176_40
.LBB176_72:                             ;   in Loop: Header=BB176_29 Depth=1
	s_or_b32 exec_lo, exec_lo, s73
	s_and_saveexec_b32 s73, s11
	s_cbranch_execz .LBB176_41
.LBB176_73:                             ;   in Loop: Header=BB176_29 Depth=1
	v_mov_b32_e32 v7, s52
	ds_load_b32 v7, v7
	s_wait_dscnt 0x0
	v_add_nc_u32_e32 v6, v7, v6
	s_or_b32 exec_lo, exec_lo, s73
	s_and_saveexec_b32 s73, s12
	s_cbranch_execnz .LBB176_42
.LBB176_74:                             ;   in Loop: Header=BB176_29 Depth=1
	s_or_b32 exec_lo, exec_lo, s73
	s_and_saveexec_b32 s73, s13
	s_cbranch_execz .LBB176_43
.LBB176_75:                             ;   in Loop: Header=BB176_29 Depth=1
	v_mov_b32_e32 v7, s54
	ds_load_b32 v7, v7
	s_wait_dscnt 0x0
	v_add_nc_u32_e32 v6, v7, v6
	s_or_b32 exec_lo, exec_lo, s73
	s_and_saveexec_b32 s73, s14
	s_cbranch_execnz .LBB176_44
.LBB176_76:                             ;   in Loop: Header=BB176_29 Depth=1
	s_or_b32 exec_lo, exec_lo, s73
	s_and_saveexec_b32 s73, s15
	s_cbranch_execz .LBB176_45
.LBB176_77:                             ;   in Loop: Header=BB176_29 Depth=1
	v_mov_b32_e32 v7, s56
	ds_load_b32 v7, v7
	s_wait_dscnt 0x0
	v_add_nc_u32_e32 v6, v7, v6
	s_or_b32 exec_lo, exec_lo, s73
	s_and_saveexec_b32 s73, s16
	s_cbranch_execnz .LBB176_46
.LBB176_78:                             ;   in Loop: Header=BB176_29 Depth=1
	s_or_b32 exec_lo, exec_lo, s73
	s_and_saveexec_b32 s73, s17
	s_cbranch_execz .LBB176_47
.LBB176_79:                             ;   in Loop: Header=BB176_29 Depth=1
	v_mov_b32_e32 v7, s58
	ds_load_b32 v7, v7
	s_wait_dscnt 0x0
	v_add_nc_u32_e32 v6, v7, v6
	s_or_b32 exec_lo, exec_lo, s73
	s_and_saveexec_b32 s73, s18
	s_cbranch_execnz .LBB176_48
.LBB176_80:                             ;   in Loop: Header=BB176_29 Depth=1
	s_or_b32 exec_lo, exec_lo, s73
	s_and_saveexec_b32 s73, s19
	s_cbranch_execz .LBB176_49
.LBB176_81:                             ;   in Loop: Header=BB176_29 Depth=1
	v_mov_b32_e32 v7, s60
	ds_load_b32 v7, v7
	s_wait_dscnt 0x0
	v_add_nc_u32_e32 v6, v7, v6
	s_or_b32 exec_lo, exec_lo, s73
	s_and_saveexec_b32 s73, s20
	s_cbranch_execnz .LBB176_50
.LBB176_82:                             ;   in Loop: Header=BB176_29 Depth=1
	s_or_b32 exec_lo, exec_lo, s73
	s_and_saveexec_b32 s73, s21
	s_cbranch_execz .LBB176_51
.LBB176_83:                             ;   in Loop: Header=BB176_29 Depth=1
	v_mov_b32_e32 v7, s62
	ds_load_b32 v7, v7
	s_wait_dscnt 0x0
	v_add_nc_u32_e32 v6, v7, v6
	s_or_b32 exec_lo, exec_lo, s73
	s_and_saveexec_b32 s73, s22
	s_cbranch_execnz .LBB176_52
.LBB176_84:                             ;   in Loop: Header=BB176_29 Depth=1
	s_or_b32 exec_lo, exec_lo, s73
	s_and_saveexec_b32 s73, s23
	s_cbranch_execz .LBB176_53
.LBB176_85:                             ;   in Loop: Header=BB176_29 Depth=1
	v_mov_b32_e32 v7, s64
	ds_load_b32 v7, v7
	s_wait_dscnt 0x0
	v_add_nc_u32_e32 v6, v7, v6
	s_or_b32 exec_lo, exec_lo, s73
	s_and_saveexec_b32 s73, s24
	s_cbranch_execnz .LBB176_54
.LBB176_86:                             ;   in Loop: Header=BB176_29 Depth=1
	s_or_b32 exec_lo, exec_lo, s73
	s_and_saveexec_b32 s73, s25
	s_cbranch_execz .LBB176_55
.LBB176_87:                             ;   in Loop: Header=BB176_29 Depth=1
	v_mov_b32_e32 v7, s66
	ds_load_b32 v7, v7
	s_wait_dscnt 0x0
	v_add_nc_u32_e32 v6, v7, v6
	s_or_b32 exec_lo, exec_lo, s73
	s_and_saveexec_b32 s73, s26
	s_cbranch_execnz .LBB176_56
.LBB176_88:                             ;   in Loop: Header=BB176_29 Depth=1
	s_or_b32 exec_lo, exec_lo, s73
	s_and_saveexec_b32 s73, s27
	s_cbranch_execz .LBB176_57
.LBB176_89:                             ;   in Loop: Header=BB176_29 Depth=1
	v_mov_b32_e32 v7, s68
	ds_load_b32 v7, v7
	s_wait_dscnt 0x0
	v_add_nc_u32_e32 v6, v7, v6
	s_or_b32 exec_lo, exec_lo, s73
	s_and_saveexec_b32 s73, s28
	s_cbranch_execnz .LBB176_58
.LBB176_90:                             ;   in Loop: Header=BB176_29 Depth=1
	s_or_b32 exec_lo, exec_lo, s73
	s_and_saveexec_b32 s73, s29
	s_cbranch_execz .LBB176_59
.LBB176_91:                             ;   in Loop: Header=BB176_29 Depth=1
	v_mov_b32_e32 v7, s70
	ds_load_b32 v7, v7
	s_wait_dscnt 0x0
	v_add_nc_u32_e32 v6, v7, v6
	s_or_b32 exec_lo, exec_lo, s73
	s_and_saveexec_b32 s73, s30
	s_cbranch_execnz .LBB176_60
.LBB176_92:                             ;   in Loop: Header=BB176_29 Depth=1
	s_or_b32 exec_lo, exec_lo, s73
	s_and_saveexec_b32 s73, s31
	s_cbranch_execz .LBB176_61
.LBB176_93:                             ;   in Loop: Header=BB176_29 Depth=1
	s_delay_alu instid0(VALU_DEP_1) | instskip(NEXT) | instid1(VALU_DEP_1)
	v_add3_u32 v7, v1, -1, v6
	v_lshl_add_u32 v7, v7, 2, 0
	s_delay_alu instid0(VALU_DEP_1)
	v_add_nc_u32_e32 v8, 0x20000, v7
	ds_store_b32 v7, v4
	ds_store_b32 v8, v5
	s_or_b32 exec_lo, exec_lo, s73
	s_and_saveexec_b32 s31, vcc_lo
	s_cbranch_execz .LBB176_28
.LBB176_94:                             ;   in Loop: Header=BB176_29 Depth=1
	v_mov_b32_e32 v4, s72
	ds_store_b32 v4, v6
	s_branch .LBB176_28
.LBB176_95:                             ;   in Loop: Header=BB176_97 Depth=1
	s_or_b32 exec_lo, exec_lo, s5
.LBB176_96:                             ;   in Loop: Header=BB176_97 Depth=1
	s_delay_alu instid0(SALU_CYCLE_1) | instskip(SKIP_3) | instid1(VALU_DEP_2)
	s_or_b32 exec_lo, exec_lo, s4
	s_wait_loadcnt 0x0
	v_dual_mul_f32 v1, s20, v1 :: v_dual_lshlrev_b32 v4, 2, v4
	v_add_nc_u64_e32 v[2:3], 0x400, v[2:3]
	v_add3_u32 v4, 0, v4, 0x20000
	s_delay_alu instid0(VALU_DEP_2) | instskip(SKIP_2) | instid1(SALU_CYCLE_1)
	v_cmp_le_i64_e32 vcc_lo, s[2:3], v[2:3]
	ds_add_f32 v4, v1
	s_or_b32 s1, vcc_lo, s1
	s_and_not1_b32 exec_lo, exec_lo, s1
	s_cbranch_execz .LBB176_26
.LBB176_97:                             ; =>This Loop Header: Depth=1
                                        ;     Child Loop BB176_100 Depth 2
	v_lshlrev_b64_e32 v[4:5], 2, v[2:3]
	s_mov_b32 s4, exec_lo
	s_delay_alu instid0(VALU_DEP_1)
	v_add_nc_u64_e32 v[6:7], s[38:39], v[4:5]
	v_add_nc_u64_e32 v[4:5], s[40:41], v[4:5]
	global_load_b32 v6, v[6:7], off
	global_load_b32 v1, v[4:5], off
	s_wait_loadcnt 0x1
	s_wait_xcnt 0x0
	v_subrev_nc_u32_e32 v5, s47, v6
	s_delay_alu instid0(VALU_DEP_1) | instskip(NEXT) | instid1(VALU_DEP_1)
	v_mul_lo_u32 v4, 0x89, v5
	v_and_b32_e32 v4, 0x7fff, v4
	s_delay_alu instid0(VALU_DEP_1)
	v_lshl_add_u32 v6, v4, 2, 0
	ds_load_b32 v7, v6
	s_wait_dscnt 0x0
	v_cmpx_ne_u32_e64 v7, v5
	s_cbranch_execz .LBB176_96
; %bb.98:                               ;   in Loop: Header=BB176_97 Depth=1
	s_mov_b32 s5, 0
	s_branch .LBB176_100
.LBB176_99:                             ;   in Loop: Header=BB176_100 Depth=2
	s_or_b32 exec_lo, exec_lo, s8
	s_delay_alu instid0(SALU_CYCLE_1) | instskip(NEXT) | instid1(SALU_CYCLE_1)
	s_and_b32 s6, exec_lo, s7
	s_or_b32 s5, s6, s5
	s_delay_alu instid0(SALU_CYCLE_1)
	s_and_not1_b32 exec_lo, exec_lo, s5
	s_cbranch_execz .LBB176_95
.LBB176_100:                            ;   Parent Loop BB176_97 Depth=1
                                        ; =>  This Inner Loop Header: Depth=2
	s_mov_b32 s6, 0
	s_mov_b32 s7, exec_lo
	v_cmpx_ne_u32_e64 s33, v7
	s_xor_b32 s7, exec_lo, s7
	s_cbranch_execz .LBB176_102
; %bb.101:                              ;   in Loop: Header=BB176_100 Depth=2
	v_add_nc_u32_e32 v4, 1, v4
	s_mov_b32 s6, exec_lo
                                        ; implicit-def: $vgpr6
	s_delay_alu instid0(VALU_DEP_1)
	v_and_b32_e32 v4, 0x7fff, v4
	s_and_not1_saveexec_b32 s7, s7
	s_cbranch_execz .LBB176_104
	s_branch .LBB176_103
.LBB176_102:                            ;   in Loop: Header=BB176_100 Depth=2
	s_and_not1_saveexec_b32 s7, s7
	s_cbranch_execz .LBB176_104
.LBB176_103:                            ;   in Loop: Header=BB176_100 Depth=2
	v_mov_b32_e32 v7, s33
	s_and_not1_b32 s6, s6, exec_lo
	ds_cmpstore_rtn_b32 v6, v6, v5, v7
	s_wait_dscnt 0x0
	v_cmp_ne_u32_e32 vcc_lo, s33, v6
	s_and_b32 s8, vcc_lo, exec_lo
	s_delay_alu instid0(SALU_CYCLE_1)
	s_or_b32 s6, s6, s8
.LBB176_104:                            ;   in Loop: Header=BB176_100 Depth=2
	s_or_b32 exec_lo, exec_lo, s7
	s_mov_b32 s7, -1
                                        ; implicit-def: $vgpr6
                                        ; implicit-def: $vgpr7
	s_and_saveexec_b32 s8, s6
	s_cbranch_execz .LBB176_99
; %bb.105:                              ;   in Loop: Header=BB176_100 Depth=2
	v_lshl_add_u32 v6, v4, 2, 0
	ds_load_b32 v7, v6
	s_wait_dscnt 0x0
	v_cmp_eq_u32_e32 vcc_lo, v7, v5
	s_or_not1_b32 s7, vcc_lo, exec_lo
	s_branch .LBB176_99
.LBB176_106:
	s_or_b32 exec_lo, exec_lo, s36
	s_wait_kmcnt 0x0
	s_ashr_i32 s49, s48, 31
	s_delay_alu instid0(SALU_CYCLE_1) | instskip(NEXT) | instid1(SALU_CYCLE_1)
	s_lshl_b64 s[0:1], s[48:49], 3
	s_add_nc_u64 s[4:5], s[42:43], s[0:1]
	s_load_b128 s[0:3], s[4:5], 0x0
	s_wait_xcnt 0x0
	s_mov_b32 s4, exec_lo
	s_wait_kmcnt 0x0
	s_sub_co_i32 s3, s2, s0
	s_delay_alu instid0(SALU_CYCLE_1)
	v_cmpx_gt_i32_e64 s3, v0
	s_cbranch_execz .LBB176_116
; %bb.107:
	s_sub_co_i32 s4, s0, s2
	s_and_b32 s2, s3, 7
	s_cmp_lt_u32 s4, -7
	s_mov_b32 s47, 0
	s_cselect_b32 s4, -1, 0
	s_and_b32 s5, s3, -8
	s_cmp_lg_u32 s2, 0
	s_sub_nc_u64 s[0:1], s[0:1], s[46:47]
	s_cselect_b32 s6, -1, 0
	s_mov_b32 s7, 0
	s_branch .LBB176_109
.LBB176_108:                            ;   in Loop: Header=BB176_109 Depth=1
	v_add_nc_u32_e32 v0, 0x400, v0
	s_delay_alu instid0(VALU_DEP_2) | instskip(NEXT) | instid1(VALU_DEP_2)
	v_lshl_add_u64 v[2:3], v[2:3], 2, s[34:35]
	v_cmp_le_i32_e32 vcc_lo, s3, v0
	s_wait_dscnt 0x0
	global_store_b32 v[2:3], v1, off
	s_or_b32 s7, vcc_lo, s7
	s_wait_xcnt 0x0
	s_and_not1_b32 exec_lo, exec_lo, s7
	s_cbranch_execz .LBB176_116
.LBB176_109:                            ; =>This Loop Header: Depth=1
                                        ;     Child Loop BB176_111 Depth 2
                                        ;     Child Loop BB176_115 Depth 2
	v_lshl_add_u32 v1, v0, 2, 0
	s_and_not1_b32 vcc_lo, exec_lo, s4
	s_mov_b32 s8, 0
	s_delay_alu instid0(VALU_DEP_1)
	v_add_nc_u32_e32 v2, 0x20000, v1
	ds_load_b32 v4, v1
	ds_load_b32 v1, v2
	v_mov_b64_e32 v[2:3], s[0:1]
	s_cbranch_vccnz .LBB176_113
; %bb.110:                              ;   in Loop: Header=BB176_109 Depth=1
	v_mov_b64_e32 v[2:3], s[0:1]
	s_mov_b32 s9, 0
.LBB176_111:                            ;   Parent Loop BB176_109 Depth=1
                                        ; =>  This Inner Loop Header: Depth=2
	s_delay_alu instid0(SALU_CYCLE_1)
	v_dual_mov_b32 v5, s9 :: v_dual_mov_b32 v11, s47
	v_mov_b32_e32 v17, s47
	s_add_co_i32 s8, s8, 8
	s_add_co_i32 s9, s9, 32
	ds_load_2addr_b32 v[6:7], v5 offset1:1
	ds_load_2addr_b32 v[8:9], v5 offset0:2 offset1:3
	ds_load_2addr_b32 v[12:13], v5 offset0:4 offset1:5
	;; [unrolled: 1-line block ×3, first 2 shown]
	s_cmp_eq_u32 s5, s8
	s_wait_dscnt 0x3
	v_cmp_gt_i32_e32 vcc_lo, v4, v6
	v_cndmask_b32_e64 v10, 0, 1, vcc_lo
	v_cmp_gt_i32_e32 vcc_lo, v4, v7
	v_mov_b32_e32 v7, s47
	s_delay_alu instid0(VALU_DEP_3) | instskip(SKIP_4) | instid1(VALU_DEP_3)
	v_add_nc_u64_e32 v[2:3], v[2:3], v[10:11]
	v_cndmask_b32_e64 v16, 0, 1, vcc_lo
	s_wait_dscnt 0x2
	v_cmp_gt_i32_e32 vcc_lo, v4, v8
	v_cndmask_b32_e64 v6, 0, 1, vcc_lo
	v_add_nc_u64_e32 v[2:3], v[2:3], v[16:17]
	v_cmp_gt_i32_e32 vcc_lo, v4, v9
	v_mov_b32_e32 v9, s47
	v_cndmask_b32_e64 v10, 0, 1, vcc_lo
	s_delay_alu instid0(VALU_DEP_4) | instskip(SKIP_3) | instid1(VALU_DEP_3)
	v_add_nc_u64_e32 v[2:3], v[2:3], v[6:7]
	s_wait_dscnt 0x1
	v_cmp_gt_i32_e32 vcc_lo, v4, v12
	v_cndmask_b32_e64 v6, 0, 1, vcc_lo
	v_add_nc_u64_e32 v[2:3], v[2:3], v[10:11]
	v_cmp_gt_i32_e32 vcc_lo, v4, v13
	v_cndmask_b32_e64 v8, 0, 1, vcc_lo
	s_delay_alu instid0(VALU_DEP_3) | instskip(SKIP_3) | instid1(VALU_DEP_3)
	v_add_nc_u64_e32 v[2:3], v[2:3], v[6:7]
	s_wait_dscnt 0x0
	v_cmp_gt_i32_e32 vcc_lo, v4, v14
	v_cndmask_b32_e64 v6, 0, 1, vcc_lo
	v_add_nc_u64_e32 v[2:3], v[2:3], v[8:9]
	v_cmp_gt_i32_e32 vcc_lo, v4, v15
	v_cndmask_b32_e64 v8, 0, 1, vcc_lo
	s_delay_alu instid0(VALU_DEP_3) | instskip(NEXT) | instid1(VALU_DEP_1)
	v_add_nc_u64_e32 v[2:3], v[2:3], v[6:7]
	v_add_nc_u64_e32 v[2:3], v[2:3], v[8:9]
	s_cbranch_scc0 .LBB176_111
; %bb.112:                              ;   in Loop: Header=BB176_109 Depth=1
	s_mov_b32 s8, s5
.LBB176_113:                            ;   in Loop: Header=BB176_109 Depth=1
	s_and_not1_b32 vcc_lo, exec_lo, s6
	s_cbranch_vccnz .LBB176_108
; %bb.114:                              ;   in Loop: Header=BB176_109 Depth=1
	s_lshl_b32 s8, s8, 2
	s_mov_b32 s9, s2
	s_add_co_i32 s8, s8, 0
.LBB176_115:                            ;   Parent Loop BB176_109 Depth=1
                                        ; =>  This Inner Loop Header: Depth=2
	s_delay_alu instid0(SALU_CYCLE_1)
	v_dual_mov_b32 v5, s8 :: v_dual_mov_b32 v7, s47
	s_add_co_i32 s9, s9, -1
	s_add_co_i32 s8, s8, 4
	s_cmp_lg_u32 s9, 0
	ds_load_b32 v5, v5
	s_wait_dscnt 0x0
	v_cmp_gt_i32_e32 vcc_lo, v4, v5
	v_cndmask_b32_e64 v6, 0, 1, vcc_lo
	s_delay_alu instid0(VALU_DEP_1)
	v_add_nc_u64_e32 v[2:3], v[2:3], v[6:7]
	s_cbranch_scc1 .LBB176_115
	s_branch .LBB176_108
.LBB176_116:
	s_endpgm
	.section	.rodata,"a",@progbits
	.p2align	6, 0x0
	.amdhsa_kernel _ZN9rocsparseL41csrgemm_numeric_fill_block_per_row_kernelILj1024ELj64ELj32768ELj137ELj32ElifEEvT5_PKS1_S3_NS_24const_host_device_scalarIT6_EEPKT4_S3_PKS5_S9_S3_SB_S6_S9_S3_SB_S9_S3_PS5_21rocsparse_index_base_SD_SD_SD_bbb
		.amdhsa_group_segment_fixed_size 0
		.amdhsa_private_segment_fixed_size 0
		.amdhsa_kernarg_size 156
		.amdhsa_user_sgpr_count 2
		.amdhsa_user_sgpr_dispatch_ptr 0
		.amdhsa_user_sgpr_queue_ptr 0
		.amdhsa_user_sgpr_kernarg_segment_ptr 1
		.amdhsa_user_sgpr_dispatch_id 0
		.amdhsa_user_sgpr_kernarg_preload_length 0
		.amdhsa_user_sgpr_kernarg_preload_offset 0
		.amdhsa_user_sgpr_private_segment_size 0
		.amdhsa_wavefront_size32 1
		.amdhsa_uses_dynamic_stack 0
		.amdhsa_enable_private_segment 0
		.amdhsa_system_sgpr_workgroup_id_x 1
		.amdhsa_system_sgpr_workgroup_id_y 0
		.amdhsa_system_sgpr_workgroup_id_z 0
		.amdhsa_system_sgpr_workgroup_info 0
		.amdhsa_system_vgpr_workitem_id 0
		.amdhsa_next_free_vgpr 18
		.amdhsa_next_free_sgpr 74
		.amdhsa_named_barrier_count 0
		.amdhsa_reserve_vcc 1
		.amdhsa_float_round_mode_32 0
		.amdhsa_float_round_mode_16_64 0
		.amdhsa_float_denorm_mode_32 3
		.amdhsa_float_denorm_mode_16_64 3
		.amdhsa_fp16_overflow 0
		.amdhsa_memory_ordered 1
		.amdhsa_forward_progress 1
		.amdhsa_inst_pref_size 35
		.amdhsa_round_robin_scheduling 0
		.amdhsa_exception_fp_ieee_invalid_op 0
		.amdhsa_exception_fp_denorm_src 0
		.amdhsa_exception_fp_ieee_div_zero 0
		.amdhsa_exception_fp_ieee_overflow 0
		.amdhsa_exception_fp_ieee_underflow 0
		.amdhsa_exception_fp_ieee_inexact 0
		.amdhsa_exception_int_div_zero 0
	.end_amdhsa_kernel
	.section	.text._ZN9rocsparseL41csrgemm_numeric_fill_block_per_row_kernelILj1024ELj64ELj32768ELj137ELj32ElifEEvT5_PKS1_S3_NS_24const_host_device_scalarIT6_EEPKT4_S3_PKS5_S9_S3_SB_S6_S9_S3_SB_S9_S3_PS5_21rocsparse_index_base_SD_SD_SD_bbb,"axG",@progbits,_ZN9rocsparseL41csrgemm_numeric_fill_block_per_row_kernelILj1024ELj64ELj32768ELj137ELj32ElifEEvT5_PKS1_S3_NS_24const_host_device_scalarIT6_EEPKT4_S3_PKS5_S9_S3_SB_S6_S9_S3_SB_S9_S3_PS5_21rocsparse_index_base_SD_SD_SD_bbb,comdat
.Lfunc_end176:
	.size	_ZN9rocsparseL41csrgemm_numeric_fill_block_per_row_kernelILj1024ELj64ELj32768ELj137ELj32ElifEEvT5_PKS1_S3_NS_24const_host_device_scalarIT6_EEPKT4_S3_PKS5_S9_S3_SB_S6_S9_S3_SB_S9_S3_PS5_21rocsparse_index_base_SD_SD_SD_bbb, .Lfunc_end176-_ZN9rocsparseL41csrgemm_numeric_fill_block_per_row_kernelILj1024ELj64ELj32768ELj137ELj32ElifEEvT5_PKS1_S3_NS_24const_host_device_scalarIT6_EEPKT4_S3_PKS5_S9_S3_SB_S6_S9_S3_SB_S9_S3_PS5_21rocsparse_index_base_SD_SD_SD_bbb
                                        ; -- End function
	.set _ZN9rocsparseL41csrgemm_numeric_fill_block_per_row_kernelILj1024ELj64ELj32768ELj137ELj32ElifEEvT5_PKS1_S3_NS_24const_host_device_scalarIT6_EEPKT4_S3_PKS5_S9_S3_SB_S6_S9_S3_SB_S9_S3_PS5_21rocsparse_index_base_SD_SD_SD_bbb.num_vgpr, 18
	.set _ZN9rocsparseL41csrgemm_numeric_fill_block_per_row_kernelILj1024ELj64ELj32768ELj137ELj32ElifEEvT5_PKS1_S3_NS_24const_host_device_scalarIT6_EEPKT4_S3_PKS5_S9_S3_SB_S6_S9_S3_SB_S9_S3_PS5_21rocsparse_index_base_SD_SD_SD_bbb.num_agpr, 0
	.set _ZN9rocsparseL41csrgemm_numeric_fill_block_per_row_kernelILj1024ELj64ELj32768ELj137ELj32ElifEEvT5_PKS1_S3_NS_24const_host_device_scalarIT6_EEPKT4_S3_PKS5_S9_S3_SB_S6_S9_S3_SB_S9_S3_PS5_21rocsparse_index_base_SD_SD_SD_bbb.numbered_sgpr, 74
	.set _ZN9rocsparseL41csrgemm_numeric_fill_block_per_row_kernelILj1024ELj64ELj32768ELj137ELj32ElifEEvT5_PKS1_S3_NS_24const_host_device_scalarIT6_EEPKT4_S3_PKS5_S9_S3_SB_S6_S9_S3_SB_S9_S3_PS5_21rocsparse_index_base_SD_SD_SD_bbb.num_named_barrier, 0
	.set _ZN9rocsparseL41csrgemm_numeric_fill_block_per_row_kernelILj1024ELj64ELj32768ELj137ELj32ElifEEvT5_PKS1_S3_NS_24const_host_device_scalarIT6_EEPKT4_S3_PKS5_S9_S3_SB_S6_S9_S3_SB_S9_S3_PS5_21rocsparse_index_base_SD_SD_SD_bbb.private_seg_size, 0
	.set _ZN9rocsparseL41csrgemm_numeric_fill_block_per_row_kernelILj1024ELj64ELj32768ELj137ELj32ElifEEvT5_PKS1_S3_NS_24const_host_device_scalarIT6_EEPKT4_S3_PKS5_S9_S3_SB_S6_S9_S3_SB_S9_S3_PS5_21rocsparse_index_base_SD_SD_SD_bbb.uses_vcc, 1
	.set _ZN9rocsparseL41csrgemm_numeric_fill_block_per_row_kernelILj1024ELj64ELj32768ELj137ELj32ElifEEvT5_PKS1_S3_NS_24const_host_device_scalarIT6_EEPKT4_S3_PKS5_S9_S3_SB_S6_S9_S3_SB_S9_S3_PS5_21rocsparse_index_base_SD_SD_SD_bbb.uses_flat_scratch, 0
	.set _ZN9rocsparseL41csrgemm_numeric_fill_block_per_row_kernelILj1024ELj64ELj32768ELj137ELj32ElifEEvT5_PKS1_S3_NS_24const_host_device_scalarIT6_EEPKT4_S3_PKS5_S9_S3_SB_S6_S9_S3_SB_S9_S3_PS5_21rocsparse_index_base_SD_SD_SD_bbb.has_dyn_sized_stack, 0
	.set _ZN9rocsparseL41csrgemm_numeric_fill_block_per_row_kernelILj1024ELj64ELj32768ELj137ELj32ElifEEvT5_PKS1_S3_NS_24const_host_device_scalarIT6_EEPKT4_S3_PKS5_S9_S3_SB_S6_S9_S3_SB_S9_S3_PS5_21rocsparse_index_base_SD_SD_SD_bbb.has_recursion, 0
	.set _ZN9rocsparseL41csrgemm_numeric_fill_block_per_row_kernelILj1024ELj64ELj32768ELj137ELj32ElifEEvT5_PKS1_S3_NS_24const_host_device_scalarIT6_EEPKT4_S3_PKS5_S9_S3_SB_S6_S9_S3_SB_S9_S3_PS5_21rocsparse_index_base_SD_SD_SD_bbb.has_indirect_call, 0
	.section	.AMDGPU.csdata,"",@progbits
; Kernel info:
; codeLenInByte = 4428
; TotalNumSgprs: 76
; NumVgprs: 18
; ScratchSize: 0
; MemoryBound: 0
; FloatMode: 240
; IeeeMode: 1
; LDSByteSize: 0 bytes/workgroup (compile time only)
; SGPRBlocks: 0
; VGPRBlocks: 1
; NumSGPRsForWavesPerEU: 76
; NumVGPRsForWavesPerEU: 18
; NamedBarCnt: 0
; Occupancy: 16
; WaveLimiterHint : 1
; COMPUTE_PGM_RSRC2:SCRATCH_EN: 0
; COMPUTE_PGM_RSRC2:USER_SGPR: 2
; COMPUTE_PGM_RSRC2:TRAP_HANDLER: 0
; COMPUTE_PGM_RSRC2:TGID_X_EN: 1
; COMPUTE_PGM_RSRC2:TGID_Y_EN: 0
; COMPUTE_PGM_RSRC2:TGID_Z_EN: 0
; COMPUTE_PGM_RSRC2:TIDIG_COMP_CNT: 0
	.section	.text._ZN9rocsparseL41csrgemm_numeric_fill_block_per_row_kernelILj1024ELj64ELj32768ELj137ELj64ElifEEvT5_PKS1_S3_NS_24const_host_device_scalarIT6_EEPKT4_S3_PKS5_S9_S3_SB_S6_S9_S3_SB_S9_S3_PS5_21rocsparse_index_base_SD_SD_SD_bbb,"axG",@progbits,_ZN9rocsparseL41csrgemm_numeric_fill_block_per_row_kernelILj1024ELj64ELj32768ELj137ELj64ElifEEvT5_PKS1_S3_NS_24const_host_device_scalarIT6_EEPKT4_S3_PKS5_S9_S3_SB_S6_S9_S3_SB_S9_S3_PS5_21rocsparse_index_base_SD_SD_SD_bbb,comdat
	.globl	_ZN9rocsparseL41csrgemm_numeric_fill_block_per_row_kernelILj1024ELj64ELj32768ELj137ELj64ElifEEvT5_PKS1_S3_NS_24const_host_device_scalarIT6_EEPKT4_S3_PKS5_S9_S3_SB_S6_S9_S3_SB_S9_S3_PS5_21rocsparse_index_base_SD_SD_SD_bbb ; -- Begin function _ZN9rocsparseL41csrgemm_numeric_fill_block_per_row_kernelILj1024ELj64ELj32768ELj137ELj64ElifEEvT5_PKS1_S3_NS_24const_host_device_scalarIT6_EEPKT4_S3_PKS5_S9_S3_SB_S6_S9_S3_SB_S9_S3_PS5_21rocsparse_index_base_SD_SD_SD_bbb
	.p2align	8
	.type	_ZN9rocsparseL41csrgemm_numeric_fill_block_per_row_kernelILj1024ELj64ELj32768ELj137ELj64ElifEEvT5_PKS1_S3_NS_24const_host_device_scalarIT6_EEPKT4_S3_PKS5_S9_S3_SB_S6_S9_S3_SB_S9_S3_PS5_21rocsparse_index_base_SD_SD_SD_bbb,@function
_ZN9rocsparseL41csrgemm_numeric_fill_block_per_row_kernelILj1024ELj64ELj32768ELj137ELj64ElifEEvT5_PKS1_S3_NS_24const_host_device_scalarIT6_EEPKT4_S3_PKS5_S9_S3_SB_S6_S9_S3_SB_S9_S3_PS5_21rocsparse_index_base_SD_SD_SD_bbb: ; @_ZN9rocsparseL41csrgemm_numeric_fill_block_per_row_kernelILj1024ELj64ELj32768ELj137ELj64ElifEEvT5_PKS1_S3_NS_24const_host_device_scalarIT6_EEPKT4_S3_PKS5_S9_S3_SB_S6_S9_S3_SB_S9_S3_PS5_21rocsparse_index_base_SD_SD_SD_bbb
; %bb.0:
	s_clause 0x3
	s_load_b32 s6, s[0:1], 0x98
	s_load_b64 s[4:5], s[0:1], 0x18
	s_load_b128 s[20:23], s[0:1], 0x88
	s_load_b64 s[2:3], s[0:1], 0x50
	s_wait_kmcnt 0x0
	s_and_b32 s8, 1, s6
	s_bitcmp1_b32 s6, 16
	s_cselect_b32 s7, -1, 0
	s_cmp_eq_u32 s8, 1
	s_cselect_b32 s39, -1, 0
	s_delay_alu instid0(SALU_CYCLE_1) | instskip(SKIP_2) | instid1(SALU_CYCLE_1)
	s_and_b32 s8, s39, exec_lo
	s_cselect_b32 s37, s4, 0
	s_xor_b32 s8, s39, -1
	s_or_b32 s8, s7, s8
	s_delay_alu instid0(SALU_CYCLE_1)
	s_and_b32 vcc_lo, exec_lo, s8
	s_cbranch_vccnz .LBB177_2
; %bb.1:
	s_load_b32 s37, s[4:5], 0x0
.LBB177_2:
	s_load_b128 s[28:31], s[0:1], 0x8
	s_bitcmp1_b32 s6, 8
	s_cselect_b32 s38, -1, 0
	s_wait_xcnt 0x0
	s_and_b32 s4, s38, exec_lo
	s_cselect_b32 s36, s2, 0
	s_xor_b32 s4, s38, -1
	s_delay_alu instid0(SALU_CYCLE_1) | instskip(NEXT) | instid1(SALU_CYCLE_1)
	s_or_b32 s4, s7, s4
	s_and_b32 vcc_lo, exec_lo, s4
	s_cbranch_vccnz .LBB177_4
; %bb.3:
	s_load_b32 s36, s[2:3], 0x0
.LBB177_4:
	s_clause 0x4
	s_load_b32 s33, s[0:1], 0x0
	s_load_b64 s[34:35], s[0:1], 0x80
	s_load_b256 s[12:19], s[0:1], 0x58
	s_load_b128 s[24:27], s[0:1], 0x40
	s_load_b256 s[4:11], s[0:1], 0x20
	v_lshl_add_u32 v12, v0, 2, 0
	v_or_b32_e32 v13, 0xfffffc00, v0
	v_mov_b32_e32 v1, 0
	s_wait_xcnt 0x0
	s_mov_b32 s0, 0
	s_delay_alu instid0(VALU_DEP_2)
	v_dual_mov_b32 v2, v12 :: v_dual_mov_b32 v4, v13
	s_wait_kmcnt 0x0
	v_mov_b32_e32 v3, s33
.LBB177_5:                              ; =>This Inner Loop Header: Depth=1
	s_delay_alu instid0(VALU_DEP_2) | instskip(NEXT) | instid1(VALU_DEP_3)
	v_add_nc_u32_e32 v4, 0x400, v4
	v_add_nc_u32_e32 v5, 0x20000, v2
	ds_store_b32 v2, v3
	v_add_nc_u32_e32 v2, 0x1000, v2
	v_cmp_lt_u32_e32 vcc_lo, 0x7bff, v4
	ds_store_b32 v5, v1
	s_or_b32 s0, vcc_lo, s0
	s_delay_alu instid0(SALU_CYCLE_1)
	s_and_not1_b32 exec_lo, exec_lo, s0
	s_cbranch_execnz .LBB177_5
; %bb.6:
	s_or_b32 exec_lo, exec_lo, s0
	s_wait_dscnt 0x0
	s_barrier_signal -1
	s_barrier_wait -1
	s_load_b32 s0, s[28:29], 0x0
	s_bfe_u32 s1, ttmp6, 0x4000c
	s_and_b32 s2, ttmp6, 15
	s_add_co_i32 s1, s1, 1
	s_getreg_b32 s3, hwreg(HW_REG_IB_STS2, 6, 4)
	s_mul_i32 s1, ttmp9, s1
	v_lshrrev_b32_e32 v2, 6, v0
	s_add_co_i32 s2, s2, s1
	s_cmp_eq_u32 s3, 0
	s_cselect_b32 s1, ttmp9, s2
	s_and_b32 vcc_lo, s39, exec_lo
	s_wait_kmcnt 0x0
	s_add_co_i32 s0, s0, s1
	s_mov_b32 s1, 0
	s_load_b32 s28, s[30:31], s0 offset:0x0 scale_offset
	s_cbranch_vccz .LBB177_24
; %bb.7:
	s_wait_kmcnt 0x0
	s_ashr_i32 s29, s28, 31
	v_mov_b32_e32 v3, 0
	s_lshl_b64 s[2:3], s[28:29], 3
	s_mov_b32 s0, s20
	s_add_nc_u64 s[2:3], s[4:5], s[2:3]
	s_mov_b32 s4, exec_lo
	s_load_b128 s[40:43], s[2:3], 0x0
	v_sub_nc_u64_e64 v[4:5], v[2:3], s[0:1]
	s_wait_kmcnt 0x0
	s_delay_alu instid0(VALU_DEP_1)
	v_add_nc_u64_e32 v[4:5], s[40:41], v[4:5]
	s_sub_nc_u64 s[0:1], s[42:43], s[0:1]
	s_delay_alu instid0(VALU_DEP_1) | instid1(SALU_CYCLE_1)
	v_cmpx_gt_i64_e64 s[0:1], v[4:5]
	s_cbranch_execz .LBB177_23
; %bb.8:
	v_dual_mov_b32 v7, v3 :: v_dual_bitop2_b32 v6, 63, v0 bitop3:0x40
	s_mov_b32 s3, 0
	s_mov_b32 s2, s21
	;; [unrolled: 1-line block ×3, first 2 shown]
	s_delay_alu instid0(VALU_DEP_1)
	v_sub_nc_u64_e64 v[6:7], v[6:7], s[2:3]
	s_branch .LBB177_10
.LBB177_9:                              ;   in Loop: Header=BB177_10 Depth=1
	s_or_b32 exec_lo, exec_lo, s29
	v_add_nc_u64_e32 v[4:5], 16, v[4:5]
	s_delay_alu instid0(VALU_DEP_1) | instskip(SKIP_1) | instid1(SALU_CYCLE_1)
	v_cmp_le_i64_e32 vcc_lo, s[0:1], v[4:5]
	s_or_b32 s5, vcc_lo, s5
	s_and_not1_b32 exec_lo, exec_lo, s5
	s_cbranch_execz .LBB177_23
.LBB177_10:                             ; =>This Loop Header: Depth=1
                                        ;     Child Loop BB177_14 Depth 2
                                        ;       Child Loop BB177_17 Depth 3
	v_lshl_add_u64 v[8:9], v[4:5], 2, s[6:7]
	s_mov_b32 s29, exec_lo
	global_load_b32 v1, v[8:9], off
	s_wait_loadcnt 0x0
	s_wait_xcnt 0x0
	v_subrev_nc_u32_e32 v8, s20, v1
	s_delay_alu instid0(VALU_DEP_1) | instskip(NEXT) | instid1(VALU_DEP_1)
	v_ashrrev_i32_e32 v9, 31, v8
	v_lshl_add_u64 v[8:9], v[8:9], 3, s[10:11]
	global_load_b128 v[14:17], v[8:9], off
	s_wait_loadcnt 0x0
	s_wait_xcnt 0x0
	v_sub_nc_u64_e64 v[8:9], v[16:17], s[2:3]
	v_add_nc_u64_e32 v[10:11], v[14:15], v[6:7]
	s_delay_alu instid0(VALU_DEP_1)
	v_cmpx_lt_i64_e64 v[10:11], v[8:9]
	s_cbranch_execz .LBB177_9
; %bb.11:                               ;   in Loop: Header=BB177_10 Depth=1
	v_lshl_add_u64 v[14:15], v[4:5], 2, s[8:9]
	s_mov_b32 s30, 0
	global_load_b32 v1, v[14:15], off
	s_wait_loadcnt 0x0
	v_mul_f32_e32 v1, s37, v1
	s_branch .LBB177_14
.LBB177_12:                             ;   in Loop: Header=BB177_14 Depth=2
	s_or_b32 exec_lo, exec_lo, s39
.LBB177_13:                             ;   in Loop: Header=BB177_14 Depth=2
	s_delay_alu instid0(SALU_CYCLE_1) | instskip(SKIP_3) | instid1(VALU_DEP_2)
	s_or_b32 exec_lo, exec_lo, s31
	s_wait_loadcnt 0x0
	v_dual_mul_f32 v3, v1, v3 :: v_dual_lshlrev_b32 v14, 2, v14
	v_add_nc_u64_e32 v[10:11], 64, v[10:11]
	v_add3_u32 v14, 0, v14, 0x20000
	s_delay_alu instid0(VALU_DEP_2) | instskip(SKIP_2) | instid1(SALU_CYCLE_1)
	v_cmp_ge_i64_e32 vcc_lo, v[10:11], v[8:9]
	ds_add_f32 v14, v3
	s_or_b32 s30, vcc_lo, s30
	s_and_not1_b32 exec_lo, exec_lo, s30
	s_cbranch_execz .LBB177_9
.LBB177_14:                             ;   Parent Loop BB177_10 Depth=1
                                        ; =>  This Loop Header: Depth=2
                                        ;       Child Loop BB177_17 Depth 3
	s_wait_xcnt 0x0
	v_lshlrev_b64_e32 v[14:15], 2, v[10:11]
	s_mov_b32 s31, exec_lo
	s_delay_alu instid0(VALU_DEP_1)
	v_add_nc_u64_e32 v[16:17], s[24:25], v[14:15]
	v_add_nc_u64_e32 v[14:15], s[26:27], v[14:15]
	global_load_b32 v16, v[16:17], off
	global_load_b32 v3, v[14:15], off
	s_wait_loadcnt 0x1
	s_wait_xcnt 0x0
	v_subrev_nc_u32_e32 v15, s21, v16
	s_delay_alu instid0(VALU_DEP_1) | instskip(NEXT) | instid1(VALU_DEP_1)
	v_mul_lo_u32 v14, 0x89, v15
	v_and_b32_e32 v14, 0x7fff, v14
	s_delay_alu instid0(VALU_DEP_1)
	v_lshl_add_u32 v16, v14, 2, 0
	ds_load_b32 v17, v16
	s_wait_dscnt 0x0
	v_cmpx_ne_u32_e64 v17, v15
	s_cbranch_execz .LBB177_13
; %bb.15:                               ;   in Loop: Header=BB177_14 Depth=2
	s_mov_b32 s39, 0
	s_branch .LBB177_17
.LBB177_16:                             ;   in Loop: Header=BB177_17 Depth=3
	s_or_b32 exec_lo, exec_lo, s42
	s_delay_alu instid0(SALU_CYCLE_1) | instskip(NEXT) | instid1(SALU_CYCLE_1)
	s_and_b32 s40, exec_lo, s41
	s_or_b32 s39, s40, s39
	s_delay_alu instid0(SALU_CYCLE_1)
	s_and_not1_b32 exec_lo, exec_lo, s39
	s_cbranch_execz .LBB177_12
.LBB177_17:                             ;   Parent Loop BB177_10 Depth=1
                                        ;     Parent Loop BB177_14 Depth=2
                                        ; =>    This Inner Loop Header: Depth=3
	s_mov_b32 s40, 0
	s_mov_b32 s41, exec_lo
	v_cmpx_ne_u32_e64 s33, v17
	s_xor_b32 s41, exec_lo, s41
	s_cbranch_execz .LBB177_19
; %bb.18:                               ;   in Loop: Header=BB177_17 Depth=3
	v_add_nc_u32_e32 v14, 1, v14
	s_mov_b32 s40, exec_lo
                                        ; implicit-def: $vgpr16
	s_delay_alu instid0(VALU_DEP_1)
	v_and_b32_e32 v14, 0x7fff, v14
	s_and_not1_saveexec_b32 s41, s41
	s_cbranch_execz .LBB177_21
	s_branch .LBB177_20
.LBB177_19:                             ;   in Loop: Header=BB177_17 Depth=3
	s_and_not1_saveexec_b32 s41, s41
	s_cbranch_execz .LBB177_21
.LBB177_20:                             ;   in Loop: Header=BB177_17 Depth=3
	v_mov_b32_e32 v17, s33
	s_and_not1_b32 s40, s40, exec_lo
	ds_cmpstore_rtn_b32 v16, v16, v15, v17
	s_wait_dscnt 0x0
	v_cmp_ne_u32_e32 vcc_lo, s33, v16
	s_and_b32 s42, vcc_lo, exec_lo
	s_delay_alu instid0(SALU_CYCLE_1)
	s_or_b32 s40, s40, s42
.LBB177_21:                             ;   in Loop: Header=BB177_17 Depth=3
	s_or_b32 exec_lo, exec_lo, s41
	s_mov_b32 s41, -1
                                        ; implicit-def: $vgpr16
                                        ; implicit-def: $vgpr17
	s_and_saveexec_b32 s42, s40
	s_cbranch_execz .LBB177_16
; %bb.22:                               ;   in Loop: Header=BB177_17 Depth=3
	v_lshl_add_u32 v16, v14, 2, 0
	ds_load_b32 v17, v16
	s_wait_dscnt 0x0
	v_cmp_eq_u32_e32 vcc_lo, v17, v15
	s_or_not1_b32 s41, vcc_lo, exec_lo
	s_branch .LBB177_16
.LBB177_23:
	s_or_b32 exec_lo, exec_lo, s4
.LBB177_24:
	s_delay_alu instid0(SALU_CYCLE_1)
	s_and_not1_b32 vcc_lo, exec_lo, s38
	s_cbranch_vccnz .LBB177_27
; %bb.25:
	s_wait_kmcnt 0x0
	s_ashr_i32 s29, s28, 31
	v_mov_b32_e32 v1, 0
	s_lshl_b64 s[0:1], s[28:29], 3
	s_delay_alu instid0(SALU_CYCLE_1) | instskip(SKIP_4) | instid1(SALU_CYCLE_1)
	s_add_nc_u64 s[0:1], s[12:13], s[0:1]
	s_load_b128 s[4:7], s[0:1], 0x0
	s_wait_xcnt 0x0
	s_mov_b32 s1, 0
	s_mov_b32 s0, s23
	v_sub_nc_u64_e64 v[4:5], v[0:1], s[0:1]
	s_wait_kmcnt 0x0
	s_delay_alu instid0(VALU_DEP_1) | instskip(SKIP_2) | instid1(VALU_DEP_1)
	v_add_nc_u64_e32 v[4:5], s[4:5], v[4:5]
	s_sub_nc_u64 s[2:3], s[6:7], s[0:1]
	s_mov_b32 s0, exec_lo
	v_cmpx_gt_i64_e64 s[2:3], v[4:5]
	s_cbranch_execnz .LBB177_65
.LBB177_26:
	s_or_b32 exec_lo, exec_lo, s0
.LBB177_27:
	v_mbcnt_lo_u32_b32 v1, -1, 0
	v_lshlrev_b32_e32 v2, 2, v2
	s_add_co_i32 s36, 0, 0x4003c
	s_wait_xcnt 0x0
	v_cmp_lt_u32_e64 s0, 63, v0
	v_cmp_lt_u32_e64 s1, 0x7f, v0
	v_dual_mov_b32 v1, 0 :: v_dual_bitop2_b32 v4, 31, v1 bitop3:0x14
	v_add3_u32 v3, 0x40000, 0, v2
	v_cmp_lt_u32_e64 s2, 0xbf, v0
	v_cmp_lt_u32_e64 s3, 0xff, v0
	s_delay_alu instid0(VALU_DEP_4)
	v_lshrrev_b32_e64 v2, v4, -1
	v_cmp_lt_u32_e64 s4, 0x13f, v0
	v_cmp_lt_u32_e64 s5, 0x17f, v0
	;; [unrolled: 1-line block ×11, first 2 shown]
	v_mov_b32_e32 v4, s36
	s_mov_b32 s16, 0
	s_add_co_i32 s17, 0, 0x40000
	s_add_co_i32 s20, 0, 0x40004
	;; [unrolled: 1-line block ×15, first 2 shown]
	s_wait_dscnt 0x0
	s_barrier_signal -1
	s_barrier_wait -1
	v_cmp_eq_u32_e32 vcc_lo, 0x3ff, v0
	s_branch .LBB177_29
.LBB177_28:                             ;   in Loop: Header=BB177_29 Depth=1
	s_or_b32 exec_lo, exec_lo, s15
	s_wait_dscnt 0x0
	s_barrier_signal -1
	s_barrier_wait -1
	ds_load_b32 v5, v4
	v_add_nc_u32_e32 v13, 0x400, v13
	v_add_nc_u32_e32 v12, 0x1000, v12
	s_delay_alu instid0(VALU_DEP_2)
	v_cmp_lt_u32_e64 s15, 0x7bff, v13
	s_or_b32 s16, s15, s16
	s_wait_dscnt 0x0
	v_add_nc_u32_e32 v1, v5, v1
	s_and_not1_b32 exec_lo, exec_lo, s16
	s_cbranch_execz .LBB177_74
.LBB177_29:                             ; =>This Inner Loop Header: Depth=1
	ds_load_b32 v5, v12
	v_add_nc_u32_e32 v6, 0x20000, v12
	ds_load_b32 v6, v6
	s_wait_dscnt 0x0
	s_barrier_signal -1
	s_barrier_wait -1
	v_cmp_gt_i32_e64 s15, s33, v5
	s_bcnt1_i32_b32 s41, s15
	s_delay_alu instid0(SALU_CYCLE_1) | instskip(NEXT) | instid1(VALU_DEP_1)
	v_dual_mov_b32 v8, s41 :: v_dual_bitop2_b32 v7, s15, v2 bitop3:0x40
	v_bcnt_u32_b32 v7, v7, 0
	ds_store_b32 v3, v8
	s_wait_dscnt 0x0
	s_barrier_signal -1
	s_barrier_wait -1
	s_and_saveexec_b32 s41, s0
	s_cbranch_execz .LBB177_46
; %bb.30:                               ;   in Loop: Header=BB177_29 Depth=1
	v_mov_b32_e32 v8, s17
	ds_load_b32 v8, v8
	s_wait_dscnt 0x0
	v_add_nc_u32_e32 v7, v8, v7
	s_or_b32 exec_lo, exec_lo, s41
	s_and_saveexec_b32 s41, s1
	s_cbranch_execnz .LBB177_47
.LBB177_31:                             ;   in Loop: Header=BB177_29 Depth=1
	s_or_b32 exec_lo, exec_lo, s41
	s_and_saveexec_b32 s41, s2
	s_cbranch_execz .LBB177_48
.LBB177_32:                             ;   in Loop: Header=BB177_29 Depth=1
	v_mov_b32_e32 v8, s21
	ds_load_b32 v8, v8
	s_wait_dscnt 0x0
	v_add_nc_u32_e32 v7, v8, v7
	s_or_b32 exec_lo, exec_lo, s41
	s_and_saveexec_b32 s41, s3
	s_cbranch_execnz .LBB177_49
.LBB177_33:                             ;   in Loop: Header=BB177_29 Depth=1
	s_or_b32 exec_lo, exec_lo, s41
	s_and_saveexec_b32 s41, s4
	s_cbranch_execz .LBB177_50
.LBB177_34:                             ;   in Loop: Header=BB177_29 Depth=1
	v_mov_b32_e32 v8, s24
	ds_load_b32 v8, v8
	s_wait_dscnt 0x0
	v_add_nc_u32_e32 v7, v8, v7
	s_or_b32 exec_lo, exec_lo, s41
	s_and_saveexec_b32 s41, s5
	s_cbranch_execnz .LBB177_51
.LBB177_35:                             ;   in Loop: Header=BB177_29 Depth=1
	s_or_b32 exec_lo, exec_lo, s41
	s_and_saveexec_b32 s41, s6
	s_cbranch_execz .LBB177_52
.LBB177_36:                             ;   in Loop: Header=BB177_29 Depth=1
	v_mov_b32_e32 v8, s26
	ds_load_b32 v8, v8
	s_wait_dscnt 0x0
	v_add_nc_u32_e32 v7, v8, v7
	s_or_b32 exec_lo, exec_lo, s41
	s_and_saveexec_b32 s41, s7
	s_cbranch_execnz .LBB177_53
.LBB177_37:                             ;   in Loop: Header=BB177_29 Depth=1
	s_or_b32 exec_lo, exec_lo, s41
	s_and_saveexec_b32 s41, s8
	s_cbranch_execz .LBB177_54
.LBB177_38:                             ;   in Loop: Header=BB177_29 Depth=1
	v_mov_b32_e32 v8, s29
	ds_load_b32 v8, v8
	s_wait_dscnt 0x0
	v_add_nc_u32_e32 v7, v8, v7
	s_or_b32 exec_lo, exec_lo, s41
	s_and_saveexec_b32 s41, s9
	s_cbranch_execnz .LBB177_55
.LBB177_39:                             ;   in Loop: Header=BB177_29 Depth=1
	s_or_b32 exec_lo, exec_lo, s41
	s_and_saveexec_b32 s41, s10
	s_cbranch_execz .LBB177_56
.LBB177_40:                             ;   in Loop: Header=BB177_29 Depth=1
	v_mov_b32_e32 v8, s31
	ds_load_b32 v8, v8
	s_wait_dscnt 0x0
	v_add_nc_u32_e32 v7, v8, v7
	s_or_b32 exec_lo, exec_lo, s41
	s_and_saveexec_b32 s41, s11
	s_cbranch_execnz .LBB177_57
.LBB177_41:                             ;   in Loop: Header=BB177_29 Depth=1
	s_or_b32 exec_lo, exec_lo, s41
	s_and_saveexec_b32 s41, s12
	s_cbranch_execz .LBB177_58
.LBB177_42:                             ;   in Loop: Header=BB177_29 Depth=1
	v_mov_b32_e32 v8, s38
	ds_load_b32 v8, v8
	s_wait_dscnt 0x0
	v_add_nc_u32_e32 v7, v8, v7
	s_or_b32 exec_lo, exec_lo, s41
	s_and_saveexec_b32 s41, s13
	s_cbranch_execnz .LBB177_59
.LBB177_43:                             ;   in Loop: Header=BB177_29 Depth=1
	s_or_b32 exec_lo, exec_lo, s41
	s_and_saveexec_b32 s41, s14
	s_cbranch_execz .LBB177_60
.LBB177_44:                             ;   in Loop: Header=BB177_29 Depth=1
	v_mov_b32_e32 v8, s40
	ds_load_b32 v8, v8
	s_wait_dscnt 0x0
	v_add_nc_u32_e32 v7, v8, v7
	s_or_b32 exec_lo, exec_lo, s41
	s_and_saveexec_b32 s41, s15
	s_cbranch_execnz .LBB177_61
.LBB177_45:                             ;   in Loop: Header=BB177_29 Depth=1
	s_or_b32 exec_lo, exec_lo, s41
	s_and_saveexec_b32 s15, vcc_lo
	s_cbranch_execz .LBB177_28
	s_branch .LBB177_62
.LBB177_46:                             ;   in Loop: Header=BB177_29 Depth=1
	s_or_b32 exec_lo, exec_lo, s41
	s_and_saveexec_b32 s41, s1
	s_cbranch_execz .LBB177_31
.LBB177_47:                             ;   in Loop: Header=BB177_29 Depth=1
	v_mov_b32_e32 v8, s20
	ds_load_b32 v8, v8
	s_wait_dscnt 0x0
	v_add_nc_u32_e32 v7, v8, v7
	s_or_b32 exec_lo, exec_lo, s41
	s_and_saveexec_b32 s41, s2
	s_cbranch_execnz .LBB177_32
.LBB177_48:                             ;   in Loop: Header=BB177_29 Depth=1
	s_or_b32 exec_lo, exec_lo, s41
	s_and_saveexec_b32 s41, s3
	s_cbranch_execz .LBB177_33
.LBB177_49:                             ;   in Loop: Header=BB177_29 Depth=1
	v_mov_b32_e32 v8, s23
	ds_load_b32 v8, v8
	s_wait_dscnt 0x0
	v_add_nc_u32_e32 v7, v8, v7
	s_or_b32 exec_lo, exec_lo, s41
	s_and_saveexec_b32 s41, s4
	s_cbranch_execnz .LBB177_34
.LBB177_50:                             ;   in Loop: Header=BB177_29 Depth=1
	s_or_b32 exec_lo, exec_lo, s41
	s_and_saveexec_b32 s41, s5
	s_cbranch_execz .LBB177_35
.LBB177_51:                             ;   in Loop: Header=BB177_29 Depth=1
	v_mov_b32_e32 v8, s25
	ds_load_b32 v8, v8
	s_wait_dscnt 0x0
	v_add_nc_u32_e32 v7, v8, v7
	s_or_b32 exec_lo, exec_lo, s41
	s_and_saveexec_b32 s41, s6
	s_cbranch_execnz .LBB177_36
.LBB177_52:                             ;   in Loop: Header=BB177_29 Depth=1
	s_or_b32 exec_lo, exec_lo, s41
	s_and_saveexec_b32 s41, s7
	s_cbranch_execz .LBB177_37
.LBB177_53:                             ;   in Loop: Header=BB177_29 Depth=1
	v_mov_b32_e32 v8, s27
	ds_load_b32 v8, v8
	s_wait_dscnt 0x0
	v_add_nc_u32_e32 v7, v8, v7
	s_or_b32 exec_lo, exec_lo, s41
	s_and_saveexec_b32 s41, s8
	s_cbranch_execnz .LBB177_38
.LBB177_54:                             ;   in Loop: Header=BB177_29 Depth=1
	s_or_b32 exec_lo, exec_lo, s41
	s_and_saveexec_b32 s41, s9
	s_cbranch_execz .LBB177_39
.LBB177_55:                             ;   in Loop: Header=BB177_29 Depth=1
	v_mov_b32_e32 v8, s30
	ds_load_b32 v8, v8
	s_wait_dscnt 0x0
	v_add_nc_u32_e32 v7, v8, v7
	s_or_b32 exec_lo, exec_lo, s41
	s_and_saveexec_b32 s41, s10
	s_cbranch_execnz .LBB177_40
.LBB177_56:                             ;   in Loop: Header=BB177_29 Depth=1
	s_or_b32 exec_lo, exec_lo, s41
	s_and_saveexec_b32 s41, s11
	s_cbranch_execz .LBB177_41
.LBB177_57:                             ;   in Loop: Header=BB177_29 Depth=1
	v_mov_b32_e32 v8, s37
	ds_load_b32 v8, v8
	s_wait_dscnt 0x0
	v_add_nc_u32_e32 v7, v8, v7
	s_or_b32 exec_lo, exec_lo, s41
	s_and_saveexec_b32 s41, s12
	s_cbranch_execnz .LBB177_42
.LBB177_58:                             ;   in Loop: Header=BB177_29 Depth=1
	s_or_b32 exec_lo, exec_lo, s41
	s_and_saveexec_b32 s41, s13
	s_cbranch_execz .LBB177_43
.LBB177_59:                             ;   in Loop: Header=BB177_29 Depth=1
	v_mov_b32_e32 v8, s39
	ds_load_b32 v8, v8
	s_wait_dscnt 0x0
	v_add_nc_u32_e32 v7, v8, v7
	s_or_b32 exec_lo, exec_lo, s41
	s_and_saveexec_b32 s41, s14
	s_cbranch_execnz .LBB177_44
.LBB177_60:                             ;   in Loop: Header=BB177_29 Depth=1
	s_or_b32 exec_lo, exec_lo, s41
	s_and_saveexec_b32 s41, s15
	s_cbranch_execz .LBB177_45
.LBB177_61:                             ;   in Loop: Header=BB177_29 Depth=1
	s_delay_alu instid0(VALU_DEP_1) | instskip(NEXT) | instid1(VALU_DEP_1)
	v_add3_u32 v8, v1, -1, v7
	v_lshl_add_u32 v8, v8, 2, 0
	s_delay_alu instid0(VALU_DEP_1)
	v_add_nc_u32_e32 v9, 0x20000, v8
	ds_store_b32 v8, v5
	ds_store_b32 v9, v6
	s_or_b32 exec_lo, exec_lo, s41
	s_and_saveexec_b32 s15, vcc_lo
	s_cbranch_execz .LBB177_28
.LBB177_62:                             ;   in Loop: Header=BB177_29 Depth=1
	v_mov_b32_e32 v5, s36
	ds_store_b32 v5, v7
	s_branch .LBB177_28
.LBB177_63:                             ;   in Loop: Header=BB177_65 Depth=1
	s_or_b32 exec_lo, exec_lo, s5
.LBB177_64:                             ;   in Loop: Header=BB177_65 Depth=1
	s_delay_alu instid0(SALU_CYCLE_1) | instskip(SKIP_3) | instid1(VALU_DEP_2)
	s_or_b32 exec_lo, exec_lo, s4
	s_wait_loadcnt 0x0
	v_dual_lshlrev_b32 v3, 2, v3 :: v_dual_mul_f32 v1, s36, v1
	v_add_nc_u64_e32 v[4:5], 0x400, v[4:5]
	v_add3_u32 v3, 0, v3, 0x20000
	s_delay_alu instid0(VALU_DEP_2) | instskip(SKIP_2) | instid1(SALU_CYCLE_1)
	v_cmp_le_i64_e32 vcc_lo, s[2:3], v[4:5]
	ds_add_f32 v3, v1
	s_or_b32 s1, vcc_lo, s1
	s_and_not1_b32 exec_lo, exec_lo, s1
	s_cbranch_execz .LBB177_26
.LBB177_65:                             ; =>This Loop Header: Depth=1
                                        ;     Child Loop BB177_68 Depth 2
	v_lshlrev_b64_e32 v[6:7], 2, v[4:5]
	s_mov_b32 s4, exec_lo
	s_delay_alu instid0(VALU_DEP_1)
	v_add_nc_u64_e32 v[8:9], s[14:15], v[6:7]
	v_add_nc_u64_e32 v[6:7], s[16:17], v[6:7]
	global_load_b32 v3, v[8:9], off
	global_load_b32 v1, v[6:7], off
	s_wait_loadcnt 0x1
	s_wait_xcnt 0x0
	v_subrev_nc_u32_e32 v6, s23, v3
	s_delay_alu instid0(VALU_DEP_1) | instskip(NEXT) | instid1(VALU_DEP_1)
	v_mul_lo_u32 v3, 0x89, v6
	v_and_b32_e32 v3, 0x7fff, v3
	s_delay_alu instid0(VALU_DEP_1)
	v_lshl_add_u32 v7, v3, 2, 0
	ds_load_b32 v8, v7
	s_wait_dscnt 0x0
	v_cmpx_ne_u32_e64 v8, v6
	s_cbranch_execz .LBB177_64
; %bb.66:                               ;   in Loop: Header=BB177_65 Depth=1
	s_mov_b32 s5, 0
	s_branch .LBB177_68
.LBB177_67:                             ;   in Loop: Header=BB177_68 Depth=2
	s_or_b32 exec_lo, exec_lo, s8
	s_delay_alu instid0(SALU_CYCLE_1) | instskip(NEXT) | instid1(SALU_CYCLE_1)
	s_and_b32 s6, exec_lo, s7
	s_or_b32 s5, s6, s5
	s_delay_alu instid0(SALU_CYCLE_1)
	s_and_not1_b32 exec_lo, exec_lo, s5
	s_cbranch_execz .LBB177_63
.LBB177_68:                             ;   Parent Loop BB177_65 Depth=1
                                        ; =>  This Inner Loop Header: Depth=2
	s_mov_b32 s6, 0
	s_mov_b32 s7, exec_lo
	v_cmpx_ne_u32_e64 s33, v8
	s_xor_b32 s7, exec_lo, s7
	s_cbranch_execz .LBB177_70
; %bb.69:                               ;   in Loop: Header=BB177_68 Depth=2
	v_add_nc_u32_e32 v3, 1, v3
	s_mov_b32 s6, exec_lo
                                        ; implicit-def: $vgpr7
	s_delay_alu instid0(VALU_DEP_1)
	v_and_b32_e32 v3, 0x7fff, v3
	s_and_not1_saveexec_b32 s7, s7
	s_cbranch_execz .LBB177_72
	s_branch .LBB177_71
.LBB177_70:                             ;   in Loop: Header=BB177_68 Depth=2
	s_and_not1_saveexec_b32 s7, s7
	s_cbranch_execz .LBB177_72
.LBB177_71:                             ;   in Loop: Header=BB177_68 Depth=2
	v_mov_b32_e32 v8, s33
	s_and_not1_b32 s6, s6, exec_lo
	ds_cmpstore_rtn_b32 v7, v7, v6, v8
	s_wait_dscnt 0x0
	v_cmp_ne_u32_e32 vcc_lo, s33, v7
	s_and_b32 s8, vcc_lo, exec_lo
	s_delay_alu instid0(SALU_CYCLE_1)
	s_or_b32 s6, s6, s8
.LBB177_72:                             ;   in Loop: Header=BB177_68 Depth=2
	s_or_b32 exec_lo, exec_lo, s7
	s_mov_b32 s7, -1
                                        ; implicit-def: $vgpr7
                                        ; implicit-def: $vgpr8
	s_and_saveexec_b32 s8, s6
	s_cbranch_execz .LBB177_67
; %bb.73:                               ;   in Loop: Header=BB177_68 Depth=2
	v_lshl_add_u32 v7, v3, 2, 0
	ds_load_b32 v8, v7
	s_wait_dscnt 0x0
	v_cmp_eq_u32_e32 vcc_lo, v8, v6
	s_or_not1_b32 s7, vcc_lo, exec_lo
	s_branch .LBB177_67
.LBB177_74:
	s_or_b32 exec_lo, exec_lo, s16
	s_wait_kmcnt 0x0
	s_ashr_i32 s29, s28, 31
	s_delay_alu instid0(SALU_CYCLE_1) | instskip(NEXT) | instid1(SALU_CYCLE_1)
	s_lshl_b64 s[0:1], s[28:29], 3
	s_add_nc_u64 s[4:5], s[18:19], s[0:1]
	s_load_b128 s[0:3], s[4:5], 0x0
	s_wait_xcnt 0x0
	s_mov_b32 s4, exec_lo
	s_wait_kmcnt 0x0
	s_sub_co_i32 s3, s2, s0
	s_delay_alu instid0(SALU_CYCLE_1)
	v_cmpx_gt_i32_e64 s3, v0
	s_cbranch_execz .LBB177_84
; %bb.75:
	s_sub_co_i32 s4, s0, s2
	s_and_b32 s2, s3, 7
	s_cmp_lt_u32 s4, -7
	s_mov_b32 s23, 0
	s_cselect_b32 s4, -1, 0
	s_and_b32 s5, s3, -8
	s_cmp_lg_u32 s2, 0
	s_sub_nc_u64 s[0:1], s[0:1], s[22:23]
	s_cselect_b32 s6, -1, 0
	s_mov_b32 s7, 0
	s_branch .LBB177_77
.LBB177_76:                             ;   in Loop: Header=BB177_77 Depth=1
	v_add_nc_u32_e32 v0, 0x400, v0
	s_delay_alu instid0(VALU_DEP_2) | instskip(NEXT) | instid1(VALU_DEP_2)
	v_lshl_add_u64 v[2:3], v[2:3], 2, s[34:35]
	v_cmp_le_i32_e32 vcc_lo, s3, v0
	s_wait_dscnt 0x0
	global_store_b32 v[2:3], v1, off
	s_or_b32 s7, vcc_lo, s7
	s_wait_xcnt 0x0
	s_and_not1_b32 exec_lo, exec_lo, s7
	s_cbranch_execz .LBB177_84
.LBB177_77:                             ; =>This Loop Header: Depth=1
                                        ;     Child Loop BB177_79 Depth 2
                                        ;     Child Loop BB177_83 Depth 2
	v_lshl_add_u32 v1, v0, 2, 0
	s_and_not1_b32 vcc_lo, exec_lo, s4
	s_mov_b32 s8, 0
	s_delay_alu instid0(VALU_DEP_1)
	v_add_nc_u32_e32 v2, 0x20000, v1
	ds_load_b32 v4, v1
	ds_load_b32 v1, v2
	v_mov_b64_e32 v[2:3], s[0:1]
	s_cbranch_vccnz .LBB177_81
; %bb.78:                               ;   in Loop: Header=BB177_77 Depth=1
	v_mov_b64_e32 v[2:3], s[0:1]
	s_mov_b32 s9, 0
.LBB177_79:                             ;   Parent Loop BB177_77 Depth=1
                                        ; =>  This Inner Loop Header: Depth=2
	s_delay_alu instid0(SALU_CYCLE_1)
	v_dual_mov_b32 v5, s9 :: v_dual_mov_b32 v11, s23
	v_mov_b32_e32 v17, s23
	s_add_co_i32 s8, s8, 8
	s_add_co_i32 s9, s9, 32
	ds_load_2addr_b32 v[6:7], v5 offset1:1
	ds_load_2addr_b32 v[8:9], v5 offset0:2 offset1:3
	ds_load_2addr_b32 v[12:13], v5 offset0:4 offset1:5
	;; [unrolled: 1-line block ×3, first 2 shown]
	s_cmp_eq_u32 s5, s8
	s_wait_dscnt 0x3
	v_cmp_gt_i32_e32 vcc_lo, v4, v6
	v_cndmask_b32_e64 v10, 0, 1, vcc_lo
	v_cmp_gt_i32_e32 vcc_lo, v4, v7
	v_mov_b32_e32 v7, s23
	s_delay_alu instid0(VALU_DEP_3) | instskip(SKIP_4) | instid1(VALU_DEP_3)
	v_add_nc_u64_e32 v[2:3], v[2:3], v[10:11]
	v_cndmask_b32_e64 v16, 0, 1, vcc_lo
	s_wait_dscnt 0x2
	v_cmp_gt_i32_e32 vcc_lo, v4, v8
	v_cndmask_b32_e64 v6, 0, 1, vcc_lo
	v_add_nc_u64_e32 v[2:3], v[2:3], v[16:17]
	v_cmp_gt_i32_e32 vcc_lo, v4, v9
	v_mov_b32_e32 v9, s23
	v_cndmask_b32_e64 v10, 0, 1, vcc_lo
	s_delay_alu instid0(VALU_DEP_4) | instskip(SKIP_3) | instid1(VALU_DEP_3)
	v_add_nc_u64_e32 v[2:3], v[2:3], v[6:7]
	s_wait_dscnt 0x1
	v_cmp_gt_i32_e32 vcc_lo, v4, v12
	v_cndmask_b32_e64 v6, 0, 1, vcc_lo
	v_add_nc_u64_e32 v[2:3], v[2:3], v[10:11]
	v_cmp_gt_i32_e32 vcc_lo, v4, v13
	v_cndmask_b32_e64 v8, 0, 1, vcc_lo
	s_delay_alu instid0(VALU_DEP_3) | instskip(SKIP_3) | instid1(VALU_DEP_3)
	v_add_nc_u64_e32 v[2:3], v[2:3], v[6:7]
	s_wait_dscnt 0x0
	v_cmp_gt_i32_e32 vcc_lo, v4, v14
	v_cndmask_b32_e64 v6, 0, 1, vcc_lo
	v_add_nc_u64_e32 v[2:3], v[2:3], v[8:9]
	v_cmp_gt_i32_e32 vcc_lo, v4, v15
	v_cndmask_b32_e64 v8, 0, 1, vcc_lo
	s_delay_alu instid0(VALU_DEP_3) | instskip(NEXT) | instid1(VALU_DEP_1)
	v_add_nc_u64_e32 v[2:3], v[2:3], v[6:7]
	v_add_nc_u64_e32 v[2:3], v[2:3], v[8:9]
	s_cbranch_scc0 .LBB177_79
; %bb.80:                               ;   in Loop: Header=BB177_77 Depth=1
	s_mov_b32 s8, s5
.LBB177_81:                             ;   in Loop: Header=BB177_77 Depth=1
	s_and_not1_b32 vcc_lo, exec_lo, s6
	s_cbranch_vccnz .LBB177_76
; %bb.82:                               ;   in Loop: Header=BB177_77 Depth=1
	s_lshl_b32 s8, s8, 2
	s_mov_b32 s9, s2
	s_add_co_i32 s8, s8, 0
.LBB177_83:                             ;   Parent Loop BB177_77 Depth=1
                                        ; =>  This Inner Loop Header: Depth=2
	s_delay_alu instid0(SALU_CYCLE_1)
	v_dual_mov_b32 v5, s8 :: v_dual_mov_b32 v7, s23
	s_add_co_i32 s9, s9, -1
	s_add_co_i32 s8, s8, 4
	s_cmp_lg_u32 s9, 0
	ds_load_b32 v5, v5
	s_wait_dscnt 0x0
	v_cmp_gt_i32_e32 vcc_lo, v4, v5
	v_cndmask_b32_e64 v6, 0, 1, vcc_lo
	s_delay_alu instid0(VALU_DEP_1)
	v_add_nc_u64_e32 v[2:3], v[2:3], v[6:7]
	s_cbranch_scc1 .LBB177_83
	s_branch .LBB177_76
.LBB177_84:
	s_endpgm
	.section	.rodata,"a",@progbits
	.p2align	6, 0x0
	.amdhsa_kernel _ZN9rocsparseL41csrgemm_numeric_fill_block_per_row_kernelILj1024ELj64ELj32768ELj137ELj64ElifEEvT5_PKS1_S3_NS_24const_host_device_scalarIT6_EEPKT4_S3_PKS5_S9_S3_SB_S6_S9_S3_SB_S9_S3_PS5_21rocsparse_index_base_SD_SD_SD_bbb
		.amdhsa_group_segment_fixed_size 0
		.amdhsa_private_segment_fixed_size 0
		.amdhsa_kernarg_size 156
		.amdhsa_user_sgpr_count 2
		.amdhsa_user_sgpr_dispatch_ptr 0
		.amdhsa_user_sgpr_queue_ptr 0
		.amdhsa_user_sgpr_kernarg_segment_ptr 1
		.amdhsa_user_sgpr_dispatch_id 0
		.amdhsa_user_sgpr_kernarg_preload_length 0
		.amdhsa_user_sgpr_kernarg_preload_offset 0
		.amdhsa_user_sgpr_private_segment_size 0
		.amdhsa_wavefront_size32 1
		.amdhsa_uses_dynamic_stack 0
		.amdhsa_enable_private_segment 0
		.amdhsa_system_sgpr_workgroup_id_x 1
		.amdhsa_system_sgpr_workgroup_id_y 0
		.amdhsa_system_sgpr_workgroup_id_z 0
		.amdhsa_system_sgpr_workgroup_info 0
		.amdhsa_system_vgpr_workitem_id 0
		.amdhsa_next_free_vgpr 18
		.amdhsa_next_free_sgpr 44
		.amdhsa_named_barrier_count 0
		.amdhsa_reserve_vcc 1
		.amdhsa_float_round_mode_32 0
		.amdhsa_float_round_mode_16_64 0
		.amdhsa_float_denorm_mode_32 3
		.amdhsa_float_denorm_mode_16_64 3
		.amdhsa_fp16_overflow 0
		.amdhsa_memory_ordered 1
		.amdhsa_forward_progress 1
		.amdhsa_inst_pref_size 27
		.amdhsa_round_robin_scheduling 0
		.amdhsa_exception_fp_ieee_invalid_op 0
		.amdhsa_exception_fp_denorm_src 0
		.amdhsa_exception_fp_ieee_div_zero 0
		.amdhsa_exception_fp_ieee_overflow 0
		.amdhsa_exception_fp_ieee_underflow 0
		.amdhsa_exception_fp_ieee_inexact 0
		.amdhsa_exception_int_div_zero 0
	.end_amdhsa_kernel
	.section	.text._ZN9rocsparseL41csrgemm_numeric_fill_block_per_row_kernelILj1024ELj64ELj32768ELj137ELj64ElifEEvT5_PKS1_S3_NS_24const_host_device_scalarIT6_EEPKT4_S3_PKS5_S9_S3_SB_S6_S9_S3_SB_S9_S3_PS5_21rocsparse_index_base_SD_SD_SD_bbb,"axG",@progbits,_ZN9rocsparseL41csrgemm_numeric_fill_block_per_row_kernelILj1024ELj64ELj32768ELj137ELj64ElifEEvT5_PKS1_S3_NS_24const_host_device_scalarIT6_EEPKT4_S3_PKS5_S9_S3_SB_S6_S9_S3_SB_S9_S3_PS5_21rocsparse_index_base_SD_SD_SD_bbb,comdat
.Lfunc_end177:
	.size	_ZN9rocsparseL41csrgemm_numeric_fill_block_per_row_kernelILj1024ELj64ELj32768ELj137ELj64ElifEEvT5_PKS1_S3_NS_24const_host_device_scalarIT6_EEPKT4_S3_PKS5_S9_S3_SB_S6_S9_S3_SB_S9_S3_PS5_21rocsparse_index_base_SD_SD_SD_bbb, .Lfunc_end177-_ZN9rocsparseL41csrgemm_numeric_fill_block_per_row_kernelILj1024ELj64ELj32768ELj137ELj64ElifEEvT5_PKS1_S3_NS_24const_host_device_scalarIT6_EEPKT4_S3_PKS5_S9_S3_SB_S6_S9_S3_SB_S9_S3_PS5_21rocsparse_index_base_SD_SD_SD_bbb
                                        ; -- End function
	.set _ZN9rocsparseL41csrgemm_numeric_fill_block_per_row_kernelILj1024ELj64ELj32768ELj137ELj64ElifEEvT5_PKS1_S3_NS_24const_host_device_scalarIT6_EEPKT4_S3_PKS5_S9_S3_SB_S6_S9_S3_SB_S9_S3_PS5_21rocsparse_index_base_SD_SD_SD_bbb.num_vgpr, 18
	.set _ZN9rocsparseL41csrgemm_numeric_fill_block_per_row_kernelILj1024ELj64ELj32768ELj137ELj64ElifEEvT5_PKS1_S3_NS_24const_host_device_scalarIT6_EEPKT4_S3_PKS5_S9_S3_SB_S6_S9_S3_SB_S9_S3_PS5_21rocsparse_index_base_SD_SD_SD_bbb.num_agpr, 0
	.set _ZN9rocsparseL41csrgemm_numeric_fill_block_per_row_kernelILj1024ELj64ELj32768ELj137ELj64ElifEEvT5_PKS1_S3_NS_24const_host_device_scalarIT6_EEPKT4_S3_PKS5_S9_S3_SB_S6_S9_S3_SB_S9_S3_PS5_21rocsparse_index_base_SD_SD_SD_bbb.numbered_sgpr, 44
	.set _ZN9rocsparseL41csrgemm_numeric_fill_block_per_row_kernelILj1024ELj64ELj32768ELj137ELj64ElifEEvT5_PKS1_S3_NS_24const_host_device_scalarIT6_EEPKT4_S3_PKS5_S9_S3_SB_S6_S9_S3_SB_S9_S3_PS5_21rocsparse_index_base_SD_SD_SD_bbb.num_named_barrier, 0
	.set _ZN9rocsparseL41csrgemm_numeric_fill_block_per_row_kernelILj1024ELj64ELj32768ELj137ELj64ElifEEvT5_PKS1_S3_NS_24const_host_device_scalarIT6_EEPKT4_S3_PKS5_S9_S3_SB_S6_S9_S3_SB_S9_S3_PS5_21rocsparse_index_base_SD_SD_SD_bbb.private_seg_size, 0
	.set _ZN9rocsparseL41csrgemm_numeric_fill_block_per_row_kernelILj1024ELj64ELj32768ELj137ELj64ElifEEvT5_PKS1_S3_NS_24const_host_device_scalarIT6_EEPKT4_S3_PKS5_S9_S3_SB_S6_S9_S3_SB_S9_S3_PS5_21rocsparse_index_base_SD_SD_SD_bbb.uses_vcc, 1
	.set _ZN9rocsparseL41csrgemm_numeric_fill_block_per_row_kernelILj1024ELj64ELj32768ELj137ELj64ElifEEvT5_PKS1_S3_NS_24const_host_device_scalarIT6_EEPKT4_S3_PKS5_S9_S3_SB_S6_S9_S3_SB_S9_S3_PS5_21rocsparse_index_base_SD_SD_SD_bbb.uses_flat_scratch, 0
	.set _ZN9rocsparseL41csrgemm_numeric_fill_block_per_row_kernelILj1024ELj64ELj32768ELj137ELj64ElifEEvT5_PKS1_S3_NS_24const_host_device_scalarIT6_EEPKT4_S3_PKS5_S9_S3_SB_S6_S9_S3_SB_S9_S3_PS5_21rocsparse_index_base_SD_SD_SD_bbb.has_dyn_sized_stack, 0
	.set _ZN9rocsparseL41csrgemm_numeric_fill_block_per_row_kernelILj1024ELj64ELj32768ELj137ELj64ElifEEvT5_PKS1_S3_NS_24const_host_device_scalarIT6_EEPKT4_S3_PKS5_S9_S3_SB_S6_S9_S3_SB_S9_S3_PS5_21rocsparse_index_base_SD_SD_SD_bbb.has_recursion, 0
	.set _ZN9rocsparseL41csrgemm_numeric_fill_block_per_row_kernelILj1024ELj64ELj32768ELj137ELj64ElifEEvT5_PKS1_S3_NS_24const_host_device_scalarIT6_EEPKT4_S3_PKS5_S9_S3_SB_S6_S9_S3_SB_S9_S3_PS5_21rocsparse_index_base_SD_SD_SD_bbb.has_indirect_call, 0
	.section	.AMDGPU.csdata,"",@progbits
; Kernel info:
; codeLenInByte = 3416
; TotalNumSgprs: 46
; NumVgprs: 18
; ScratchSize: 0
; MemoryBound: 0
; FloatMode: 240
; IeeeMode: 1
; LDSByteSize: 0 bytes/workgroup (compile time only)
; SGPRBlocks: 0
; VGPRBlocks: 1
; NumSGPRsForWavesPerEU: 46
; NumVGPRsForWavesPerEU: 18
; NamedBarCnt: 0
; Occupancy: 16
; WaveLimiterHint : 1
; COMPUTE_PGM_RSRC2:SCRATCH_EN: 0
; COMPUTE_PGM_RSRC2:USER_SGPR: 2
; COMPUTE_PGM_RSRC2:TRAP_HANDLER: 0
; COMPUTE_PGM_RSRC2:TGID_X_EN: 1
; COMPUTE_PGM_RSRC2:TGID_Y_EN: 0
; COMPUTE_PGM_RSRC2:TGID_Z_EN: 0
; COMPUTE_PGM_RSRC2:TIDIG_COMP_CNT: 0
	.section	.text._ZN9rocsparseL51csrgemm_numeric_fill_block_per_row_multipass_kernelILj512ELj16ELj2048ELj32ElifEEvT4_PKS1_S3_NS_24const_host_device_scalarIT5_EEPKT3_S3_PKS5_S9_S3_SB_S6_S9_S3_SB_S9_S3_PS5_PS7_21rocsparse_index_base_SE_SE_SE_bbb,"axG",@progbits,_ZN9rocsparseL51csrgemm_numeric_fill_block_per_row_multipass_kernelILj512ELj16ELj2048ELj32ElifEEvT4_PKS1_S3_NS_24const_host_device_scalarIT5_EEPKT3_S3_PKS5_S9_S3_SB_S6_S9_S3_SB_S9_S3_PS5_PS7_21rocsparse_index_base_SE_SE_SE_bbb,comdat
	.globl	_ZN9rocsparseL51csrgemm_numeric_fill_block_per_row_multipass_kernelILj512ELj16ELj2048ELj32ElifEEvT4_PKS1_S3_NS_24const_host_device_scalarIT5_EEPKT3_S3_PKS5_S9_S3_SB_S6_S9_S3_SB_S9_S3_PS5_PS7_21rocsparse_index_base_SE_SE_SE_bbb ; -- Begin function _ZN9rocsparseL51csrgemm_numeric_fill_block_per_row_multipass_kernelILj512ELj16ELj2048ELj32ElifEEvT4_PKS1_S3_NS_24const_host_device_scalarIT5_EEPKT3_S3_PKS5_S9_S3_SB_S6_S9_S3_SB_S9_S3_PS5_PS7_21rocsparse_index_base_SE_SE_SE_bbb
	.p2align	8
	.type	_ZN9rocsparseL51csrgemm_numeric_fill_block_per_row_multipass_kernelILj512ELj16ELj2048ELj32ElifEEvT4_PKS1_S3_NS_24const_host_device_scalarIT5_EEPKT3_S3_PKS5_S9_S3_SB_S6_S9_S3_SB_S9_S3_PS5_PS7_21rocsparse_index_base_SE_SE_SE_bbb,@function
_ZN9rocsparseL51csrgemm_numeric_fill_block_per_row_multipass_kernelILj512ELj16ELj2048ELj32ElifEEvT4_PKS1_S3_NS_24const_host_device_scalarIT5_EEPKT3_S3_PKS5_S9_S3_SB_S6_S9_S3_SB_S9_S3_PS5_PS7_21rocsparse_index_base_SE_SE_SE_bbb: ; @_ZN9rocsparseL51csrgemm_numeric_fill_block_per_row_multipass_kernelILj512ELj16ELj2048ELj32ElifEEvT4_PKS1_S3_NS_24const_host_device_scalarIT5_EEPKT3_S3_PKS5_S9_S3_SB_S6_S9_S3_SB_S9_S3_PS5_PS7_21rocsparse_index_base_SE_SE_SE_bbb
; %bb.0:
	s_clause 0x4
	s_load_b32 s10, s[0:1], 0xa0
	s_load_b64 s[8:9], s[0:1], 0x18
	s_load_b128 s[4:7], s[0:1], 0x8
	s_load_b128 s[28:31], s[0:1], 0x90
	s_load_b64 s[2:3], s[0:1], 0x50
	s_wait_kmcnt 0x0
	s_and_b32 s12, 1, s10
	s_bitcmp1_b32 s10, 16
	s_cselect_b32 s11, -1, 0
	s_cmp_eq_u32 s12, 1
	s_cselect_b32 s18, -1, 0
	s_delay_alu instid0(SALU_CYCLE_1) | instskip(SKIP_2) | instid1(SALU_CYCLE_1)
	s_and_b32 s12, s18, exec_lo
	s_cselect_b32 s33, s8, 0
	s_xor_b32 s12, s18, -1
	s_or_b32 s12, s11, s12
	s_delay_alu instid0(SALU_CYCLE_1)
	s_and_b32 vcc_lo, exec_lo, s12
	s_cbranch_vccnz .LBB178_2
; %bb.1:
	s_load_b32 s33, s[8:9], 0x0
.LBB178_2:
	s_bitcmp1_b32 s10, 8
	s_cselect_b32 s54, -1, 0
	s_wait_xcnt 0x0
	s_and_b32 s8, s54, exec_lo
	s_cselect_b32 s55, s2, 0
	s_xor_b32 s8, s54, -1
	s_delay_alu instid0(SALU_CYCLE_1) | instskip(NEXT) | instid1(SALU_CYCLE_1)
	s_or_b32 s8, s11, s8
	s_and_b32 vcc_lo, exec_lo, s8
	s_cbranch_vccnz .LBB178_4
; %bb.3:
	s_load_b32 s55, s[2:3], 0x0
.LBB178_4:
	s_wait_xcnt 0x0
	s_load_b32 s2, s[4:5], 0x0
	s_bfe_u32 s3, ttmp6, 0x4000c
	s_wait_xcnt 0x0
	s_and_b32 s4, ttmp6, 15
	s_add_co_i32 s3, s3, 1
	s_getreg_b32 s5, hwreg(HW_REG_IB_STS2, 6, 4)
	s_mul_i32 s3, ttmp9, s3
	s_mov_b64 s[34:35], 0
	s_add_co_i32 s4, s4, s3
	s_cmp_eq_u32 s5, 0
	s_cselect_b32 s3, ttmp9, s4
	s_and_not1_b32 vcc_lo, exec_lo, s18
	s_mov_b64 s[4:5], 0
	s_wait_kmcnt 0x0
	s_add_co_i32 s3, s2, s3
	s_load_b64 s[8:9], s[0:1], 0x20
	s_load_b32 s2, s[6:7], s3 offset:0x0 scale_offset
	s_wait_xcnt 0x0
	s_mov_b32 s7, 0
	s_cbranch_vccz .LBB178_7
; %bb.5:
	s_and_not1_b32 vcc_lo, exec_lo, s18
	s_cbranch_vccz .LBB178_8
.LBB178_6:
	s_load_b32 s56, s[0:1], 0x0
	s_wait_kmcnt 0x0
	s_cmp_lt_i32 s56, 1
	s_cbranch_scc0 .LBB178_9
	s_branch .LBB178_62
.LBB178_7:
	s_wait_kmcnt 0x0
	s_ashr_i32 s3, s2, 31
	s_mov_b32 s6, s28
	s_lshl_b64 s[4:5], s[2:3], 3
	s_delay_alu instid0(SALU_CYCLE_1)
	s_add_nc_u64 s[4:5], s[8:9], s[4:5]
	s_load_b64 s[4:5], s[4:5], 0x0
	s_wait_kmcnt 0x0
	s_sub_nc_u64 s[4:5], s[4:5], s[6:7]
	s_and_not1_b32 vcc_lo, exec_lo, s18
	s_cbranch_vccnz .LBB178_6
.LBB178_8:
	s_wait_kmcnt 0x0
	s_ashr_i32 s3, s2, 31
	s_delay_alu instid0(SALU_CYCLE_1) | instskip(NEXT) | instid1(SALU_CYCLE_1)
	s_lshl_b64 s[6:7], s[2:3], 3
	s_add_nc_u64 s[6:7], s[8:9], s[6:7]
	s_mov_b32 s9, 0
	s_load_b64 s[6:7], s[6:7], 0x8
	s_mov_b32 s8, s28
	s_wait_kmcnt 0x0
	s_sub_nc_u64 s[34:35], s[6:7], s[8:9]
	s_load_b32 s56, s[0:1], 0x0
	s_wait_kmcnt 0x0
	s_cmp_lt_i32 s56, 1
	s_cbranch_scc1 .LBB178_62
.LBB178_9:
	s_clause 0x3
	s_load_b256 s[20:27], s[0:1], 0x58
	s_load_b256 s[36:43], s[0:1], 0x28
	s_load_b128 s[44:47], s[0:1], 0x80
	s_load_b64 s[48:49], s[0:1], 0x48
	v_mbcnt_lo_u32_b32 v8, -1, 0
	v_dual_lshrrev_b32 v2, 4, v0 :: v_dual_bitop2_b32 v1, 15, v0 bitop3:0x40
	v_dual_mov_b32 v3, 0 :: v_dual_lshrrev_b32 v10, 3, v0
	s_delay_alu instid0(VALU_DEP_3) | instskip(SKIP_2) | instid1(VALU_DEP_3)
	v_xor_b32_e32 v11, 4, v8
	v_xor_b32_e32 v9, 8, v8
	s_ashr_i32 s3, s2, 31
	v_add_nc_u64_e32 v[4:5], s[4:5], v[2:3]
	v_mov_b32_e32 v2, v1
	s_wait_xcnt 0x0
	v_cmp_eq_u32_e64 s1, 15, v1
	v_mov_b32_e32 v1, v3
	v_cmp_gt_i32_e32 vcc_lo, 32, v9
	s_mov_b32 s51, 0
	s_lshl_b64 s[58:59], s[2:3], 3
	s_mov_b32 s52, s31
	s_mov_b32 s53, s51
	s_wait_kmcnt 0x0
	s_add_nc_u64 s[2:3], s[26:27], s[58:59]
	v_sub_nc_u64_e64 v[6:7], v[0:1], s[52:53]
	v_cndmask_b32_e32 v1, v8, v9, vcc_lo
	s_load_b64 s[2:3], s[2:3], 0x0
	v_xor_b32_e32 v13, 1, v8
	v_cmp_gt_i32_e32 vcc_lo, 32, v11
	s_mov_b32 s50, s30
	v_dual_lshlrev_b32 v9, 2, v1 :: v_dual_bitop2_b32 v12, 2, v8 bitop3:0x14
	v_cmp_eq_u32_e64 s0, 0, v0
	v_dual_cndmask_b32 v11, v8, v11, vcc_lo :: v_dual_bitop2_b32 v14, 31, v8 bitop3:0x14
	v_cmp_gt_u32_e64 s4, 64, v0
	s_delay_alu instid0(VALU_DEP_4)
	v_cmp_gt_i32_e32 vcc_lo, 32, v12
	v_cmp_gt_u32_e64 s5, 0x60, v0
	v_cmp_gt_u32_e64 s6, 0x80, v0
	;; [unrolled: 1-line block ×4, first 2 shown]
	v_cndmask_b32_e32 v12, v8, v12, vcc_lo
	v_cmp_gt_i32_e32 vcc_lo, 32, v13
	v_cmp_gt_u32_e64 s9, 0xe0, v0
	v_cmp_gt_u32_e64 s10, 0x100, v0
	;; [unrolled: 1-line block ×3, first 2 shown]
	s_wait_kmcnt 0x0
	s_sub_nc_u64 s[26:27], s[2:3], s[50:51]
	v_cndmask_b32_e32 v13, v8, v13, vcc_lo
	v_cmp_gt_i64_e32 vcc_lo, s[34:35], v[4:5]
	v_cmp_eq_u32_e64 s2, 0x1ff, v0
	v_cmp_gt_u32_e64 s3, 32, v0
	v_cmp_gt_u32_e64 s12, 0x140, v0
	;; [unrolled: 1-line block ×7, first 2 shown]
	v_or_b32_e32 v30, 0xfffffe00, v0
	v_dual_mov_b32 v34, 0x800 :: v_dual_lshlrev_b32 v31, 2, v0
	v_mov_b64_e32 v[0:1], s[26:27]
	v_lshlrev_b32_e32 v26, 2, v11
	v_lshrrev_b32_e64 v8, v14, -1
	v_dual_lshlrev_b32 v28, 2, v13 :: v_dual_lshlrev_b32 v27, 2, v12
	v_dual_mov_b32 v32, 1 :: v_dual_bitop2_b32 v29, 60, v10 bitop3:0x40
	v_mov_b32_e32 v33, v3
	s_mov_b32 s50, s29
	s_add_nc_u64 s[26:27], s[20:21], s[58:59]
	s_and_b32 s30, s18, vcc_lo
	s_branch .LBB178_11
.LBB178_10:                             ;   in Loop: Header=BB178_11 Depth=1
	s_or_b32 exec_lo, exec_lo, s18
	ds_load_b32 v33, v3 offset:10240
	s_wait_dscnt 0x0
	s_barrier_signal -1
	s_barrier_wait -1
	v_cmp_le_i32_e32 vcc_lo, s56, v33
	v_add_nc_u32_e32 v34, 0x800, v33
	s_cbranch_vccnz .LBB178_62
.LBB178_11:                             ; =>This Loop Header: Depth=1
                                        ;     Child Loop BB178_12 Depth 2
                                        ;     Child Loop BB178_18 Depth 2
                                        ;       Child Loop BB178_24 Depth 3
                                        ;     Child Loop BB178_41 Depth 2
                                        ;     Child Loop BB178_53 Depth 2
	;; [unrolled: 1-line block ×3, first 2 shown]
	v_dual_mov_b32 v10, v31 :: v_dual_mov_b32 v11, v30
	s_mov_b32 s18, 0
.LBB178_12:                             ;   Parent Loop BB178_11 Depth=1
                                        ; =>  This Inner Loop Header: Depth=2
	ds_store_b8 v11, v3 offset:8704
	v_add_nc_u32_e32 v11, 0x200, v11
	ds_store_b32 v10, v3
	v_add_nc_u32_e32 v10, 0x800, v10
	v_cmp_lt_u32_e32 vcc_lo, 0x5ff, v11
	s_or_b32 s18, vcc_lo, s18
	s_delay_alu instid0(SALU_CYCLE_1)
	s_and_not1_b32 exec_lo, exec_lo, s18
	s_cbranch_execnz .LBB178_12
; %bb.13:                               ;   in Loop: Header=BB178_11 Depth=1
	s_or_b32 exec_lo, exec_lo, s18
	s_and_saveexec_b32 s18, s0
; %bb.14:                               ;   in Loop: Header=BB178_11 Depth=1
	v_mov_b32_e32 v10, s56
	ds_store_b32 v3, v10 offset:10240
; %bb.15:                               ;   in Loop: Header=BB178_11 Depth=1
	s_or_b32 exec_lo, exec_lo, s18
	v_mov_b32_e32 v35, s56
	s_wait_dscnt 0x0
	s_barrier_signal -1
	s_barrier_wait -1
	s_and_saveexec_b32 s21, s30
	s_cbranch_execz .LBB178_37
; %bb.16:                               ;   in Loop: Header=BB178_11 Depth=1
	v_mov_b64_e32 v[10:11], v[4:5]
	v_cmp_ne_u32_e64 s18, 0, v33
	v_mov_b32_e32 v35, s56
	s_mov_b32 s57, 0
	s_branch .LBB178_18
.LBB178_17:                             ;   in Loop: Header=BB178_18 Depth=2
	s_wait_xcnt 0x0
	s_or_b32 exec_lo, exec_lo, s19
	v_add_nc_u64_e32 v[10:11], 32, v[10:11]
	s_delay_alu instid0(VALU_DEP_1) | instskip(SKIP_1) | instid1(SALU_CYCLE_1)
	v_cmp_le_i64_e32 vcc_lo, s[34:35], v[10:11]
	s_or_b32 s57, vcc_lo, s57
	s_and_not1_b32 exec_lo, exec_lo, s57
	s_cbranch_execz .LBB178_36
.LBB178_18:                             ;   Parent Loop BB178_11 Depth=1
                                        ; =>  This Loop Header: Depth=2
                                        ;       Child Loop BB178_24 Depth 3
	v_lshlrev_b64_e32 v[12:13], 2, v[10:11]
	s_and_b32 vcc_lo, exec_lo, s18
	s_delay_alu instid0(VALU_DEP_1)
	v_add_nc_u64_e32 v[14:15], s[36:37], v[12:13]
	v_add_nc_u64_e32 v[12:13], s[38:39], v[12:13]
	global_load_b32 v14, v[14:15], off
	global_load_b32 v22, v[12:13], off
	s_wait_xcnt 0x0
	v_lshl_add_u64 v[12:13], v[10:11], 3, s[46:47]
	s_wait_loadcnt 0x1
	v_subrev_nc_u32_e32 v14, s28, v14
	s_delay_alu instid0(VALU_DEP_1)
	v_ashrrev_i32_e32 v15, 31, v14
	s_cbranch_vccz .LBB178_35
; %bb.19:                               ;   in Loop: Header=BB178_18 Depth=2
	global_load_b64 v[18:19], v[12:13], off
	s_cbranch_execnz .LBB178_21
.LBB178_20:                             ;   in Loop: Header=BB178_18 Depth=2
	s_wait_dscnt 0x0
	global_load_b64 v[16:17], v14, s[40:41] scale_offset
	s_wait_loadcnt 0x0
	v_sub_nc_u64_e64 v[18:19], v[16:17], s[50:51]
.LBB178_21:                             ;   in Loop: Header=BB178_18 Depth=2
	s_wait_xcnt 0x0
	v_lshl_add_u64 v[14:15], v[14:15], 3, s[40:41]
	s_mov_b32 s58, exec_lo
	global_load_b64 v[14:15], v[14:15], off offset:8
	s_wait_loadcnt_dscnt 0x0
	v_sub_nc_u64_e64 v[16:17], v[14:15], s[50:51]
	s_wait_xcnt 0x0
	v_add_nc_u64_e32 v[14:15], v[18:19], v[2:3]
	s_delay_alu instid0(VALU_DEP_1)
	v_cmpx_lt_i64_e64 v[14:15], v[16:17]
	s_cbranch_execz .LBB178_33
; %bb.22:                               ;   in Loop: Header=BB178_18 Depth=2
	v_lshlrev_b64_e32 v[20:21], 2, v[14:15]
	v_mov_b64_e32 v[24:25], v[14:15]
	v_mul_f32_e32 v36, s33, v22
	s_mov_b32 s60, 0
                                        ; implicit-def: $sgpr59
                                        ; implicit-def: $sgpr61
	s_delay_alu instid0(VALU_DEP_3)
	v_add_nc_u64_e32 v[18:19], s[42:43], v[20:21]
	v_add_nc_u64_e32 v[20:21], s[48:49], v[20:21]
	s_branch .LBB178_24
.LBB178_23:                             ;   in Loop: Header=BB178_24 Depth=3
	s_or_b32 exec_lo, exec_lo, s62
	s_delay_alu instid0(SALU_CYCLE_1) | instskip(NEXT) | instid1(SALU_CYCLE_1)
	s_and_b32 s19, exec_lo, s20
	s_or_b32 s60, s19, s60
	s_and_not1_b32 s19, s59, exec_lo
	s_and_b32 s20, s61, exec_lo
	s_delay_alu instid0(SALU_CYCLE_1)
	s_or_b32 s59, s19, s20
	s_and_not1_b32 exec_lo, exec_lo, s60
	s_cbranch_execz .LBB178_30
.LBB178_24:                             ;   Parent Loop BB178_11 Depth=1
                                        ;     Parent Loop BB178_18 Depth=2
                                        ; =>    This Inner Loop Header: Depth=3
	global_load_b32 v22, v[18:19], off
	s_wait_loadcnt 0x0
	v_subrev_nc_u32_e32 v37, s29, v22
	v_mov_b64_e32 v[22:23], v[24:25]
	s_delay_alu instid0(VALU_DEP_2)
	v_cmp_lt_i32_e64 s19, v37, v33
	v_cmp_ge_i32_e64 s20, v37, v34
	v_cmp_lt_i32_e32 vcc_lo, v37, v34
	s_or_b32 s20, s19, s20
	s_mov_b32 s19, 0
	s_wait_xcnt 0x0
	s_and_saveexec_b32 s62, s20
	s_delay_alu instid0(SALU_CYCLE_1)
	s_xor_b32 s20, exec_lo, s62
; %bb.25:                               ;   in Loop: Header=BB178_24 Depth=3
	s_and_b32 s19, vcc_lo, exec_lo
; %bb.26:                               ;   in Loop: Header=BB178_24 Depth=3
	s_and_not1_saveexec_b32 s20, s20
	s_cbranch_execz .LBB178_28
; %bb.27:                               ;   in Loop: Header=BB178_24 Depth=3
	global_load_b32 v24, v[20:21], off
	v_sub_nc_u32_e32 v25, v37, v33
	s_or_b32 s19, s19, exec_lo
	s_wait_loadcnt 0x0
	s_delay_alu instid0(VALU_DEP_1)
	v_dual_mul_f32 v24, v36, v24 :: v_dual_lshlrev_b32 v38, 2, v25
	ds_store_b8 v25, v32 offset:8192
	ds_add_f32 v38, v24
.LBB178_28:                             ;   in Loop: Header=BB178_24 Depth=3
	s_wait_xcnt 0x0
	s_or_b32 exec_lo, exec_lo, s20
	s_mov_b32 s20, -1
	s_or_b32 s61, s61, exec_lo
                                        ; implicit-def: $vgpr24_vgpr25
	s_and_saveexec_b32 s62, s19
	s_cbranch_execz .LBB178_23
; %bb.29:                               ;   in Loop: Header=BB178_24 Depth=3
	v_add_nc_u64_e32 v[24:25], 16, v[22:23]
	v_add_nc_u64_e32 v[18:19], 64, v[18:19]
	;; [unrolled: 1-line block ×3, first 2 shown]
	s_and_not1_b32 s61, s61, exec_lo
	s_delay_alu instid0(VALU_DEP_3)
	v_cmp_ge_i64_e32 vcc_lo, v[24:25], v[16:17]
	s_or_not1_b32 s20, vcc_lo, exec_lo
	s_branch .LBB178_23
.LBB178_30:                             ;   in Loop: Header=BB178_18 Depth=2
	s_or_b32 exec_lo, exec_lo, s60
	s_and_saveexec_b32 s19, s59
	s_delay_alu instid0(SALU_CYCLE_1)
	s_xor_b32 s19, exec_lo, s19
; %bb.31:                               ;   in Loop: Header=BB178_18 Depth=2
	v_mov_b64_e32 v[14:15], v[22:23]
	v_min_i32_e32 v35, v37, v35
; %bb.32:                               ;   in Loop: Header=BB178_18 Depth=2
	s_or_b32 exec_lo, exec_lo, s19
.LBB178_33:                             ;   in Loop: Header=BB178_18 Depth=2
	s_delay_alu instid0(SALU_CYCLE_1)
	s_or_b32 exec_lo, exec_lo, s58
	ds_bpermute_b32 v16, v9, v14
	ds_bpermute_b32 v17, v9, v15
	s_wait_dscnt 0x0
	v_min_i64 v[14:15], v[16:17], v[14:15]
	ds_bpermute_b32 v16, v26, v14
	ds_bpermute_b32 v17, v26, v15
	s_wait_dscnt 0x0
	v_min_i64 v[14:15], v[16:17], v[14:15]
	;; [unrolled: 4-line block ×3, first 2 shown]
	ds_bpermute_b32 v16, v28, v14
	ds_bpermute_b32 v17, v28, v15
	s_and_saveexec_b32 s19, s1
	s_cbranch_execz .LBB178_17
; %bb.34:                               ;   in Loop: Header=BB178_18 Depth=2
	s_wait_dscnt 0x0
	v_min_i64 v[14:15], v[16:17], v[14:15]
	global_store_b64 v[12:13], v[14:15], off
	s_branch .LBB178_17
.LBB178_35:                             ;   in Loop: Header=BB178_18 Depth=2
                                        ; implicit-def: $vgpr18_vgpr19
	s_branch .LBB178_20
.LBB178_36:                             ;   in Loop: Header=BB178_11 Depth=1
	s_or_b32 exec_lo, exec_lo, s57
.LBB178_37:                             ;   in Loop: Header=BB178_11 Depth=1
	s_delay_alu instid0(SALU_CYCLE_1) | instskip(NEXT) | instid1(SALU_CYCLE_1)
	s_or_b32 exec_lo, exec_lo, s21
	s_and_not1_b32 vcc_lo, exec_lo, s54
	s_cbranch_vccnz .LBB178_51
; %bb.38:                               ;   in Loop: Header=BB178_11 Depth=1
	s_load_b128 s[60:63], s[26:27], 0x0
	s_mov_b32 s57, exec_lo
	s_wait_kmcnt 0x0
	v_add_nc_u64_e32 v[10:11], s[60:61], v[6:7]
	s_sub_nc_u64 s[20:21], s[62:63], s[52:53]
	s_delay_alu instid0(VALU_DEP_1) | instid1(SALU_CYCLE_1)
	v_cmpx_gt_i64_e64 s[20:21], v[10:11]
	s_cbranch_execz .LBB178_50
; %bb.39:                               ;   in Loop: Header=BB178_11 Depth=1
	v_lshlrev_b64_e32 v[14:15], 2, v[10:11]
	s_mov_b32 s58, 0
                                        ; implicit-def: $sgpr59
                                        ; implicit-def: $sgpr60
	s_delay_alu instid0(VALU_DEP_1)
	v_add_nc_u64_e32 v[12:13], s[22:23], v[14:15]
	v_add_nc_u64_e32 v[14:15], s[24:25], v[14:15]
	s_branch .LBB178_41
.LBB178_40:                             ;   in Loop: Header=BB178_41 Depth=2
	s_or_b32 exec_lo, exec_lo, s61
	s_delay_alu instid0(SALU_CYCLE_1) | instskip(NEXT) | instid1(SALU_CYCLE_1)
	s_and_b32 s18, exec_lo, s19
	s_or_b32 s58, s18, s58
	s_and_not1_b32 s18, s59, exec_lo
	s_and_b32 s19, s60, exec_lo
	s_delay_alu instid0(SALU_CYCLE_1)
	s_or_b32 s59, s18, s19
	s_and_not1_b32 exec_lo, exec_lo, s58
	s_cbranch_execz .LBB178_47
.LBB178_41:                             ;   Parent Loop BB178_11 Depth=1
                                        ; =>  This Inner Loop Header: Depth=2
	s_wait_dscnt 0x1
	global_load_b32 v16, v[12:13], off
	s_wait_loadcnt 0x0
	v_subrev_nc_u32_e32 v16, s31, v16
	s_delay_alu instid0(VALU_DEP_1)
	v_cmp_lt_i32_e64 s18, v16, v33
	v_cmp_ge_i32_e64 s19, v16, v34
	v_cmp_lt_i32_e32 vcc_lo, v16, v34
	s_or_b32 s19, s18, s19
	s_mov_b32 s18, 0
	s_wait_xcnt 0x0
	s_and_saveexec_b32 s61, s19
	s_delay_alu instid0(SALU_CYCLE_1)
	s_xor_b32 s19, exec_lo, s61
; %bb.42:                               ;   in Loop: Header=BB178_41 Depth=2
	s_and_b32 s18, vcc_lo, exec_lo
; %bb.43:                               ;   in Loop: Header=BB178_41 Depth=2
	s_and_not1_saveexec_b32 s19, s19
	s_cbranch_execz .LBB178_45
; %bb.44:                               ;   in Loop: Header=BB178_41 Depth=2
	s_wait_dscnt 0x0
	global_load_b32 v17, v[14:15], off
	v_sub_nc_u32_e32 v18, v16, v33
	s_or_b32 s18, s18, exec_lo
	s_delay_alu instid0(VALU_DEP_1)
	v_lshlrev_b32_e32 v19, 2, v18
	ds_store_b8 v18, v32 offset:8192
	s_wait_loadcnt 0x0
	v_mul_f32_e32 v17, s55, v17
	ds_add_f32 v19, v17
.LBB178_45:                             ;   in Loop: Header=BB178_41 Depth=2
	s_wait_xcnt 0x0
	s_or_b32 exec_lo, exec_lo, s19
	s_mov_b32 s19, -1
	s_or_b32 s60, s60, exec_lo
	s_and_saveexec_b32 s61, s18
	s_cbranch_execz .LBB178_40
; %bb.46:                               ;   in Loop: Header=BB178_41 Depth=2
	v_add_nc_u64_e32 v[10:11], 0x200, v[10:11]
	v_add_nc_u64_e32 v[12:13], 0x800, v[12:13]
	;; [unrolled: 1-line block ×3, first 2 shown]
	s_and_not1_b32 s60, s60, exec_lo
	s_delay_alu instid0(VALU_DEP_3)
	v_cmp_le_i64_e32 vcc_lo, s[20:21], v[10:11]
	s_or_not1_b32 s19, vcc_lo, exec_lo
	s_branch .LBB178_40
.LBB178_47:                             ;   in Loop: Header=BB178_11 Depth=1
	s_or_b32 exec_lo, exec_lo, s58
	s_and_saveexec_b32 s18, s59
	s_delay_alu instid0(SALU_CYCLE_1)
	s_xor_b32 s18, exec_lo, s18
; %bb.48:                               ;   in Loop: Header=BB178_11 Depth=1
	v_min_i32_e32 v35, v16, v35
; %bb.49:                               ;   in Loop: Header=BB178_11 Depth=1
	s_or_b32 exec_lo, exec_lo, s18
.LBB178_50:                             ;   in Loop: Header=BB178_11 Depth=1
	s_delay_alu instid0(SALU_CYCLE_1)
	s_or_b32 exec_lo, exec_lo, s57
.LBB178_51:                             ;   in Loop: Header=BB178_11 Depth=1
	ds_bpermute_b32 v10, v9, v35
	s_wait_dscnt 0x0
	v_min_i32_e32 v10, v10, v35
	ds_bpermute_b32 v11, v26, v10
	s_wait_dscnt 0x0
	v_min_i32_e32 v10, v11, v10
	ds_bpermute_b32 v11, v27, v10
	s_wait_dscnt 0x0
	v_min_i32_e32 v10, v11, v10
	ds_bpermute_b32 v11, v28, v10
	s_and_saveexec_b32 s18, s1
	s_cbranch_execz .LBB178_56
; %bb.52:                               ;   in Loop: Header=BB178_11 Depth=1
	s_wait_dscnt 0x0
	v_min_i32_e32 v10, v11, v10
	s_mov_b32 s20, exec_lo
	s_brev_b32 s19, -2
.LBB178_53:                             ;   Parent Loop BB178_11 Depth=1
                                        ; =>  This Inner Loop Header: Depth=2
	s_ctz_i32_b32 s21, s20
	s_delay_alu instid0(VALU_DEP_1) | instid1(SALU_CYCLE_1)
	v_readlane_b32 s57, v10, s21
	s_lshl_b32 s21, 1, s21
	s_delay_alu instid0(SALU_CYCLE_1)
	s_and_not1_b32 s20, s20, s21
	s_min_i32 s19, s19, s57
	s_cmp_lg_u32 s20, 0
	s_cbranch_scc1 .LBB178_53
; %bb.54:                               ;   in Loop: Header=BB178_11 Depth=1
	v_mbcnt_lo_u32_b32 v10, exec_lo, 0
	s_mov_b32 s20, exec_lo
	s_delay_alu instid0(VALU_DEP_1)
	v_cmpx_eq_u32_e32 0, v10
	s_xor_b32 s20, exec_lo, s20
; %bb.55:                               ;   in Loop: Header=BB178_11 Depth=1
	v_mov_b32_e32 v10, s19
	ds_min_i32 v3, v10 offset:10240
.LBB178_56:                             ;   in Loop: Header=BB178_11 Depth=1
	s_or_b32 exec_lo, exec_lo, s18
	v_dual_mov_b32 v12, v31 :: v_dual_mov_b32 v13, v30
	s_mov_b32 s18, 0
	s_wait_storecnt_dscnt 0x0
	s_barrier_signal -1
	s_barrier_wait -1
	s_branch .LBB178_58
.LBB178_57:                             ;   in Loop: Header=BB178_58 Depth=2
	s_or_b32 exec_lo, exec_lo, s19
	s_wait_storecnt_dscnt 0x0
	s_barrier_signal -1
	s_barrier_wait -1
	ds_load_b32 v10, v3 offset:60
	v_add_nc_u32_e32 v13, 0x200, v13
	v_add_nc_u32_e32 v12, 0x800, v12
	s_delay_alu instid0(VALU_DEP_2) | instskip(SKIP_3) | instid1(VALU_DEP_1)
	v_cmp_lt_u32_e32 vcc_lo, 0x5ff, v13
	s_or_b32 s18, vcc_lo, s18
	s_wait_dscnt 0x0
	v_ashrrev_i32_e32 v11, 31, v10
	v_add_nc_u64_e32 v[0:1], v[0:1], v[10:11]
	s_and_not1_b32 exec_lo, exec_lo, s18
	s_cbranch_execz .LBB178_10
.LBB178_58:                             ;   Parent Loop BB178_11 Depth=1
                                        ; =>  This Inner Loop Header: Depth=2
	ds_load_u8 v10, v13 offset:8704
	ds_load_b32 v14, v12
	s_wait_dscnt 0x0
	s_barrier_signal -1
	s_barrier_wait -1
	v_cmp_ne_u16_e32 vcc_lo, 0, v10
	s_bcnt1_i32_b32 s19, vcc_lo
	s_delay_alu instid0(SALU_CYCLE_1)
	v_mov_b32_e32 v11, s19
	s_mov_b32 s19, exec_lo
	ds_store_b32 v29, v11
	s_wait_dscnt 0x0
	s_barrier_signal -1
	s_barrier_wait -1
	ds_load_b128 v[16:19], v3
	ds_load_b128 v[20:23], v3 offset:16
	v_and_b32_e32 v11, vcc_lo, v8
	ds_load_b128 v[34:37], v3 offset:32
	s_wait_dscnt 0x2
	v_cndmask_b32_e64 v15, v16, 0, s3
	v_cndmask_b32_e64 v24, v17, 0, s4
	;; [unrolled: 1-line block ×3, first 2 shown]
	ds_load_b96 v[16:18], v3 offset:48
	v_bcnt_u32_b32 v11, v11, v15
	v_cndmask_b32_e64 v15, v19, 0, s6
	s_wait_dscnt 0x2
	v_cndmask_b32_e64 v19, v20, 0, s7
	v_cndmask_b32_e64 v20, v21, 0, s8
	v_cndmask_b32_e64 v21, v22, 0, s9
	v_add3_u32 v11, v11, v24, v25
	s_delay_alu instid0(VALU_DEP_1) | instskip(SKIP_3) | instid1(VALU_DEP_3)
	v_add3_u32 v11, v11, v15, v19
	v_cndmask_b32_e64 v15, v23, 0, s10
	s_wait_dscnt 0x1
	v_cndmask_b32_e64 v19, v34, 0, s11
	v_add3_u32 v11, v11, v20, v21
	v_cndmask_b32_e64 v20, v35, 0, s12
	v_cndmask_b32_e64 v21, v36, 0, s13
	s_wait_dscnt 0x0
	v_cndmask_b32_e64 v16, v16, 0, s15
	v_cndmask_b32_e64 v17, v17, 0, s16
	v_add3_u32 v11, v11, v15, v19
	v_cndmask_b32_e64 v15, v37, 0, s14
	v_cndmask_b32_e64 v18, v18, 0, s17
	s_delay_alu instid0(VALU_DEP_3) | instskip(NEXT) | instid1(VALU_DEP_1)
	v_add3_u32 v11, v11, v20, v21
	v_add3_u32 v11, v11, v15, v16
	v_and_b32_e32 v15, 1, v10
	s_delay_alu instid0(VALU_DEP_2) | instskip(NEXT) | instid1(VALU_DEP_2)
	v_add3_u32 v10, v11, v17, v18
	v_cmpx_eq_u32_e32 1, v15
	s_cbranch_execz .LBB178_60
; %bb.59:                               ;   in Loop: Header=BB178_58 Depth=2
	v_lshl_add_u64 v[16:17], v[0:1], 2, s[44:45]
	s_delay_alu instid0(VALU_DEP_3) | instskip(NEXT) | instid1(VALU_DEP_1)
	v_ashrrev_i32_e32 v11, 31, v10
	v_lshl_add_u64 v[16:17], v[10:11], 2, v[16:17]
	global_store_b32 v[16:17], v14, off offset:-4
.LBB178_60:                             ;   in Loop: Header=BB178_58 Depth=2
	s_wait_xcnt 0x0
	s_or_b32 exec_lo, exec_lo, s19
	s_and_saveexec_b32 s19, s2
	s_cbranch_execz .LBB178_57
; %bb.61:                               ;   in Loop: Header=BB178_58 Depth=2
	ds_store_b32 v3, v10 offset:60
	s_branch .LBB178_57
.LBB178_62:
	s_endpgm
	.section	.rodata,"a",@progbits
	.p2align	6, 0x0
	.amdhsa_kernel _ZN9rocsparseL51csrgemm_numeric_fill_block_per_row_multipass_kernelILj512ELj16ELj2048ELj32ElifEEvT4_PKS1_S3_NS_24const_host_device_scalarIT5_EEPKT3_S3_PKS5_S9_S3_SB_S6_S9_S3_SB_S9_S3_PS5_PS7_21rocsparse_index_base_SE_SE_SE_bbb
		.amdhsa_group_segment_fixed_size 10244
		.amdhsa_private_segment_fixed_size 0
		.amdhsa_kernarg_size 164
		.amdhsa_user_sgpr_count 2
		.amdhsa_user_sgpr_dispatch_ptr 0
		.amdhsa_user_sgpr_queue_ptr 0
		.amdhsa_user_sgpr_kernarg_segment_ptr 1
		.amdhsa_user_sgpr_dispatch_id 0
		.amdhsa_user_sgpr_kernarg_preload_length 0
		.amdhsa_user_sgpr_kernarg_preload_offset 0
		.amdhsa_user_sgpr_private_segment_size 0
		.amdhsa_wavefront_size32 1
		.amdhsa_uses_dynamic_stack 0
		.amdhsa_enable_private_segment 0
		.amdhsa_system_sgpr_workgroup_id_x 1
		.amdhsa_system_sgpr_workgroup_id_y 0
		.amdhsa_system_sgpr_workgroup_id_z 0
		.amdhsa_system_sgpr_workgroup_info 0
		.amdhsa_system_vgpr_workitem_id 0
		.amdhsa_next_free_vgpr 39
		.amdhsa_next_free_sgpr 64
		.amdhsa_named_barrier_count 0
		.amdhsa_reserve_vcc 1
		.amdhsa_float_round_mode_32 0
		.amdhsa_float_round_mode_16_64 0
		.amdhsa_float_denorm_mode_32 3
		.amdhsa_float_denorm_mode_16_64 3
		.amdhsa_fp16_overflow 0
		.amdhsa_memory_ordered 1
		.amdhsa_forward_progress 1
		.amdhsa_inst_pref_size 22
		.amdhsa_round_robin_scheduling 0
		.amdhsa_exception_fp_ieee_invalid_op 0
		.amdhsa_exception_fp_denorm_src 0
		.amdhsa_exception_fp_ieee_div_zero 0
		.amdhsa_exception_fp_ieee_overflow 0
		.amdhsa_exception_fp_ieee_underflow 0
		.amdhsa_exception_fp_ieee_inexact 0
		.amdhsa_exception_int_div_zero 0
	.end_amdhsa_kernel
	.section	.text._ZN9rocsparseL51csrgemm_numeric_fill_block_per_row_multipass_kernelILj512ELj16ELj2048ELj32ElifEEvT4_PKS1_S3_NS_24const_host_device_scalarIT5_EEPKT3_S3_PKS5_S9_S3_SB_S6_S9_S3_SB_S9_S3_PS5_PS7_21rocsparse_index_base_SE_SE_SE_bbb,"axG",@progbits,_ZN9rocsparseL51csrgemm_numeric_fill_block_per_row_multipass_kernelILj512ELj16ELj2048ELj32ElifEEvT4_PKS1_S3_NS_24const_host_device_scalarIT5_EEPKT3_S3_PKS5_S9_S3_SB_S6_S9_S3_SB_S9_S3_PS5_PS7_21rocsparse_index_base_SE_SE_SE_bbb,comdat
.Lfunc_end178:
	.size	_ZN9rocsparseL51csrgemm_numeric_fill_block_per_row_multipass_kernelILj512ELj16ELj2048ELj32ElifEEvT4_PKS1_S3_NS_24const_host_device_scalarIT5_EEPKT3_S3_PKS5_S9_S3_SB_S6_S9_S3_SB_S9_S3_PS5_PS7_21rocsparse_index_base_SE_SE_SE_bbb, .Lfunc_end178-_ZN9rocsparseL51csrgemm_numeric_fill_block_per_row_multipass_kernelILj512ELj16ELj2048ELj32ElifEEvT4_PKS1_S3_NS_24const_host_device_scalarIT5_EEPKT3_S3_PKS5_S9_S3_SB_S6_S9_S3_SB_S9_S3_PS5_PS7_21rocsparse_index_base_SE_SE_SE_bbb
                                        ; -- End function
	.set _ZN9rocsparseL51csrgemm_numeric_fill_block_per_row_multipass_kernelILj512ELj16ELj2048ELj32ElifEEvT4_PKS1_S3_NS_24const_host_device_scalarIT5_EEPKT3_S3_PKS5_S9_S3_SB_S6_S9_S3_SB_S9_S3_PS5_PS7_21rocsparse_index_base_SE_SE_SE_bbb.num_vgpr, 39
	.set _ZN9rocsparseL51csrgemm_numeric_fill_block_per_row_multipass_kernelILj512ELj16ELj2048ELj32ElifEEvT4_PKS1_S3_NS_24const_host_device_scalarIT5_EEPKT3_S3_PKS5_S9_S3_SB_S6_S9_S3_SB_S9_S3_PS5_PS7_21rocsparse_index_base_SE_SE_SE_bbb.num_agpr, 0
	.set _ZN9rocsparseL51csrgemm_numeric_fill_block_per_row_multipass_kernelILj512ELj16ELj2048ELj32ElifEEvT4_PKS1_S3_NS_24const_host_device_scalarIT5_EEPKT3_S3_PKS5_S9_S3_SB_S6_S9_S3_SB_S9_S3_PS5_PS7_21rocsparse_index_base_SE_SE_SE_bbb.numbered_sgpr, 64
	.set _ZN9rocsparseL51csrgemm_numeric_fill_block_per_row_multipass_kernelILj512ELj16ELj2048ELj32ElifEEvT4_PKS1_S3_NS_24const_host_device_scalarIT5_EEPKT3_S3_PKS5_S9_S3_SB_S6_S9_S3_SB_S9_S3_PS5_PS7_21rocsparse_index_base_SE_SE_SE_bbb.num_named_barrier, 0
	.set _ZN9rocsparseL51csrgemm_numeric_fill_block_per_row_multipass_kernelILj512ELj16ELj2048ELj32ElifEEvT4_PKS1_S3_NS_24const_host_device_scalarIT5_EEPKT3_S3_PKS5_S9_S3_SB_S6_S9_S3_SB_S9_S3_PS5_PS7_21rocsparse_index_base_SE_SE_SE_bbb.private_seg_size, 0
	.set _ZN9rocsparseL51csrgemm_numeric_fill_block_per_row_multipass_kernelILj512ELj16ELj2048ELj32ElifEEvT4_PKS1_S3_NS_24const_host_device_scalarIT5_EEPKT3_S3_PKS5_S9_S3_SB_S6_S9_S3_SB_S9_S3_PS5_PS7_21rocsparse_index_base_SE_SE_SE_bbb.uses_vcc, 1
	.set _ZN9rocsparseL51csrgemm_numeric_fill_block_per_row_multipass_kernelILj512ELj16ELj2048ELj32ElifEEvT4_PKS1_S3_NS_24const_host_device_scalarIT5_EEPKT3_S3_PKS5_S9_S3_SB_S6_S9_S3_SB_S9_S3_PS5_PS7_21rocsparse_index_base_SE_SE_SE_bbb.uses_flat_scratch, 0
	.set _ZN9rocsparseL51csrgemm_numeric_fill_block_per_row_multipass_kernelILj512ELj16ELj2048ELj32ElifEEvT4_PKS1_S3_NS_24const_host_device_scalarIT5_EEPKT3_S3_PKS5_S9_S3_SB_S6_S9_S3_SB_S9_S3_PS5_PS7_21rocsparse_index_base_SE_SE_SE_bbb.has_dyn_sized_stack, 0
	.set _ZN9rocsparseL51csrgemm_numeric_fill_block_per_row_multipass_kernelILj512ELj16ELj2048ELj32ElifEEvT4_PKS1_S3_NS_24const_host_device_scalarIT5_EEPKT3_S3_PKS5_S9_S3_SB_S6_S9_S3_SB_S9_S3_PS5_PS7_21rocsparse_index_base_SE_SE_SE_bbb.has_recursion, 0
	.set _ZN9rocsparseL51csrgemm_numeric_fill_block_per_row_multipass_kernelILj512ELj16ELj2048ELj32ElifEEvT4_PKS1_S3_NS_24const_host_device_scalarIT5_EEPKT3_S3_PKS5_S9_S3_SB_S6_S9_S3_SB_S9_S3_PS5_PS7_21rocsparse_index_base_SE_SE_SE_bbb.has_indirect_call, 0
	.section	.AMDGPU.csdata,"",@progbits
; Kernel info:
; codeLenInByte = 2756
; TotalNumSgprs: 66
; NumVgprs: 39
; ScratchSize: 0
; MemoryBound: 0
; FloatMode: 240
; IeeeMode: 1
; LDSByteSize: 10244 bytes/workgroup (compile time only)
; SGPRBlocks: 0
; VGPRBlocks: 2
; NumSGPRsForWavesPerEU: 66
; NumVGPRsForWavesPerEU: 39
; NamedBarCnt: 0
; Occupancy: 16
; WaveLimiterHint : 1
; COMPUTE_PGM_RSRC2:SCRATCH_EN: 0
; COMPUTE_PGM_RSRC2:USER_SGPR: 2
; COMPUTE_PGM_RSRC2:TRAP_HANDLER: 0
; COMPUTE_PGM_RSRC2:TGID_X_EN: 1
; COMPUTE_PGM_RSRC2:TGID_Y_EN: 0
; COMPUTE_PGM_RSRC2:TGID_Z_EN: 0
; COMPUTE_PGM_RSRC2:TIDIG_COMP_CNT: 0
	.section	.text._ZN9rocsparseL51csrgemm_numeric_fill_block_per_row_multipass_kernelILj512ELj16ELj2048ELj64ElifEEvT4_PKS1_S3_NS_24const_host_device_scalarIT5_EEPKT3_S3_PKS5_S9_S3_SB_S6_S9_S3_SB_S9_S3_PS5_PS7_21rocsparse_index_base_SE_SE_SE_bbb,"axG",@progbits,_ZN9rocsparseL51csrgemm_numeric_fill_block_per_row_multipass_kernelILj512ELj16ELj2048ELj64ElifEEvT4_PKS1_S3_NS_24const_host_device_scalarIT5_EEPKT3_S3_PKS5_S9_S3_SB_S6_S9_S3_SB_S9_S3_PS5_PS7_21rocsparse_index_base_SE_SE_SE_bbb,comdat
	.globl	_ZN9rocsparseL51csrgemm_numeric_fill_block_per_row_multipass_kernelILj512ELj16ELj2048ELj64ElifEEvT4_PKS1_S3_NS_24const_host_device_scalarIT5_EEPKT3_S3_PKS5_S9_S3_SB_S6_S9_S3_SB_S9_S3_PS5_PS7_21rocsparse_index_base_SE_SE_SE_bbb ; -- Begin function _ZN9rocsparseL51csrgemm_numeric_fill_block_per_row_multipass_kernelILj512ELj16ELj2048ELj64ElifEEvT4_PKS1_S3_NS_24const_host_device_scalarIT5_EEPKT3_S3_PKS5_S9_S3_SB_S6_S9_S3_SB_S9_S3_PS5_PS7_21rocsparse_index_base_SE_SE_SE_bbb
	.p2align	8
	.type	_ZN9rocsparseL51csrgemm_numeric_fill_block_per_row_multipass_kernelILj512ELj16ELj2048ELj64ElifEEvT4_PKS1_S3_NS_24const_host_device_scalarIT5_EEPKT3_S3_PKS5_S9_S3_SB_S6_S9_S3_SB_S9_S3_PS5_PS7_21rocsparse_index_base_SE_SE_SE_bbb,@function
_ZN9rocsparseL51csrgemm_numeric_fill_block_per_row_multipass_kernelILj512ELj16ELj2048ELj64ElifEEvT4_PKS1_S3_NS_24const_host_device_scalarIT5_EEPKT3_S3_PKS5_S9_S3_SB_S6_S9_S3_SB_S9_S3_PS5_PS7_21rocsparse_index_base_SE_SE_SE_bbb: ; @_ZN9rocsparseL51csrgemm_numeric_fill_block_per_row_multipass_kernelILj512ELj16ELj2048ELj64ElifEEvT4_PKS1_S3_NS_24const_host_device_scalarIT5_EEPKT3_S3_PKS5_S9_S3_SB_S6_S9_S3_SB_S9_S3_PS5_PS7_21rocsparse_index_base_SE_SE_SE_bbb
; %bb.0:
	s_clause 0x4
	s_load_b32 s11, s[0:1], 0xa0
	s_load_b64 s[8:9], s[0:1], 0x18
	s_load_b128 s[4:7], s[0:1], 0x8
	s_load_b128 s[28:31], s[0:1], 0x90
	s_load_b64 s[2:3], s[0:1], 0x50
	s_wait_kmcnt 0x0
	s_and_b32 s10, 1, s11
	s_bitcmp1_b32 s11, 16
	s_cselect_b32 s12, -1, 0
	s_cmp_eq_u32 s10, 1
	s_cselect_b32 s10, -1, 0
	s_delay_alu instid0(SALU_CYCLE_1) | instskip(SKIP_2) | instid1(SALU_CYCLE_1)
	s_and_b32 s13, s10, exec_lo
	s_cselect_b32 s33, s8, 0
	s_xor_b32 s13, s10, -1
	s_or_b32 s13, s12, s13
	s_delay_alu instid0(SALU_CYCLE_1)
	s_and_b32 vcc_lo, exec_lo, s13
	s_cbranch_vccnz .LBB179_2
; %bb.1:
	s_load_b32 s33, s[8:9], 0x0
.LBB179_2:
	s_bitcmp1_b32 s11, 8
	s_cselect_b32 s46, -1, 0
	s_wait_xcnt 0x0
	s_and_b32 s8, s46, exec_lo
	s_cselect_b32 s47, s2, 0
	s_xor_b32 s8, s46, -1
	s_delay_alu instid0(SALU_CYCLE_1) | instskip(NEXT) | instid1(SALU_CYCLE_1)
	s_or_b32 s8, s12, s8
	s_and_b32 vcc_lo, exec_lo, s8
	s_cbranch_vccnz .LBB179_4
; %bb.3:
	s_load_b32 s47, s[2:3], 0x0
.LBB179_4:
	s_wait_xcnt 0x0
	s_load_b32 s2, s[4:5], 0x0
	s_bfe_u32 s3, ttmp6, 0x4000c
	s_wait_xcnt 0x0
	s_and_b32 s4, ttmp6, 15
	s_add_co_i32 s3, s3, 1
	s_getreg_b32 s5, hwreg(HW_REG_IB_STS2, 6, 4)
	s_mul_i32 s3, ttmp9, s3
	s_mov_b64 s[34:35], 0
	s_add_co_i32 s4, s4, s3
	s_cmp_eq_u32 s5, 0
	s_cselect_b32 s3, ttmp9, s4
	s_and_not1_b32 vcc_lo, exec_lo, s10
	s_wait_kmcnt 0x0
	s_add_co_i32 s2, s2, s3
	s_load_b64 s[8:9], s[0:1], 0x20
	s_load_b32 s4, s[6:7], s2 offset:0x0 scale_offset
	s_wait_xcnt 0x0
	s_mov_b32 s7, 0
	s_mov_b64 s[2:3], 0
	s_cbranch_vccz .LBB179_7
; %bb.5:
	s_and_not1_b32 vcc_lo, exec_lo, s10
	s_cbranch_vccz .LBB179_8
.LBB179_6:
	s_load_b32 s48, s[0:1], 0x0
	s_wait_kmcnt 0x0
	s_cmp_lt_i32 s48, 1
	s_cbranch_scc0 .LBB179_9
	s_branch .LBB179_62
.LBB179_7:
	s_wait_kmcnt 0x0
	s_ashr_i32 s5, s4, 31
	s_mov_b32 s6, s28
	s_lshl_b64 s[2:3], s[4:5], 3
	s_delay_alu instid0(SALU_CYCLE_1)
	s_add_nc_u64 s[2:3], s[8:9], s[2:3]
	s_load_b64 s[2:3], s[2:3], 0x0
	s_wait_kmcnt 0x0
	s_sub_nc_u64 s[2:3], s[2:3], s[6:7]
	s_and_not1_b32 vcc_lo, exec_lo, s10
	s_cbranch_vccnz .LBB179_6
.LBB179_8:
	s_wait_kmcnt 0x0
	s_ashr_i32 s5, s4, 31
	s_delay_alu instid0(SALU_CYCLE_1) | instskip(NEXT) | instid1(SALU_CYCLE_1)
	s_lshl_b64 s[6:7], s[4:5], 3
	s_add_nc_u64 s[6:7], s[8:9], s[6:7]
	s_mov_b32 s9, 0
	s_load_b64 s[6:7], s[6:7], 0x8
	s_mov_b32 s8, s28
	s_wait_kmcnt 0x0
	s_sub_nc_u64 s[34:35], s[6:7], s[8:9]
	s_load_b32 s48, s[0:1], 0x0
	s_wait_kmcnt 0x0
	s_cmp_lt_i32 s48, 1
	s_cbranch_scc1 .LBB179_62
.LBB179_9:
	s_clause 0x3
	s_load_b256 s[12:19], s[0:1], 0x58
	s_load_b256 s[20:27], s[0:1], 0x28
	s_load_b128 s[36:39], s[0:1], 0x80
	s_load_b64 s[40:41], s[0:1], 0x48
	v_mbcnt_lo_u32_b32 v8, -1, 0
	v_mov_b32_e32 v3, 0
	s_ashr_i32 s5, s4, 31
	s_mov_b32 s43, 0
	s_lshl_b64 s[50:51], s[4:5], 3
	s_delay_alu instid0(VALU_DEP_1) | instskip(SKIP_3) | instid1(VALU_DEP_2)
	v_dual_mov_b32 v5, v3 :: v_dual_bitop2_b32 v10, 8, v8 bitop3:0x14
	v_mov_b32_e32 v1, v3
	s_mov_b32 s44, s31
	s_mov_b32 s45, s43
	v_cmp_gt_i32_e32 vcc_lo, 32, v10
	v_xor_b32_e32 v11, 4, v8
	v_sub_nc_u64_e64 v[6:7], v[0:1], s[44:45]
	v_dual_lshrrev_b32 v4, 4, v0 :: v_dual_bitop2_b32 v2, 15, v0 bitop3:0x40
	v_cndmask_b32_e32 v1, v8, v10, vcc_lo
	s_wait_kmcnt 0x0
	s_add_nc_u64 s[4:5], s[18:19], s[50:51]
	v_cmp_gt_i32_e32 vcc_lo, 32, v11
	s_load_b64 s[4:5], s[4:5], 0x0
	v_xor_b32_e32 v12, 2, v8
	v_dual_lshlrev_b32 v26, 2, v1 :: v_dual_bitop2_b32 v13, 1, v8 bitop3:0x14
	v_dual_cndmask_b32 v10, v8, v11, vcc_lo :: v_dual_bitop2_b32 v9, 28, v4 bitop3:0x40
	s_delay_alu instid0(VALU_DEP_3)
	v_cmp_gt_i32_e32 vcc_lo, 32, v12
	v_add_nc_u64_e32 v[4:5], s[2:3], v[4:5]
	s_mov_b32 s42, s30
	v_cmp_eq_u32_e64 s0, 0, v0
	v_cmp_eq_u32_e64 s2, 0x1ff, v0
	v_cndmask_b32_e32 v11, v8, v12, vcc_lo
	v_cmp_gt_i32_e32 vcc_lo, 32, v13
	v_xor_b32_e32 v14, 31, v8
	v_cmp_gt_u32_e64 s3, 64, v0
	v_cmp_gt_u32_e64 s6, 0x100, v0
	;; [unrolled: 1-line block ×3, first 2 shown]
	v_cndmask_b32_e32 v12, v8, v13, vcc_lo
	v_cmp_gt_i64_e32 vcc_lo, s[34:35], v[4:5]
	v_cmp_gt_u32_e64 s8, 0x180, v0
	s_wait_kmcnt 0x0
	s_sub_nc_u64 s[18:19], s[4:5], s[42:43]
	v_cmp_gt_u32_e64 s4, 0x80, v0
	v_dual_lshlrev_b32 v29, 2, v12 :: v_dual_lshlrev_b32 v28, 2, v11
	v_lshlrev_b32_e32 v31, 2, v0
	v_cmp_gt_u32_e64 s5, 0xc0, v0
	v_cmp_gt_u32_e64 s9, 0x1c0, v0
	v_or_b32_e32 v30, 0xfffffe00, v0
	v_mov_b64_e32 v[0:1], s[18:19]
	v_cmp_eq_u32_e64 s1, 15, v2
	v_lshrrev_b32_e64 v8, v14, -1
	v_dual_mov_b32 v34, 0x800 :: v_dual_lshlrev_b32 v27, 2, v10
	v_dual_mov_b32 v33, v3 :: v_dual_mov_b32 v32, 1
	s_mov_b32 s42, s29
	s_add_nc_u64 s[18:19], s[12:13], s[50:51]
	s_and_b32 s30, s10, vcc_lo
	s_branch .LBB179_11
.LBB179_10:                             ;   in Loop: Header=BB179_11 Depth=1
	s_or_b32 exec_lo, exec_lo, s10
	ds_load_b32 v33, v3 offset:10240
	s_wait_dscnt 0x0
	s_barrier_signal -1
	s_barrier_wait -1
	v_cmp_le_i32_e32 vcc_lo, s48, v33
	v_add_nc_u32_e32 v34, 0x800, v33
	s_cbranch_vccnz .LBB179_62
.LBB179_11:                             ; =>This Loop Header: Depth=1
                                        ;     Child Loop BB179_12 Depth 2
                                        ;     Child Loop BB179_18 Depth 2
                                        ;       Child Loop BB179_24 Depth 3
                                        ;     Child Loop BB179_41 Depth 2
                                        ;     Child Loop BB179_53 Depth 2
                                        ;     Child Loop BB179_58 Depth 2
	v_dual_mov_b32 v10, v31 :: v_dual_mov_b32 v11, v30
	s_mov_b32 s10, 0
.LBB179_12:                             ;   Parent Loop BB179_11 Depth=1
                                        ; =>  This Inner Loop Header: Depth=2
	ds_store_b8 v11, v3 offset:8704
	v_add_nc_u32_e32 v11, 0x200, v11
	ds_store_b32 v10, v3
	v_add_nc_u32_e32 v10, 0x800, v10
	v_cmp_lt_u32_e32 vcc_lo, 0x5ff, v11
	s_or_b32 s10, vcc_lo, s10
	s_delay_alu instid0(SALU_CYCLE_1)
	s_and_not1_b32 exec_lo, exec_lo, s10
	s_cbranch_execnz .LBB179_12
; %bb.13:                               ;   in Loop: Header=BB179_11 Depth=1
	s_or_b32 exec_lo, exec_lo, s10
	s_and_saveexec_b32 s10, s0
; %bb.14:                               ;   in Loop: Header=BB179_11 Depth=1
	v_mov_b32_e32 v10, s48
	ds_store_b32 v3, v10 offset:10240
; %bb.15:                               ;   in Loop: Header=BB179_11 Depth=1
	s_or_b32 exec_lo, exec_lo, s10
	v_mov_b32_e32 v35, s48
	s_wait_dscnt 0x0
	s_barrier_signal -1
	s_barrier_wait -1
	s_and_saveexec_b32 s13, s30
	s_cbranch_execz .LBB179_37
; %bb.16:                               ;   in Loop: Header=BB179_11 Depth=1
	v_mov_b64_e32 v[10:11], v[4:5]
	v_cmp_ne_u32_e64 s10, 0, v33
	v_mov_b32_e32 v35, s48
	s_mov_b32 s49, 0
	s_branch .LBB179_18
.LBB179_17:                             ;   in Loop: Header=BB179_18 Depth=2
	s_wait_xcnt 0x0
	s_or_b32 exec_lo, exec_lo, s11
	v_add_nc_u64_e32 v[10:11], 32, v[10:11]
	s_delay_alu instid0(VALU_DEP_1) | instskip(SKIP_1) | instid1(SALU_CYCLE_1)
	v_cmp_le_i64_e32 vcc_lo, s[34:35], v[10:11]
	s_or_b32 s49, vcc_lo, s49
	s_and_not1_b32 exec_lo, exec_lo, s49
	s_cbranch_execz .LBB179_36
.LBB179_18:                             ;   Parent Loop BB179_11 Depth=1
                                        ; =>  This Loop Header: Depth=2
                                        ;       Child Loop BB179_24 Depth 3
	v_lshlrev_b64_e32 v[12:13], 2, v[10:11]
	s_and_b32 vcc_lo, exec_lo, s10
	s_delay_alu instid0(VALU_DEP_1)
	v_add_nc_u64_e32 v[14:15], s[20:21], v[12:13]
	v_add_nc_u64_e32 v[12:13], s[22:23], v[12:13]
	global_load_b32 v14, v[14:15], off
	global_load_b32 v22, v[12:13], off
	s_wait_xcnt 0x0
	v_lshl_add_u64 v[12:13], v[10:11], 3, s[38:39]
	s_wait_loadcnt 0x1
	v_subrev_nc_u32_e32 v14, s28, v14
	s_delay_alu instid0(VALU_DEP_1)
	v_ashrrev_i32_e32 v15, 31, v14
	s_cbranch_vccz .LBB179_35
; %bb.19:                               ;   in Loop: Header=BB179_18 Depth=2
	global_load_b64 v[18:19], v[12:13], off
	s_cbranch_execnz .LBB179_21
.LBB179_20:                             ;   in Loop: Header=BB179_18 Depth=2
	s_wait_dscnt 0x0
	global_load_b64 v[16:17], v14, s[24:25] scale_offset
	s_wait_loadcnt 0x0
	v_sub_nc_u64_e64 v[18:19], v[16:17], s[42:43]
.LBB179_21:                             ;   in Loop: Header=BB179_18 Depth=2
	s_wait_xcnt 0x0
	v_lshl_add_u64 v[14:15], v[14:15], 3, s[24:25]
	s_mov_b32 s50, exec_lo
	global_load_b64 v[14:15], v[14:15], off offset:8
	s_wait_loadcnt_dscnt 0x0
	v_sub_nc_u64_e64 v[16:17], v[14:15], s[42:43]
	s_wait_xcnt 0x0
	v_add_nc_u64_e32 v[14:15], v[18:19], v[2:3]
	s_delay_alu instid0(VALU_DEP_1)
	v_cmpx_lt_i64_e64 v[14:15], v[16:17]
	s_cbranch_execz .LBB179_33
; %bb.22:                               ;   in Loop: Header=BB179_18 Depth=2
	v_lshlrev_b64_e32 v[20:21], 2, v[14:15]
	v_mov_b64_e32 v[24:25], v[14:15]
	v_mul_f32_e32 v36, s33, v22
	s_mov_b32 s52, 0
                                        ; implicit-def: $sgpr51
                                        ; implicit-def: $sgpr53
	s_delay_alu instid0(VALU_DEP_3)
	v_add_nc_u64_e32 v[18:19], s[26:27], v[20:21]
	v_add_nc_u64_e32 v[20:21], s[40:41], v[20:21]
	s_branch .LBB179_24
.LBB179_23:                             ;   in Loop: Header=BB179_24 Depth=3
	s_or_b32 exec_lo, exec_lo, s54
	s_delay_alu instid0(SALU_CYCLE_1) | instskip(NEXT) | instid1(SALU_CYCLE_1)
	s_and_b32 s11, exec_lo, s12
	s_or_b32 s52, s11, s52
	s_and_not1_b32 s11, s51, exec_lo
	s_and_b32 s12, s53, exec_lo
	s_delay_alu instid0(SALU_CYCLE_1)
	s_or_b32 s51, s11, s12
	s_and_not1_b32 exec_lo, exec_lo, s52
	s_cbranch_execz .LBB179_30
.LBB179_24:                             ;   Parent Loop BB179_11 Depth=1
                                        ;     Parent Loop BB179_18 Depth=2
                                        ; =>    This Inner Loop Header: Depth=3
	global_load_b32 v22, v[18:19], off
	s_wait_loadcnt 0x0
	v_subrev_nc_u32_e32 v37, s29, v22
	v_mov_b64_e32 v[22:23], v[24:25]
	s_delay_alu instid0(VALU_DEP_2)
	v_cmp_lt_i32_e64 s11, v37, v33
	v_cmp_ge_i32_e64 s12, v37, v34
	v_cmp_lt_i32_e32 vcc_lo, v37, v34
	s_or_b32 s12, s11, s12
	s_mov_b32 s11, 0
	s_wait_xcnt 0x0
	s_and_saveexec_b32 s54, s12
	s_delay_alu instid0(SALU_CYCLE_1)
	s_xor_b32 s12, exec_lo, s54
; %bb.25:                               ;   in Loop: Header=BB179_24 Depth=3
	s_and_b32 s11, vcc_lo, exec_lo
; %bb.26:                               ;   in Loop: Header=BB179_24 Depth=3
	s_and_not1_saveexec_b32 s12, s12
	s_cbranch_execz .LBB179_28
; %bb.27:                               ;   in Loop: Header=BB179_24 Depth=3
	global_load_b32 v24, v[20:21], off
	v_sub_nc_u32_e32 v25, v37, v33
	s_or_b32 s11, s11, exec_lo
	s_wait_loadcnt 0x0
	s_delay_alu instid0(VALU_DEP_1)
	v_dual_mul_f32 v24, v36, v24 :: v_dual_lshlrev_b32 v38, 2, v25
	ds_store_b8 v25, v32 offset:8192
	ds_add_f32 v38, v24
.LBB179_28:                             ;   in Loop: Header=BB179_24 Depth=3
	s_wait_xcnt 0x0
	s_or_b32 exec_lo, exec_lo, s12
	s_mov_b32 s12, -1
	s_or_b32 s53, s53, exec_lo
                                        ; implicit-def: $vgpr24_vgpr25
	s_and_saveexec_b32 s54, s11
	s_cbranch_execz .LBB179_23
; %bb.29:                               ;   in Loop: Header=BB179_24 Depth=3
	v_add_nc_u64_e32 v[24:25], 16, v[22:23]
	v_add_nc_u64_e32 v[18:19], 64, v[18:19]
	;; [unrolled: 1-line block ×3, first 2 shown]
	s_and_not1_b32 s53, s53, exec_lo
	s_delay_alu instid0(VALU_DEP_3)
	v_cmp_ge_i64_e32 vcc_lo, v[24:25], v[16:17]
	s_or_not1_b32 s12, vcc_lo, exec_lo
	s_branch .LBB179_23
.LBB179_30:                             ;   in Loop: Header=BB179_18 Depth=2
	s_or_b32 exec_lo, exec_lo, s52
	s_and_saveexec_b32 s11, s51
	s_delay_alu instid0(SALU_CYCLE_1)
	s_xor_b32 s11, exec_lo, s11
; %bb.31:                               ;   in Loop: Header=BB179_18 Depth=2
	v_mov_b64_e32 v[14:15], v[22:23]
	v_min_i32_e32 v35, v37, v35
; %bb.32:                               ;   in Loop: Header=BB179_18 Depth=2
	s_or_b32 exec_lo, exec_lo, s11
.LBB179_33:                             ;   in Loop: Header=BB179_18 Depth=2
	s_delay_alu instid0(SALU_CYCLE_1)
	s_or_b32 exec_lo, exec_lo, s50
	ds_bpermute_b32 v16, v26, v14
	ds_bpermute_b32 v17, v26, v15
	s_wait_dscnt 0x0
	v_min_i64 v[14:15], v[16:17], v[14:15]
	ds_bpermute_b32 v16, v27, v14
	ds_bpermute_b32 v17, v27, v15
	s_wait_dscnt 0x0
	v_min_i64 v[14:15], v[16:17], v[14:15]
	;; [unrolled: 4-line block ×3, first 2 shown]
	ds_bpermute_b32 v16, v29, v14
	ds_bpermute_b32 v17, v29, v15
	s_and_saveexec_b32 s11, s1
	s_cbranch_execz .LBB179_17
; %bb.34:                               ;   in Loop: Header=BB179_18 Depth=2
	s_wait_dscnt 0x0
	v_min_i64 v[14:15], v[16:17], v[14:15]
	global_store_b64 v[12:13], v[14:15], off
	s_branch .LBB179_17
.LBB179_35:                             ;   in Loop: Header=BB179_18 Depth=2
                                        ; implicit-def: $vgpr18_vgpr19
	s_branch .LBB179_20
.LBB179_36:                             ;   in Loop: Header=BB179_11 Depth=1
	s_or_b32 exec_lo, exec_lo, s49
.LBB179_37:                             ;   in Loop: Header=BB179_11 Depth=1
	s_delay_alu instid0(SALU_CYCLE_1) | instskip(NEXT) | instid1(SALU_CYCLE_1)
	s_or_b32 exec_lo, exec_lo, s13
	s_and_not1_b32 vcc_lo, exec_lo, s46
	s_cbranch_vccnz .LBB179_51
; %bb.38:                               ;   in Loop: Header=BB179_11 Depth=1
	s_load_b128 s[52:55], s[18:19], 0x0
	s_mov_b32 s49, exec_lo
	s_wait_kmcnt 0x0
	v_add_nc_u64_e32 v[10:11], s[52:53], v[6:7]
	s_sub_nc_u64 s[12:13], s[54:55], s[44:45]
	s_delay_alu instid0(VALU_DEP_1) | instid1(SALU_CYCLE_1)
	v_cmpx_gt_i64_e64 s[12:13], v[10:11]
	s_cbranch_execz .LBB179_50
; %bb.39:                               ;   in Loop: Header=BB179_11 Depth=1
	v_lshlrev_b64_e32 v[14:15], 2, v[10:11]
	s_mov_b32 s50, 0
                                        ; implicit-def: $sgpr51
                                        ; implicit-def: $sgpr52
	s_delay_alu instid0(VALU_DEP_1)
	v_add_nc_u64_e32 v[12:13], s[14:15], v[14:15]
	v_add_nc_u64_e32 v[14:15], s[16:17], v[14:15]
	s_branch .LBB179_41
.LBB179_40:                             ;   in Loop: Header=BB179_41 Depth=2
	s_or_b32 exec_lo, exec_lo, s53
	s_delay_alu instid0(SALU_CYCLE_1) | instskip(NEXT) | instid1(SALU_CYCLE_1)
	s_and_b32 s10, exec_lo, s11
	s_or_b32 s50, s10, s50
	s_and_not1_b32 s10, s51, exec_lo
	s_and_b32 s11, s52, exec_lo
	s_delay_alu instid0(SALU_CYCLE_1)
	s_or_b32 s51, s10, s11
	s_and_not1_b32 exec_lo, exec_lo, s50
	s_cbranch_execz .LBB179_47
.LBB179_41:                             ;   Parent Loop BB179_11 Depth=1
                                        ; =>  This Inner Loop Header: Depth=2
	s_wait_dscnt 0x1
	global_load_b32 v16, v[12:13], off
	s_wait_loadcnt 0x0
	v_subrev_nc_u32_e32 v16, s31, v16
	s_delay_alu instid0(VALU_DEP_1)
	v_cmp_lt_i32_e64 s10, v16, v33
	v_cmp_ge_i32_e64 s11, v16, v34
	v_cmp_lt_i32_e32 vcc_lo, v16, v34
	s_or_b32 s11, s10, s11
	s_mov_b32 s10, 0
	s_wait_xcnt 0x0
	s_and_saveexec_b32 s53, s11
	s_delay_alu instid0(SALU_CYCLE_1)
	s_xor_b32 s11, exec_lo, s53
; %bb.42:                               ;   in Loop: Header=BB179_41 Depth=2
	s_and_b32 s10, vcc_lo, exec_lo
; %bb.43:                               ;   in Loop: Header=BB179_41 Depth=2
	s_and_not1_saveexec_b32 s11, s11
	s_cbranch_execz .LBB179_45
; %bb.44:                               ;   in Loop: Header=BB179_41 Depth=2
	s_wait_dscnt 0x0
	global_load_b32 v17, v[14:15], off
	v_sub_nc_u32_e32 v18, v16, v33
	s_or_b32 s10, s10, exec_lo
	s_delay_alu instid0(VALU_DEP_1)
	v_lshlrev_b32_e32 v19, 2, v18
	ds_store_b8 v18, v32 offset:8192
	s_wait_loadcnt 0x0
	v_mul_f32_e32 v17, s47, v17
	ds_add_f32 v19, v17
.LBB179_45:                             ;   in Loop: Header=BB179_41 Depth=2
	s_wait_xcnt 0x0
	s_or_b32 exec_lo, exec_lo, s11
	s_mov_b32 s11, -1
	s_or_b32 s52, s52, exec_lo
	s_and_saveexec_b32 s53, s10
	s_cbranch_execz .LBB179_40
; %bb.46:                               ;   in Loop: Header=BB179_41 Depth=2
	v_add_nc_u64_e32 v[10:11], 0x200, v[10:11]
	v_add_nc_u64_e32 v[12:13], 0x800, v[12:13]
	;; [unrolled: 1-line block ×3, first 2 shown]
	s_and_not1_b32 s52, s52, exec_lo
	s_delay_alu instid0(VALU_DEP_3)
	v_cmp_le_i64_e32 vcc_lo, s[12:13], v[10:11]
	s_or_not1_b32 s11, vcc_lo, exec_lo
	s_branch .LBB179_40
.LBB179_47:                             ;   in Loop: Header=BB179_11 Depth=1
	s_or_b32 exec_lo, exec_lo, s50
	s_and_saveexec_b32 s10, s51
	s_delay_alu instid0(SALU_CYCLE_1)
	s_xor_b32 s10, exec_lo, s10
; %bb.48:                               ;   in Loop: Header=BB179_11 Depth=1
	v_min_i32_e32 v35, v16, v35
; %bb.49:                               ;   in Loop: Header=BB179_11 Depth=1
	s_or_b32 exec_lo, exec_lo, s10
.LBB179_50:                             ;   in Loop: Header=BB179_11 Depth=1
	s_delay_alu instid0(SALU_CYCLE_1)
	s_or_b32 exec_lo, exec_lo, s49
.LBB179_51:                             ;   in Loop: Header=BB179_11 Depth=1
	ds_bpermute_b32 v10, v26, v35
	s_wait_dscnt 0x0
	v_min_i32_e32 v10, v10, v35
	ds_bpermute_b32 v11, v27, v10
	s_wait_dscnt 0x0
	v_min_i32_e32 v10, v11, v10
	;; [unrolled: 3-line block ×3, first 2 shown]
	ds_bpermute_b32 v11, v29, v10
	s_and_saveexec_b32 s10, s1
	s_cbranch_execz .LBB179_56
; %bb.52:                               ;   in Loop: Header=BB179_11 Depth=1
	s_wait_dscnt 0x0
	v_min_i32_e32 v10, v11, v10
	s_mov_b32 s12, exec_lo
	s_brev_b32 s11, -2
.LBB179_53:                             ;   Parent Loop BB179_11 Depth=1
                                        ; =>  This Inner Loop Header: Depth=2
	s_ctz_i32_b32 s13, s12
	s_delay_alu instid0(VALU_DEP_1) | instid1(SALU_CYCLE_1)
	v_readlane_b32 s49, v10, s13
	s_lshl_b32 s13, 1, s13
	s_delay_alu instid0(SALU_CYCLE_1)
	s_and_not1_b32 s12, s12, s13
	s_min_i32 s11, s11, s49
	s_cmp_lg_u32 s12, 0
	s_cbranch_scc1 .LBB179_53
; %bb.54:                               ;   in Loop: Header=BB179_11 Depth=1
	v_mbcnt_lo_u32_b32 v10, exec_lo, 0
	s_mov_b32 s12, exec_lo
	s_delay_alu instid0(VALU_DEP_1)
	v_cmpx_eq_u32_e32 0, v10
	s_xor_b32 s12, exec_lo, s12
; %bb.55:                               ;   in Loop: Header=BB179_11 Depth=1
	v_mov_b32_e32 v10, s11
	ds_min_i32 v3, v10 offset:10240
.LBB179_56:                             ;   in Loop: Header=BB179_11 Depth=1
	s_or_b32 exec_lo, exec_lo, s10
	v_dual_mov_b32 v12, v31 :: v_dual_mov_b32 v13, v30
	s_mov_b32 s10, 0
	s_wait_storecnt_dscnt 0x0
	s_barrier_signal -1
	s_barrier_wait -1
	s_branch .LBB179_58
.LBB179_57:                             ;   in Loop: Header=BB179_58 Depth=2
	s_or_b32 exec_lo, exec_lo, s11
	s_wait_storecnt_dscnt 0x0
	s_barrier_signal -1
	s_barrier_wait -1
	ds_load_b32 v10, v3 offset:28
	v_add_nc_u32_e32 v13, 0x200, v13
	v_add_nc_u32_e32 v12, 0x800, v12
	s_delay_alu instid0(VALU_DEP_2) | instskip(SKIP_3) | instid1(VALU_DEP_1)
	v_cmp_lt_u32_e32 vcc_lo, 0x5ff, v13
	s_or_b32 s10, vcc_lo, s10
	s_wait_dscnt 0x0
	v_ashrrev_i32_e32 v11, 31, v10
	v_add_nc_u64_e32 v[0:1], v[0:1], v[10:11]
	s_and_not1_b32 exec_lo, exec_lo, s10
	s_cbranch_execz .LBB179_10
.LBB179_58:                             ;   Parent Loop BB179_11 Depth=1
                                        ; =>  This Inner Loop Header: Depth=2
	ds_load_u8 v10, v13 offset:8704
	ds_load_b32 v14, v12
	s_wait_dscnt 0x0
	s_barrier_signal -1
	s_barrier_wait -1
	v_cmp_ne_u16_e32 vcc_lo, 0, v10
	s_bcnt1_i32_b32 s11, vcc_lo
	s_delay_alu instid0(SALU_CYCLE_1)
	v_mov_b32_e32 v11, s11
	s_mov_b32 s11, exec_lo
	ds_store_b32 v9, v11
	s_wait_dscnt 0x0
	s_barrier_signal -1
	s_barrier_wait -1
	ds_load_b128 v[16:19], v3
	ds_load_b96 v[20:22], v3 offset:16
	v_and_b32_e32 v11, vcc_lo, v8
	s_wait_dscnt 0x1
	v_cndmask_b32_e64 v15, v16, 0, s3
	v_cndmask_b32_e64 v16, v17, 0, s4
	;; [unrolled: 1-line block ×3, first 2 shown]
	s_wait_dscnt 0x0
	v_cndmask_b32_e64 v18, v20, 0, s7
	v_bcnt_u32_b32 v11, v11, v15
	v_cndmask_b32_e64 v15, v19, 0, s6
	s_delay_alu instid0(VALU_DEP_2) | instskip(SKIP_2) | instid1(VALU_DEP_3)
	v_add3_u32 v11, v11, v16, v17
	v_cndmask_b32_e64 v16, v21, 0, s8
	v_cndmask_b32_e64 v17, v22, 0, s9
	v_add3_u32 v11, v11, v15, v18
	v_and_b32_e32 v15, 1, v10
	s_delay_alu instid0(VALU_DEP_2) | instskip(NEXT) | instid1(VALU_DEP_2)
	v_add3_u32 v10, v11, v16, v17
	v_cmpx_eq_u32_e32 1, v15
	s_cbranch_execz .LBB179_60
; %bb.59:                               ;   in Loop: Header=BB179_58 Depth=2
	v_lshl_add_u64 v[16:17], v[0:1], 2, s[36:37]
	s_delay_alu instid0(VALU_DEP_3) | instskip(NEXT) | instid1(VALU_DEP_1)
	v_ashrrev_i32_e32 v11, 31, v10
	v_lshl_add_u64 v[16:17], v[10:11], 2, v[16:17]
	global_store_b32 v[16:17], v14, off offset:-4
.LBB179_60:                             ;   in Loop: Header=BB179_58 Depth=2
	s_wait_xcnt 0x0
	s_or_b32 exec_lo, exec_lo, s11
	s_and_saveexec_b32 s11, s2
	s_cbranch_execz .LBB179_57
; %bb.61:                               ;   in Loop: Header=BB179_58 Depth=2
	ds_store_b32 v3, v10 offset:28
	s_branch .LBB179_57
.LBB179_62:
	s_endpgm
	.section	.rodata,"a",@progbits
	.p2align	6, 0x0
	.amdhsa_kernel _ZN9rocsparseL51csrgemm_numeric_fill_block_per_row_multipass_kernelILj512ELj16ELj2048ELj64ElifEEvT4_PKS1_S3_NS_24const_host_device_scalarIT5_EEPKT3_S3_PKS5_S9_S3_SB_S6_S9_S3_SB_S9_S3_PS5_PS7_21rocsparse_index_base_SE_SE_SE_bbb
		.amdhsa_group_segment_fixed_size 10244
		.amdhsa_private_segment_fixed_size 0
		.amdhsa_kernarg_size 164
		.amdhsa_user_sgpr_count 2
		.amdhsa_user_sgpr_dispatch_ptr 0
		.amdhsa_user_sgpr_queue_ptr 0
		.amdhsa_user_sgpr_kernarg_segment_ptr 1
		.amdhsa_user_sgpr_dispatch_id 0
		.amdhsa_user_sgpr_kernarg_preload_length 0
		.amdhsa_user_sgpr_kernarg_preload_offset 0
		.amdhsa_user_sgpr_private_segment_size 0
		.amdhsa_wavefront_size32 1
		.amdhsa_uses_dynamic_stack 0
		.amdhsa_enable_private_segment 0
		.amdhsa_system_sgpr_workgroup_id_x 1
		.amdhsa_system_sgpr_workgroup_id_y 0
		.amdhsa_system_sgpr_workgroup_id_z 0
		.amdhsa_system_sgpr_workgroup_info 0
		.amdhsa_system_vgpr_workitem_id 0
		.amdhsa_next_free_vgpr 39
		.amdhsa_next_free_sgpr 56
		.amdhsa_named_barrier_count 0
		.amdhsa_reserve_vcc 1
		.amdhsa_float_round_mode_32 0
		.amdhsa_float_round_mode_16_64 0
		.amdhsa_float_denorm_mode_32 3
		.amdhsa_float_denorm_mode_16_64 3
		.amdhsa_fp16_overflow 0
		.amdhsa_memory_ordered 1
		.amdhsa_forward_progress 1
		.amdhsa_inst_pref_size 20
		.amdhsa_round_robin_scheduling 0
		.amdhsa_exception_fp_ieee_invalid_op 0
		.amdhsa_exception_fp_denorm_src 0
		.amdhsa_exception_fp_ieee_div_zero 0
		.amdhsa_exception_fp_ieee_overflow 0
		.amdhsa_exception_fp_ieee_underflow 0
		.amdhsa_exception_fp_ieee_inexact 0
		.amdhsa_exception_int_div_zero 0
	.end_amdhsa_kernel
	.section	.text._ZN9rocsparseL51csrgemm_numeric_fill_block_per_row_multipass_kernelILj512ELj16ELj2048ELj64ElifEEvT4_PKS1_S3_NS_24const_host_device_scalarIT5_EEPKT3_S3_PKS5_S9_S3_SB_S6_S9_S3_SB_S9_S3_PS5_PS7_21rocsparse_index_base_SE_SE_SE_bbb,"axG",@progbits,_ZN9rocsparseL51csrgemm_numeric_fill_block_per_row_multipass_kernelILj512ELj16ELj2048ELj64ElifEEvT4_PKS1_S3_NS_24const_host_device_scalarIT5_EEPKT3_S3_PKS5_S9_S3_SB_S6_S9_S3_SB_S9_S3_PS5_PS7_21rocsparse_index_base_SE_SE_SE_bbb,comdat
.Lfunc_end179:
	.size	_ZN9rocsparseL51csrgemm_numeric_fill_block_per_row_multipass_kernelILj512ELj16ELj2048ELj64ElifEEvT4_PKS1_S3_NS_24const_host_device_scalarIT5_EEPKT3_S3_PKS5_S9_S3_SB_S6_S9_S3_SB_S9_S3_PS5_PS7_21rocsparse_index_base_SE_SE_SE_bbb, .Lfunc_end179-_ZN9rocsparseL51csrgemm_numeric_fill_block_per_row_multipass_kernelILj512ELj16ELj2048ELj64ElifEEvT4_PKS1_S3_NS_24const_host_device_scalarIT5_EEPKT3_S3_PKS5_S9_S3_SB_S6_S9_S3_SB_S9_S3_PS5_PS7_21rocsparse_index_base_SE_SE_SE_bbb
                                        ; -- End function
	.set _ZN9rocsparseL51csrgemm_numeric_fill_block_per_row_multipass_kernelILj512ELj16ELj2048ELj64ElifEEvT4_PKS1_S3_NS_24const_host_device_scalarIT5_EEPKT3_S3_PKS5_S9_S3_SB_S6_S9_S3_SB_S9_S3_PS5_PS7_21rocsparse_index_base_SE_SE_SE_bbb.num_vgpr, 39
	.set _ZN9rocsparseL51csrgemm_numeric_fill_block_per_row_multipass_kernelILj512ELj16ELj2048ELj64ElifEEvT4_PKS1_S3_NS_24const_host_device_scalarIT5_EEPKT3_S3_PKS5_S9_S3_SB_S6_S9_S3_SB_S9_S3_PS5_PS7_21rocsparse_index_base_SE_SE_SE_bbb.num_agpr, 0
	.set _ZN9rocsparseL51csrgemm_numeric_fill_block_per_row_multipass_kernelILj512ELj16ELj2048ELj64ElifEEvT4_PKS1_S3_NS_24const_host_device_scalarIT5_EEPKT3_S3_PKS5_S9_S3_SB_S6_S9_S3_SB_S9_S3_PS5_PS7_21rocsparse_index_base_SE_SE_SE_bbb.numbered_sgpr, 56
	.set _ZN9rocsparseL51csrgemm_numeric_fill_block_per_row_multipass_kernelILj512ELj16ELj2048ELj64ElifEEvT4_PKS1_S3_NS_24const_host_device_scalarIT5_EEPKT3_S3_PKS5_S9_S3_SB_S6_S9_S3_SB_S9_S3_PS5_PS7_21rocsparse_index_base_SE_SE_SE_bbb.num_named_barrier, 0
	.set _ZN9rocsparseL51csrgemm_numeric_fill_block_per_row_multipass_kernelILj512ELj16ELj2048ELj64ElifEEvT4_PKS1_S3_NS_24const_host_device_scalarIT5_EEPKT3_S3_PKS5_S9_S3_SB_S6_S9_S3_SB_S9_S3_PS5_PS7_21rocsparse_index_base_SE_SE_SE_bbb.private_seg_size, 0
	.set _ZN9rocsparseL51csrgemm_numeric_fill_block_per_row_multipass_kernelILj512ELj16ELj2048ELj64ElifEEvT4_PKS1_S3_NS_24const_host_device_scalarIT5_EEPKT3_S3_PKS5_S9_S3_SB_S6_S9_S3_SB_S9_S3_PS5_PS7_21rocsparse_index_base_SE_SE_SE_bbb.uses_vcc, 1
	.set _ZN9rocsparseL51csrgemm_numeric_fill_block_per_row_multipass_kernelILj512ELj16ELj2048ELj64ElifEEvT4_PKS1_S3_NS_24const_host_device_scalarIT5_EEPKT3_S3_PKS5_S9_S3_SB_S6_S9_S3_SB_S9_S3_PS5_PS7_21rocsparse_index_base_SE_SE_SE_bbb.uses_flat_scratch, 0
	.set _ZN9rocsparseL51csrgemm_numeric_fill_block_per_row_multipass_kernelILj512ELj16ELj2048ELj64ElifEEvT4_PKS1_S3_NS_24const_host_device_scalarIT5_EEPKT3_S3_PKS5_S9_S3_SB_S6_S9_S3_SB_S9_S3_PS5_PS7_21rocsparse_index_base_SE_SE_SE_bbb.has_dyn_sized_stack, 0
	.set _ZN9rocsparseL51csrgemm_numeric_fill_block_per_row_multipass_kernelILj512ELj16ELj2048ELj64ElifEEvT4_PKS1_S3_NS_24const_host_device_scalarIT5_EEPKT3_S3_PKS5_S9_S3_SB_S6_S9_S3_SB_S9_S3_PS5_PS7_21rocsparse_index_base_SE_SE_SE_bbb.has_recursion, 0
	.set _ZN9rocsparseL51csrgemm_numeric_fill_block_per_row_multipass_kernelILj512ELj16ELj2048ELj64ElifEEvT4_PKS1_S3_NS_24const_host_device_scalarIT5_EEPKT3_S3_PKS5_S9_S3_SB_S6_S9_S3_SB_S9_S3_PS5_PS7_21rocsparse_index_base_SE_SE_SE_bbb.has_indirect_call, 0
	.section	.AMDGPU.csdata,"",@progbits
; Kernel info:
; codeLenInByte = 2532
; TotalNumSgprs: 58
; NumVgprs: 39
; ScratchSize: 0
; MemoryBound: 0
; FloatMode: 240
; IeeeMode: 1
; LDSByteSize: 10244 bytes/workgroup (compile time only)
; SGPRBlocks: 0
; VGPRBlocks: 2
; NumSGPRsForWavesPerEU: 58
; NumVGPRsForWavesPerEU: 39
; NamedBarCnt: 0
; Occupancy: 16
; WaveLimiterHint : 1
; COMPUTE_PGM_RSRC2:SCRATCH_EN: 0
; COMPUTE_PGM_RSRC2:USER_SGPR: 2
; COMPUTE_PGM_RSRC2:TRAP_HANDLER: 0
; COMPUTE_PGM_RSRC2:TGID_X_EN: 1
; COMPUTE_PGM_RSRC2:TGID_Y_EN: 0
; COMPUTE_PGM_RSRC2:TGID_Z_EN: 0
; COMPUTE_PGM_RSRC2:TIDIG_COMP_CNT: 0
	.section	.text._ZN9rocsparseL38csrgemm_numeric_fill_wf_per_row_kernelILj256ELj8ELj16ELj137ElidEEvT4_S1_PKS1_S3_NS_24const_host_device_scalarIT5_EEPKT3_S3_PKS5_S9_S3_SB_S6_S9_S3_SB_S9_S3_PS5_21rocsparse_index_base_SD_SD_SD_bbb,"axG",@progbits,_ZN9rocsparseL38csrgemm_numeric_fill_wf_per_row_kernelILj256ELj8ELj16ELj137ElidEEvT4_S1_PKS1_S3_NS_24const_host_device_scalarIT5_EEPKT3_S3_PKS5_S9_S3_SB_S6_S9_S3_SB_S9_S3_PS5_21rocsparse_index_base_SD_SD_SD_bbb,comdat
	.globl	_ZN9rocsparseL38csrgemm_numeric_fill_wf_per_row_kernelILj256ELj8ELj16ELj137ElidEEvT4_S1_PKS1_S3_NS_24const_host_device_scalarIT5_EEPKT3_S3_PKS5_S9_S3_SB_S6_S9_S3_SB_S9_S3_PS5_21rocsparse_index_base_SD_SD_SD_bbb ; -- Begin function _ZN9rocsparseL38csrgemm_numeric_fill_wf_per_row_kernelILj256ELj8ELj16ELj137ElidEEvT4_S1_PKS1_S3_NS_24const_host_device_scalarIT5_EEPKT3_S3_PKS5_S9_S3_SB_S6_S9_S3_SB_S9_S3_PS5_21rocsparse_index_base_SD_SD_SD_bbb
	.p2align	8
	.type	_ZN9rocsparseL38csrgemm_numeric_fill_wf_per_row_kernelILj256ELj8ELj16ELj137ElidEEvT4_S1_PKS1_S3_NS_24const_host_device_scalarIT5_EEPKT3_S3_PKS5_S9_S3_SB_S6_S9_S3_SB_S9_S3_PS5_21rocsparse_index_base_SD_SD_SD_bbb,@function
_ZN9rocsparseL38csrgemm_numeric_fill_wf_per_row_kernelILj256ELj8ELj16ELj137ElidEEvT4_S1_PKS1_S3_NS_24const_host_device_scalarIT5_EEPKT3_S3_PKS5_S9_S3_SB_S6_S9_S3_SB_S9_S3_PS5_21rocsparse_index_base_SD_SD_SD_bbb: ; @_ZN9rocsparseL38csrgemm_numeric_fill_wf_per_row_kernelILj256ELj8ELj16ELj137ElidEEvT4_S1_PKS1_S3_NS_24const_host_device_scalarIT5_EEPKT3_S3_PKS5_S9_S3_SB_S6_S9_S3_SB_S9_S3_PS5_21rocsparse_index_base_SD_SD_SD_bbb
; %bb.0:
	s_clause 0x3
	s_load_b32 s6, s[0:1], 0x98
	s_load_b64 s[4:5], s[0:1], 0x18
	s_load_b128 s[20:23], s[0:1], 0x88
	s_load_b64 s[2:3], s[0:1], 0x50
	s_wait_kmcnt 0x0
	s_bitcmp1_b32 s6, 0
	s_cselect_b32 s36, -1, 0
	s_bitcmp1_b32 s6, 16
	s_cselect_b32 s7, -1, 0
	s_xor_b32 s8, s36, -1
	s_delay_alu instid0(SALU_CYCLE_1)
	s_or_b32 s10, s7, s8
	s_and_b32 s8, s36, exec_lo
	s_cselect_b32 s9, s5, 0
	s_cselect_b32 s8, s4, 0
	s_and_b32 vcc_lo, exec_lo, s10
	v_mov_b64_e32 v[8:9], s[8:9]
	s_cbranch_vccnz .LBB180_2
; %bb.1:
	v_mov_b32_e32 v1, 0
	flat_load_b64 v[8:9], v1, s[4:5]
.LBB180_2:
	s_load_b128 s[28:31], s[0:1], 0x8
	s_bitcmp1_b32 s6, 8
	s_cselect_b32 s33, -1, 0
	s_delay_alu instid0(SALU_CYCLE_1) | instskip(NEXT) | instid1(SALU_CYCLE_1)
	s_xor_b32 s4, s33, -1
	s_or_b32 s6, s7, s4
	s_and_b32 s4, s33, exec_lo
	s_cselect_b32 s5, s3, 0
	s_cselect_b32 s4, s2, 0
	s_and_b32 vcc_lo, exec_lo, s6
	v_mov_b64_e32 v[4:5], s[4:5]
	s_cbranch_vccnz .LBB180_4
; %bb.3:
	v_mov_b32_e32 v1, 0
	flat_load_b64 v[4:5], v1, s[2:3]
.LBB180_4:
	s_wait_xcnt 0x0
	s_clause 0x4
	s_load_b64 s[2:3], s[0:1], 0x0
	s_load_b64 s[34:35], s[0:1], 0x80
	s_load_b256 s[4:11], s[0:1], 0x58
	s_load_b128 s[24:27], s[0:1], 0x40
	s_load_b256 s[12:19], s[0:1], 0x20
	v_dual_lshrrev_b32 v2, 3, v0 :: v_dual_bitop2_b32 v10, 7, v0 bitop3:0x40
	s_wait_xcnt 0x0
	s_mov_b32 s0, 0
	s_delay_alu instid0(VALU_DEP_1) | instskip(NEXT) | instid1(VALU_DEP_2)
	v_lshlrev_b32_e32 v0, 6, v2
	v_dual_lshlrev_b32 v1, 2, v10 :: v_dual_lshlrev_b32 v3, 3, v10
	s_delay_alu instid0(VALU_DEP_1) | instskip(NEXT) | instid1(VALU_DEP_2)
	v_or3_b32 v20, v0, v1, 0x1000
	v_lshl_or_b32 v21, v2, 7, v3
	v_or_b32_e32 v22, -8, v10
	v_mov_b64_e32 v[0:1], 0
	s_delay_alu instid0(VALU_DEP_3) | instskip(SKIP_1) | instid1(VALU_DEP_3)
	v_dual_mov_b32 v3, v20 :: v_dual_mov_b32 v6, v21
	s_wait_kmcnt 0x0
	v_dual_mov_b32 v7, s3 :: v_dual_mov_b32 v11, v22
.LBB180_5:                              ; =>This Inner Loop Header: Depth=1
	s_delay_alu instid0(VALU_DEP_1)
	v_add_co_u32 v11, s1, v11, 8
	s_xor_b32 s1, s1, -1
	ds_store_b32 v3, v7
	ds_store_b64 v6, v[0:1]
	v_dual_add_nc_u32 v6, 64, v6 :: v_dual_add_nc_u32 v3, 32, v3
	s_and_b32 s1, exec_lo, s1
	s_delay_alu instid0(SALU_CYCLE_1) | instskip(NEXT) | instid1(SALU_CYCLE_1)
	s_or_b32 s0, s1, s0
	s_and_not1_b32 exec_lo, exec_lo, s0
	s_cbranch_execnz .LBB180_5
; %bb.6:
	s_or_b32 exec_lo, exec_lo, s0
	s_bfe_u32 s0, ttmp6, 0x4000c
	s_and_b32 s1, ttmp6, 15
	s_add_co_i32 s0, s0, 1
	s_getreg_b32 s37, hwreg(HW_REG_IB_STS2, 6, 4)
	s_mul_i32 s0, ttmp9, s0
	s_wait_loadcnt_dscnt 0x0
	s_add_co_i32 s1, s1, s0
	s_cmp_eq_u32 s37, 0
	s_cselect_b32 s0, ttmp9, s1
	s_delay_alu instid0(SALU_CYCLE_1) | instskip(NEXT) | instid1(SALU_CYCLE_1)
	s_lshl_b32 s0, s0, 5
	v_and_or_b32 v6, 0x1fffffe0, s0, v2
	s_mov_b32 s0, exec_lo
	s_delay_alu instid0(VALU_DEP_1)
	v_cmpx_gt_i32_e64 s2, v6
	s_cbranch_execz .LBB180_45
; %bb.7:
	s_cmp_eq_u64 s[30:31], 0
	s_cbranch_scc1 .LBB180_9
; %bb.8:
	s_load_b32 s0, s[28:29], 0x0
	s_wait_kmcnt 0x0
	v_add_nc_u32_e32 v0, s0, v6
	global_load_b32 v6, v0, s[30:31] scale_offset
.LBB180_9:
	v_lshl_or_b32 v23, v2, 6, 0x1000
	v_lshlrev_b32_e32 v24, 7, v2
	s_wait_loadcnt 0x0
	v_ashrrev_i32_e32 v7, 31, v6
	s_and_not1_b32 vcc_lo, exec_lo, s36
	s_cbranch_vccnz .LBB180_27
; %bb.10:
	s_delay_alu instid0(VALU_DEP_1)
	v_lshl_add_u64 v[0:1], v[6:7], 3, s[12:13]
	v_mov_b32_e32 v11, 0
	s_mov_b32 s1, 0
	s_mov_b32 s0, s20
	s_mov_b32 s2, exec_lo
	global_load_b128 v[0:3], v[0:1], off
	v_sub_nc_u64_e64 v[14:15], v[10:11], s[0:1]
	s_wait_loadcnt 0x0
	v_sub_nc_u64_e64 v[12:13], v[2:3], s[0:1]
	s_delay_alu instid0(VALU_DEP_2) | instskip(NEXT) | instid1(VALU_DEP_1)
	v_add_nc_u64_e32 v[14:15], v[0:1], v[14:15]
	v_cmpx_lt_i64_e64 v[14:15], v[12:13]
	s_cbranch_execz .LBB180_26
; %bb.11:
	s_mov_b32 s0, s21
	s_mov_b32 s12, s1
	s_branch .LBB180_13
.LBB180_12:                             ;   in Loop: Header=BB180_13 Depth=1
	s_or_b32 exec_lo, exec_lo, s13
	v_add_nc_u64_e32 v[14:15], 8, v[14:15]
	s_delay_alu instid0(VALU_DEP_1) | instskip(SKIP_1) | instid1(SALU_CYCLE_1)
	v_cmp_ge_i64_e32 vcc_lo, v[14:15], v[12:13]
	s_or_b32 s12, vcc_lo, s12
	s_and_not1_b32 exec_lo, exec_lo, s12
	s_cbranch_execz .LBB180_26
.LBB180_13:                             ; =>This Loop Header: Depth=1
                                        ;     Child Loop BB180_17 Depth 2
                                        ;       Child Loop BB180_20 Depth 3
	v_lshl_add_u64 v[0:1], v[14:15], 2, s[14:15]
	s_mov_b32 s13, exec_lo
	global_load_b32 v0, v[0:1], off
	s_wait_loadcnt 0x0
	s_wait_xcnt 0x0
	v_subrev_nc_u32_e32 v0, s20, v0
	s_delay_alu instid0(VALU_DEP_1) | instskip(NEXT) | instid1(VALU_DEP_1)
	v_ashrrev_i32_e32 v1, 31, v0
	v_lshl_add_u64 v[0:1], v[0:1], 3, s[18:19]
	global_load_b128 v[0:3], v[0:1], off
	s_wait_loadcnt 0x0
	s_wait_xcnt 0x0
	v_cmpx_lt_i64_e64 v[0:1], v[2:3]
	s_cbranch_execz .LBB180_12
; %bb.14:                               ;   in Loop: Header=BB180_13 Depth=1
	v_lshl_add_u64 v[16:17], v[14:15], 3, s[16:17]
	v_sub_nc_u64_e64 v[2:3], v[2:3], s[0:1]
	v_sub_nc_u64_e64 v[0:1], v[0:1], s[0:1]
	s_mov_b32 s28, 0
	global_load_b64 v[16:17], v[16:17], off
	s_wait_loadcnt 0x0
	s_wait_xcnt 0x0
	v_mul_f64_e32 v[16:17], v[8:9], v[16:17]
	s_branch .LBB180_17
.LBB180_15:                             ;   in Loop: Header=BB180_17 Depth=2
	s_or_b32 exec_lo, exec_lo, s30
.LBB180_16:                             ;   in Loop: Header=BB180_17 Depth=2
	s_delay_alu instid0(SALU_CYCLE_1) | instskip(SKIP_4) | instid1(VALU_DEP_1)
	s_or_b32 exec_lo, exec_lo, s29
	s_wait_loadcnt 0x0
	v_mul_f64_e32 v[18:19], v[16:17], v[18:19]
	v_lshl_add_u32 v11, v11, 3, v24
	v_add_nc_u64_e32 v[0:1], 1, v[0:1]
	v_cmp_ge_i64_e32 vcc_lo, v[0:1], v[2:3]
	s_or_b32 s28, vcc_lo, s28
	ds_add_f64 v11, v[18:19]
	s_and_not1_b32 exec_lo, exec_lo, s28
	s_cbranch_execz .LBB180_12
.LBB180_17:                             ;   Parent Loop BB180_13 Depth=1
                                        ; =>  This Loop Header: Depth=2
                                        ;       Child Loop BB180_20 Depth 3
	v_lshl_add_u64 v[18:19], v[0:1], 2, s[24:25]
	s_mov_b32 s29, exec_lo
	global_load_b32 v11, v[18:19], off
	s_wait_xcnt 0x0
	v_lshl_add_u64 v[18:19], v[0:1], 3, s[26:27]
	global_load_b64 v[18:19], v[18:19], off
	s_wait_loadcnt 0x1
	v_subrev_nc_u32_e32 v25, s21, v11
	s_delay_alu instid0(VALU_DEP_1) | instskip(NEXT) | instid1(VALU_DEP_1)
	v_lshl_add_u32 v11, v25, 3, v25
	v_and_b32_e32 v11, 15, v11
	s_delay_alu instid0(VALU_DEP_1)
	v_lshl_add_u32 v26, v11, 2, v23
	ds_load_b32 v27, v26
	s_wait_dscnt 0x0
	s_wait_xcnt 0x0
	v_cmpx_ne_u32_e64 v27, v25
	s_cbranch_execz .LBB180_16
; %bb.18:                               ;   in Loop: Header=BB180_17 Depth=2
	s_mov_b32 s30, 0
	s_branch .LBB180_20
.LBB180_19:                             ;   in Loop: Header=BB180_20 Depth=3
	s_or_b32 exec_lo, exec_lo, s37
	s_delay_alu instid0(SALU_CYCLE_1) | instskip(NEXT) | instid1(SALU_CYCLE_1)
	s_and_b32 s31, exec_lo, s36
	s_or_b32 s30, s31, s30
	s_delay_alu instid0(SALU_CYCLE_1)
	s_and_not1_b32 exec_lo, exec_lo, s30
	s_cbranch_execz .LBB180_15
.LBB180_20:                             ;   Parent Loop BB180_13 Depth=1
                                        ;     Parent Loop BB180_17 Depth=2
                                        ; =>    This Inner Loop Header: Depth=3
	s_mov_b32 s31, 0
	s_mov_b32 s36, exec_lo
	v_cmpx_ne_u32_e64 s3, v27
	s_xor_b32 s36, exec_lo, s36
	s_cbranch_execz .LBB180_22
; %bb.21:                               ;   in Loop: Header=BB180_20 Depth=3
	v_add_nc_u32_e32 v11, 1, v11
	s_mov_b32 s31, exec_lo
                                        ; implicit-def: $vgpr26
	s_delay_alu instid0(VALU_DEP_1)
	v_and_b32_e32 v11, 15, v11
	s_and_not1_saveexec_b32 s36, s36
	s_cbranch_execz .LBB180_24
	s_branch .LBB180_23
.LBB180_22:                             ;   in Loop: Header=BB180_20 Depth=3
	s_and_not1_saveexec_b32 s36, s36
	s_cbranch_execz .LBB180_24
.LBB180_23:                             ;   in Loop: Header=BB180_20 Depth=3
	v_mov_b32_e32 v27, s3
	s_and_not1_b32 s31, s31, exec_lo
	ds_cmpstore_rtn_b32 v26, v26, v25, v27
	s_wait_dscnt 0x0
	v_cmp_ne_u32_e32 vcc_lo, s3, v26
	s_and_b32 s37, vcc_lo, exec_lo
	s_delay_alu instid0(SALU_CYCLE_1)
	s_or_b32 s31, s31, s37
.LBB180_24:                             ;   in Loop: Header=BB180_20 Depth=3
	s_or_b32 exec_lo, exec_lo, s36
	s_mov_b32 s36, -1
                                        ; implicit-def: $vgpr26
                                        ; implicit-def: $vgpr27
	s_and_saveexec_b32 s37, s31
	s_cbranch_execz .LBB180_19
; %bb.25:                               ;   in Loop: Header=BB180_20 Depth=3
	v_lshl_add_u32 v26, v11, 2, v23
	ds_load_b32 v27, v26
	s_wait_dscnt 0x0
	v_cmp_eq_u32_e32 vcc_lo, v27, v25
	s_or_not1_b32 s36, vcc_lo, exec_lo
	s_branch .LBB180_19
.LBB180_26:
	s_or_b32 exec_lo, exec_lo, s2
.LBB180_27:
	s_delay_alu instid0(SALU_CYCLE_1)
	s_and_not1_b32 vcc_lo, exec_lo, s33
	s_cbranch_vccnz .LBB180_30
; %bb.28:
	v_lshl_add_u64 v[0:1], v[6:7], 3, s[4:5]
	v_mov_b32_e32 v11, 0
	s_mov_b32 s1, 0
	s_mov_b32 s0, s23
	global_load_b128 v[12:15], v[0:1], off
	v_sub_nc_u64_e64 v[2:3], v[10:11], s[0:1]
	s_wait_loadcnt 0x0
	v_sub_nc_u64_e64 v[0:1], v[14:15], s[0:1]
	s_delay_alu instid0(VALU_DEP_2) | instskip(SKIP_1) | instid1(VALU_DEP_1)
	v_add_nc_u64_e32 v[2:3], v[12:13], v[2:3]
	s_mov_b32 s0, exec_lo
	v_cmpx_lt_i64_e64 v[2:3], v[0:1]
	s_cbranch_execnz .LBB180_36
.LBB180_29:
	s_or_b32 exec_lo, exec_lo, s0
.LBB180_30:
	v_lshl_add_u64 v[0:1], v[6:7], 3, s[10:11]
	s_wait_dscnt 0x0
	s_mov_b32 s23, 0
	v_mov_b32_e32 v3, 0
	global_load_b64 v[0:1], v[0:1], off
	s_wait_loadcnt 0x0
	v_sub_nc_u64_e64 v[0:1], v[0:1], s[22:23]
	s_delay_alu instid0(VALU_DEP_1)
	v_lshl_add_u64 v[0:1], v[0:1], 3, s[34:35]
	s_branch .LBB180_32
.LBB180_31:                             ;   in Loop: Header=BB180_32 Depth=1
	s_wait_xcnt 0x0
	s_or_b32 exec_lo, exec_lo, s0
	v_add_co_u32 v22, s0, v22, 8
	s_xor_b32 s0, s0, -1
	v_dual_add_nc_u32 v21, 64, v21 :: v_dual_add_nc_u32 v20, 32, v20
	s_and_b32 s0, exec_lo, s0
	s_delay_alu instid0(SALU_CYCLE_1) | instskip(NEXT) | instid1(SALU_CYCLE_1)
	s_or_b32 s23, s0, s23
	s_and_not1_b32 exec_lo, exec_lo, s23
	s_cbranch_execz .LBB180_45
.LBB180_32:                             ; =>This Inner Loop Header: Depth=1
	ds_load_b32 v4, v20
	s_mov_b32 s0, exec_lo
	s_wait_dscnt 0x0
	v_cmpx_gt_i32_e64 s3, v4
	s_cbranch_execz .LBB180_31
; %bb.33:                               ;   in Loop: Header=BB180_32 Depth=1
	ds_load_b128 v[6:9], v23
	ds_load_b128 v[10:13], v23 offset:16
	s_wait_dscnt 0x1
	v_cmp_gt_i32_e32 vcc_lo, v4, v6
	v_cndmask_b32_e64 v2, 0, 1, vcc_lo
	v_cmp_gt_i32_e32 vcc_lo, v4, v7
	s_delay_alu instid0(VALU_DEP_2) | instskip(SKIP_2) | instid1(VALU_DEP_3)
	v_lshlrev_b32_e32 v2, 3, v2
	v_cndmask_b32_e64 v5, 0, 1, vcc_lo
	v_cmp_gt_i32_e32 vcc_lo, v4, v8
	v_add_nc_u64_e32 v[6:7], v[0:1], v[2:3]
	s_delay_alu instid0(VALU_DEP_3) | instskip(SKIP_2) | instid1(VALU_DEP_3)
	v_lshlrev_b32_e32 v2, 3, v5
	v_cndmask_b32_e64 v5, 0, 1, vcc_lo
	v_cmp_gt_i32_e32 vcc_lo, v4, v9
	v_add_nc_u64_e32 v[6:7], v[6:7], v[2:3]
	s_delay_alu instid0(VALU_DEP_3) | instskip(SKIP_3) | instid1(VALU_DEP_3)
	v_lshlrev_b32_e32 v2, 3, v5
	v_cndmask_b32_e64 v5, 0, 1, vcc_lo
	s_wait_dscnt 0x0
	v_cmp_gt_i32_e32 vcc_lo, v4, v10
	v_add_nc_u64_e32 v[6:7], v[6:7], v[2:3]
	s_delay_alu instid0(VALU_DEP_3) | instskip(SKIP_2) | instid1(VALU_DEP_3)
	v_lshlrev_b32_e32 v2, 3, v5
	v_cndmask_b32_e64 v5, 0, 1, vcc_lo
	v_cmp_gt_i32_e32 vcc_lo, v4, v11
	v_add_nc_u64_e32 v[14:15], v[6:7], v[2:3]
	ds_load_b128 v[6:9], v23 offset:32
	v_lshlrev_b32_e32 v2, 3, v5
	v_cndmask_b32_e64 v5, 0, 1, vcc_lo
	v_cmp_gt_i32_e32 vcc_lo, v4, v12
	s_delay_alu instid0(VALU_DEP_3) | instskip(NEXT) | instid1(VALU_DEP_3)
	v_add_nc_u64_e32 v[10:11], v[14:15], v[2:3]
	v_lshlrev_b32_e32 v2, 3, v5
	v_cndmask_b32_e64 v5, 0, 1, vcc_lo
	v_cmp_gt_i32_e32 vcc_lo, v4, v13
	s_delay_alu instid0(VALU_DEP_3) | instskip(NEXT) | instid1(VALU_DEP_3)
	v_add_nc_u64_e32 v[10:11], v[10:11], v[2:3]
	v_lshlrev_b32_e32 v2, 3, v5
	v_cndmask_b32_e64 v5, 0, 1, vcc_lo
	s_delay_alu instid0(VALU_DEP_2)
	v_add_nc_u64_e32 v[14:15], v[10:11], v[2:3]
	ds_load_b128 v[10:13], v23 offset:48
	s_wait_dscnt 0x1
	v_cmp_gt_i32_e32 vcc_lo, v4, v6
	v_lshlrev_b32_e32 v2, 3, v5
	v_cndmask_b32_e64 v5, 0, 1, vcc_lo
	v_cmp_gt_i32_e32 vcc_lo, v4, v7
	s_delay_alu instid0(VALU_DEP_3) | instskip(NEXT) | instid1(VALU_DEP_3)
	v_add_nc_u64_e32 v[14:15], v[14:15], v[2:3]
	v_lshlrev_b32_e32 v2, 3, v5
	v_cndmask_b32_e64 v5, 0, 1, vcc_lo
	v_cmp_gt_i32_e32 vcc_lo, v4, v8
	s_delay_alu instid0(VALU_DEP_3) | instskip(NEXT) | instid1(VALU_DEP_3)
	v_add_nc_u64_e32 v[6:7], v[14:15], v[2:3]
	v_lshlrev_b32_e32 v2, 3, v5
	v_cndmask_b32_e64 v5, 0, 1, vcc_lo
	v_cmp_gt_i32_e32 vcc_lo, v4, v9
	ds_load_b64 v[8:9], v21
	v_add_nc_u64_e32 v[6:7], v[6:7], v[2:3]
	v_lshlrev_b32_e32 v2, 3, v5
	v_cndmask_b32_e64 v5, 0, 1, vcc_lo
	s_wait_dscnt 0x1
	v_cmp_gt_i32_e32 vcc_lo, v4, v10
	s_delay_alu instid0(VALU_DEP_3) | instskip(NEXT) | instid1(VALU_DEP_3)
	v_add_nc_u64_e32 v[6:7], v[6:7], v[2:3]
	v_lshlrev_b32_e32 v2, 3, v5
	v_cndmask_b32_e64 v5, 0, 1, vcc_lo
	v_cmp_gt_i32_e32 vcc_lo, v4, v11
	s_delay_alu instid0(VALU_DEP_3) | instskip(NEXT) | instid1(VALU_DEP_3)
	v_add_nc_u64_e32 v[6:7], v[6:7], v[2:3]
	v_lshlrev_b32_e32 v2, 3, v5
	v_cndmask_b32_e64 v5, 0, 1, vcc_lo
	;; [unrolled: 5-line block ×4, first 2 shown]
	s_delay_alu instid0(VALU_DEP_2) | instskip(NEXT) | instid1(VALU_DEP_2)
	v_add_nc_u64_e32 v[4:5], v[6:7], v[2:3]
	v_lshlrev_b32_e32 v2, 3, v10
	s_delay_alu instid0(VALU_DEP_1)
	v_add_nc_u64_e32 v[4:5], v[4:5], v[2:3]
	s_wait_dscnt 0x0
	global_store_b64 v[4:5], v[8:9], off
	s_branch .LBB180_31
.LBB180_34:                             ;   in Loop: Header=BB180_36 Depth=1
	s_or_b32 exec_lo, exec_lo, s4
.LBB180_35:                             ;   in Loop: Header=BB180_36 Depth=1
	s_delay_alu instid0(SALU_CYCLE_1) | instskip(SKIP_4) | instid1(VALU_DEP_1)
	s_or_b32 exec_lo, exec_lo, s2
	s_wait_loadcnt 0x0
	v_mul_f64_e32 v[8:9], v[4:5], v[8:9]
	v_lshl_add_u32 v10, v10, 3, v24
	v_add_nc_u64_e32 v[2:3], 8, v[2:3]
	v_cmp_ge_i64_e32 vcc_lo, v[2:3], v[0:1]
	s_or_b32 s1, vcc_lo, s1
	ds_add_f64 v10, v[8:9]
	s_and_not1_b32 exec_lo, exec_lo, s1
	s_cbranch_execz .LBB180_29
.LBB180_36:                             ; =>This Loop Header: Depth=1
                                        ;     Child Loop BB180_39 Depth 2
	v_lshl_add_u64 v[8:9], v[2:3], 2, s[6:7]
	s_mov_b32 s2, exec_lo
	global_load_b32 v10, v[8:9], off
	s_wait_xcnt 0x0
	v_lshl_add_u64 v[8:9], v[2:3], 3, s[8:9]
	global_load_b64 v[8:9], v[8:9], off
	s_wait_loadcnt 0x1
	v_subrev_nc_u32_e32 v11, s23, v10
	s_delay_alu instid0(VALU_DEP_1) | instskip(NEXT) | instid1(VALU_DEP_1)
	v_lshl_add_u32 v10, v11, 3, v11
	v_and_b32_e32 v10, 15, v10
	s_delay_alu instid0(VALU_DEP_1)
	v_lshl_add_u32 v12, v10, 2, v23
	ds_load_b32 v13, v12
	s_wait_dscnt 0x0
	s_wait_xcnt 0x0
	v_cmpx_ne_u32_e64 v13, v11
	s_cbranch_execz .LBB180_35
; %bb.37:                               ;   in Loop: Header=BB180_36 Depth=1
	s_mov_b32 s4, 0
	s_branch .LBB180_39
.LBB180_38:                             ;   in Loop: Header=BB180_39 Depth=2
	s_or_b32 exec_lo, exec_lo, s13
	s_delay_alu instid0(SALU_CYCLE_1) | instskip(NEXT) | instid1(SALU_CYCLE_1)
	s_and_b32 s5, exec_lo, s12
	s_or_b32 s4, s5, s4
	s_delay_alu instid0(SALU_CYCLE_1)
	s_and_not1_b32 exec_lo, exec_lo, s4
	s_cbranch_execz .LBB180_34
.LBB180_39:                             ;   Parent Loop BB180_36 Depth=1
                                        ; =>  This Inner Loop Header: Depth=2
	s_mov_b32 s5, 0
	s_mov_b32 s12, exec_lo
	v_cmpx_ne_u32_e64 s3, v13
	s_xor_b32 s12, exec_lo, s12
	s_cbranch_execz .LBB180_41
; %bb.40:                               ;   in Loop: Header=BB180_39 Depth=2
	v_add_nc_u32_e32 v10, 1, v10
	s_mov_b32 s5, exec_lo
                                        ; implicit-def: $vgpr12
	s_delay_alu instid0(VALU_DEP_1)
	v_and_b32_e32 v10, 15, v10
	s_and_not1_saveexec_b32 s12, s12
	s_cbranch_execz .LBB180_43
	s_branch .LBB180_42
.LBB180_41:                             ;   in Loop: Header=BB180_39 Depth=2
	s_and_not1_saveexec_b32 s12, s12
	s_cbranch_execz .LBB180_43
.LBB180_42:                             ;   in Loop: Header=BB180_39 Depth=2
	v_mov_b32_e32 v13, s3
	s_and_not1_b32 s5, s5, exec_lo
	ds_cmpstore_rtn_b32 v12, v12, v11, v13
	s_wait_dscnt 0x0
	v_cmp_ne_u32_e32 vcc_lo, s3, v12
	s_and_b32 s13, vcc_lo, exec_lo
	s_delay_alu instid0(SALU_CYCLE_1)
	s_or_b32 s5, s5, s13
.LBB180_43:                             ;   in Loop: Header=BB180_39 Depth=2
	s_or_b32 exec_lo, exec_lo, s12
	s_mov_b32 s12, -1
                                        ; implicit-def: $vgpr12
                                        ; implicit-def: $vgpr13
	s_and_saveexec_b32 s13, s5
	s_cbranch_execz .LBB180_38
; %bb.44:                               ;   in Loop: Header=BB180_39 Depth=2
	v_lshl_add_u32 v12, v10, 2, v23
	ds_load_b32 v13, v12
	s_wait_dscnt 0x0
	v_cmp_eq_u32_e32 vcc_lo, v13, v11
	s_or_not1_b32 s12, vcc_lo, exec_lo
	s_branch .LBB180_38
.LBB180_45:
	s_endpgm
	.section	.rodata,"a",@progbits
	.p2align	6, 0x0
	.amdhsa_kernel _ZN9rocsparseL38csrgemm_numeric_fill_wf_per_row_kernelILj256ELj8ELj16ELj137ElidEEvT4_S1_PKS1_S3_NS_24const_host_device_scalarIT5_EEPKT3_S3_PKS5_S9_S3_SB_S6_S9_S3_SB_S9_S3_PS5_21rocsparse_index_base_SD_SD_SD_bbb
		.amdhsa_group_segment_fixed_size 6144
		.amdhsa_private_segment_fixed_size 0
		.amdhsa_kernarg_size 156
		.amdhsa_user_sgpr_count 2
		.amdhsa_user_sgpr_dispatch_ptr 0
		.amdhsa_user_sgpr_queue_ptr 0
		.amdhsa_user_sgpr_kernarg_segment_ptr 1
		.amdhsa_user_sgpr_dispatch_id 0
		.amdhsa_user_sgpr_kernarg_preload_length 0
		.amdhsa_user_sgpr_kernarg_preload_offset 0
		.amdhsa_user_sgpr_private_segment_size 0
		.amdhsa_wavefront_size32 1
		.amdhsa_uses_dynamic_stack 0
		.amdhsa_enable_private_segment 0
		.amdhsa_system_sgpr_workgroup_id_x 1
		.amdhsa_system_sgpr_workgroup_id_y 0
		.amdhsa_system_sgpr_workgroup_id_z 0
		.amdhsa_system_sgpr_workgroup_info 0
		.amdhsa_system_vgpr_workitem_id 0
		.amdhsa_next_free_vgpr 28
		.amdhsa_next_free_sgpr 38
		.amdhsa_named_barrier_count 0
		.amdhsa_reserve_vcc 1
		.amdhsa_float_round_mode_32 0
		.amdhsa_float_round_mode_16_64 0
		.amdhsa_float_denorm_mode_32 3
		.amdhsa_float_denorm_mode_16_64 3
		.amdhsa_fp16_overflow 0
		.amdhsa_memory_ordered 1
		.amdhsa_forward_progress 1
		.amdhsa_inst_pref_size 18
		.amdhsa_round_robin_scheduling 0
		.amdhsa_exception_fp_ieee_invalid_op 0
		.amdhsa_exception_fp_denorm_src 0
		.amdhsa_exception_fp_ieee_div_zero 0
		.amdhsa_exception_fp_ieee_overflow 0
		.amdhsa_exception_fp_ieee_underflow 0
		.amdhsa_exception_fp_ieee_inexact 0
		.amdhsa_exception_int_div_zero 0
	.end_amdhsa_kernel
	.section	.text._ZN9rocsparseL38csrgemm_numeric_fill_wf_per_row_kernelILj256ELj8ELj16ELj137ElidEEvT4_S1_PKS1_S3_NS_24const_host_device_scalarIT5_EEPKT3_S3_PKS5_S9_S3_SB_S6_S9_S3_SB_S9_S3_PS5_21rocsparse_index_base_SD_SD_SD_bbb,"axG",@progbits,_ZN9rocsparseL38csrgemm_numeric_fill_wf_per_row_kernelILj256ELj8ELj16ELj137ElidEEvT4_S1_PKS1_S3_NS_24const_host_device_scalarIT5_EEPKT3_S3_PKS5_S9_S3_SB_S6_S9_S3_SB_S9_S3_PS5_21rocsparse_index_base_SD_SD_SD_bbb,comdat
.Lfunc_end180:
	.size	_ZN9rocsparseL38csrgemm_numeric_fill_wf_per_row_kernelILj256ELj8ELj16ELj137ElidEEvT4_S1_PKS1_S3_NS_24const_host_device_scalarIT5_EEPKT3_S3_PKS5_S9_S3_SB_S6_S9_S3_SB_S9_S3_PS5_21rocsparse_index_base_SD_SD_SD_bbb, .Lfunc_end180-_ZN9rocsparseL38csrgemm_numeric_fill_wf_per_row_kernelILj256ELj8ELj16ELj137ElidEEvT4_S1_PKS1_S3_NS_24const_host_device_scalarIT5_EEPKT3_S3_PKS5_S9_S3_SB_S6_S9_S3_SB_S9_S3_PS5_21rocsparse_index_base_SD_SD_SD_bbb
                                        ; -- End function
	.set _ZN9rocsparseL38csrgemm_numeric_fill_wf_per_row_kernelILj256ELj8ELj16ELj137ElidEEvT4_S1_PKS1_S3_NS_24const_host_device_scalarIT5_EEPKT3_S3_PKS5_S9_S3_SB_S6_S9_S3_SB_S9_S3_PS5_21rocsparse_index_base_SD_SD_SD_bbb.num_vgpr, 28
	.set _ZN9rocsparseL38csrgemm_numeric_fill_wf_per_row_kernelILj256ELj8ELj16ELj137ElidEEvT4_S1_PKS1_S3_NS_24const_host_device_scalarIT5_EEPKT3_S3_PKS5_S9_S3_SB_S6_S9_S3_SB_S9_S3_PS5_21rocsparse_index_base_SD_SD_SD_bbb.num_agpr, 0
	.set _ZN9rocsparseL38csrgemm_numeric_fill_wf_per_row_kernelILj256ELj8ELj16ELj137ElidEEvT4_S1_PKS1_S3_NS_24const_host_device_scalarIT5_EEPKT3_S3_PKS5_S9_S3_SB_S6_S9_S3_SB_S9_S3_PS5_21rocsparse_index_base_SD_SD_SD_bbb.numbered_sgpr, 38
	.set _ZN9rocsparseL38csrgemm_numeric_fill_wf_per_row_kernelILj256ELj8ELj16ELj137ElidEEvT4_S1_PKS1_S3_NS_24const_host_device_scalarIT5_EEPKT3_S3_PKS5_S9_S3_SB_S6_S9_S3_SB_S9_S3_PS5_21rocsparse_index_base_SD_SD_SD_bbb.num_named_barrier, 0
	.set _ZN9rocsparseL38csrgemm_numeric_fill_wf_per_row_kernelILj256ELj8ELj16ELj137ElidEEvT4_S1_PKS1_S3_NS_24const_host_device_scalarIT5_EEPKT3_S3_PKS5_S9_S3_SB_S6_S9_S3_SB_S9_S3_PS5_21rocsparse_index_base_SD_SD_SD_bbb.private_seg_size, 0
	.set _ZN9rocsparseL38csrgemm_numeric_fill_wf_per_row_kernelILj256ELj8ELj16ELj137ElidEEvT4_S1_PKS1_S3_NS_24const_host_device_scalarIT5_EEPKT3_S3_PKS5_S9_S3_SB_S6_S9_S3_SB_S9_S3_PS5_21rocsparse_index_base_SD_SD_SD_bbb.uses_vcc, 1
	.set _ZN9rocsparseL38csrgemm_numeric_fill_wf_per_row_kernelILj256ELj8ELj16ELj137ElidEEvT4_S1_PKS1_S3_NS_24const_host_device_scalarIT5_EEPKT3_S3_PKS5_S9_S3_SB_S6_S9_S3_SB_S9_S3_PS5_21rocsparse_index_base_SD_SD_SD_bbb.uses_flat_scratch, 0
	.set _ZN9rocsparseL38csrgemm_numeric_fill_wf_per_row_kernelILj256ELj8ELj16ELj137ElidEEvT4_S1_PKS1_S3_NS_24const_host_device_scalarIT5_EEPKT3_S3_PKS5_S9_S3_SB_S6_S9_S3_SB_S9_S3_PS5_21rocsparse_index_base_SD_SD_SD_bbb.has_dyn_sized_stack, 0
	.set _ZN9rocsparseL38csrgemm_numeric_fill_wf_per_row_kernelILj256ELj8ELj16ELj137ElidEEvT4_S1_PKS1_S3_NS_24const_host_device_scalarIT5_EEPKT3_S3_PKS5_S9_S3_SB_S6_S9_S3_SB_S9_S3_PS5_21rocsparse_index_base_SD_SD_SD_bbb.has_recursion, 0
	.set _ZN9rocsparseL38csrgemm_numeric_fill_wf_per_row_kernelILj256ELj8ELj16ELj137ElidEEvT4_S1_PKS1_S3_NS_24const_host_device_scalarIT5_EEPKT3_S3_PKS5_S9_S3_SB_S6_S9_S3_SB_S9_S3_PS5_21rocsparse_index_base_SD_SD_SD_bbb.has_indirect_call, 0
	.section	.AMDGPU.csdata,"",@progbits
; Kernel info:
; codeLenInByte = 2192
; TotalNumSgprs: 40
; NumVgprs: 28
; ScratchSize: 0
; MemoryBound: 0
; FloatMode: 240
; IeeeMode: 1
; LDSByteSize: 6144 bytes/workgroup (compile time only)
; SGPRBlocks: 0
; VGPRBlocks: 1
; NumSGPRsForWavesPerEU: 40
; NumVGPRsForWavesPerEU: 28
; NamedBarCnt: 0
; Occupancy: 16
; WaveLimiterHint : 1
; COMPUTE_PGM_RSRC2:SCRATCH_EN: 0
; COMPUTE_PGM_RSRC2:USER_SGPR: 2
; COMPUTE_PGM_RSRC2:TRAP_HANDLER: 0
; COMPUTE_PGM_RSRC2:TGID_X_EN: 1
; COMPUTE_PGM_RSRC2:TGID_Y_EN: 0
; COMPUTE_PGM_RSRC2:TGID_Z_EN: 0
; COMPUTE_PGM_RSRC2:TIDIG_COMP_CNT: 0
	.section	.text._ZN9rocsparseL38csrgemm_numeric_fill_wf_per_row_kernelILj256ELj16ELj32ELj137ElidEEvT4_S1_PKS1_S3_NS_24const_host_device_scalarIT5_EEPKT3_S3_PKS5_S9_S3_SB_S6_S9_S3_SB_S9_S3_PS5_21rocsparse_index_base_SD_SD_SD_bbb,"axG",@progbits,_ZN9rocsparseL38csrgemm_numeric_fill_wf_per_row_kernelILj256ELj16ELj32ELj137ElidEEvT4_S1_PKS1_S3_NS_24const_host_device_scalarIT5_EEPKT3_S3_PKS5_S9_S3_SB_S6_S9_S3_SB_S9_S3_PS5_21rocsparse_index_base_SD_SD_SD_bbb,comdat
	.globl	_ZN9rocsparseL38csrgemm_numeric_fill_wf_per_row_kernelILj256ELj16ELj32ELj137ElidEEvT4_S1_PKS1_S3_NS_24const_host_device_scalarIT5_EEPKT3_S3_PKS5_S9_S3_SB_S6_S9_S3_SB_S9_S3_PS5_21rocsparse_index_base_SD_SD_SD_bbb ; -- Begin function _ZN9rocsparseL38csrgemm_numeric_fill_wf_per_row_kernelILj256ELj16ELj32ELj137ElidEEvT4_S1_PKS1_S3_NS_24const_host_device_scalarIT5_EEPKT3_S3_PKS5_S9_S3_SB_S6_S9_S3_SB_S9_S3_PS5_21rocsparse_index_base_SD_SD_SD_bbb
	.p2align	8
	.type	_ZN9rocsparseL38csrgemm_numeric_fill_wf_per_row_kernelILj256ELj16ELj32ELj137ElidEEvT4_S1_PKS1_S3_NS_24const_host_device_scalarIT5_EEPKT3_S3_PKS5_S9_S3_SB_S6_S9_S3_SB_S9_S3_PS5_21rocsparse_index_base_SD_SD_SD_bbb,@function
_ZN9rocsparseL38csrgemm_numeric_fill_wf_per_row_kernelILj256ELj16ELj32ELj137ElidEEvT4_S1_PKS1_S3_NS_24const_host_device_scalarIT5_EEPKT3_S3_PKS5_S9_S3_SB_S6_S9_S3_SB_S9_S3_PS5_21rocsparse_index_base_SD_SD_SD_bbb: ; @_ZN9rocsparseL38csrgemm_numeric_fill_wf_per_row_kernelILj256ELj16ELj32ELj137ElidEEvT4_S1_PKS1_S3_NS_24const_host_device_scalarIT5_EEPKT3_S3_PKS5_S9_S3_SB_S6_S9_S3_SB_S9_S3_PS5_21rocsparse_index_base_SD_SD_SD_bbb
; %bb.0:
	s_clause 0x3
	s_load_b32 s6, s[0:1], 0x98
	s_load_b64 s[4:5], s[0:1], 0x18
	s_load_b128 s[20:23], s[0:1], 0x88
	s_load_b64 s[2:3], s[0:1], 0x50
	s_wait_kmcnt 0x0
	s_bitcmp1_b32 s6, 0
	s_cselect_b32 s36, -1, 0
	s_bitcmp1_b32 s6, 16
	s_cselect_b32 s7, -1, 0
	s_xor_b32 s8, s36, -1
	s_delay_alu instid0(SALU_CYCLE_1)
	s_or_b32 s10, s7, s8
	s_and_b32 s8, s36, exec_lo
	s_cselect_b32 s9, s5, 0
	s_cselect_b32 s8, s4, 0
	s_and_b32 vcc_lo, exec_lo, s10
	v_mov_b64_e32 v[8:9], s[8:9]
	s_cbranch_vccnz .LBB181_2
; %bb.1:
	v_mov_b32_e32 v1, 0
	flat_load_b64 v[8:9], v1, s[4:5]
.LBB181_2:
	s_load_b128 s[28:31], s[0:1], 0x8
	s_bitcmp1_b32 s6, 8
	s_cselect_b32 s33, -1, 0
	s_delay_alu instid0(SALU_CYCLE_1) | instskip(NEXT) | instid1(SALU_CYCLE_1)
	s_xor_b32 s4, s33, -1
	s_or_b32 s6, s7, s4
	s_and_b32 s4, s33, exec_lo
	s_cselect_b32 s5, s3, 0
	s_cselect_b32 s4, s2, 0
	s_and_b32 vcc_lo, exec_lo, s6
	v_mov_b64_e32 v[4:5], s[4:5]
	s_cbranch_vccnz .LBB181_4
; %bb.3:
	v_mov_b32_e32 v1, 0
	flat_load_b64 v[4:5], v1, s[2:3]
.LBB181_4:
	s_wait_xcnt 0x0
	s_clause 0x4
	s_load_b64 s[2:3], s[0:1], 0x0
	s_load_b64 s[34:35], s[0:1], 0x80
	s_load_b256 s[4:11], s[0:1], 0x58
	s_load_b128 s[24:27], s[0:1], 0x40
	s_load_b256 s[12:19], s[0:1], 0x20
	v_dual_lshrrev_b32 v2, 4, v0 :: v_dual_bitop2_b32 v10, 15, v0 bitop3:0x40
	s_wait_xcnt 0x0
	s_mov_b32 s0, 0
	s_delay_alu instid0(VALU_DEP_1) | instskip(NEXT) | instid1(VALU_DEP_2)
	v_lshlrev_b32_e32 v0, 7, v2
	v_dual_lshlrev_b32 v1, 2, v10 :: v_dual_lshlrev_b32 v3, 3, v10
	s_delay_alu instid0(VALU_DEP_1) | instskip(NEXT) | instid1(VALU_DEP_2)
	v_or3_b32 v20, v0, v1, 0x1000
	v_lshl_or_b32 v21, v2, 8, v3
	v_or_b32_e32 v22, -16, v10
	v_mov_b64_e32 v[0:1], 0
	s_delay_alu instid0(VALU_DEP_3) | instskip(SKIP_1) | instid1(VALU_DEP_3)
	v_dual_mov_b32 v3, v20 :: v_dual_mov_b32 v6, v21
	s_wait_kmcnt 0x0
	v_dual_mov_b32 v7, s3 :: v_dual_mov_b32 v11, v22
.LBB181_5:                              ; =>This Inner Loop Header: Depth=1
	s_delay_alu instid0(VALU_DEP_1)
	v_add_co_u32 v11, s1, v11, 16
	s_xor_b32 s1, s1, -1
	ds_store_b32 v3, v7
	ds_store_b64 v6, v[0:1]
	v_add_nc_u32_e32 v6, 0x80, v6
	v_add_nc_u32_e32 v3, 64, v3
	s_and_b32 s1, exec_lo, s1
	s_delay_alu instid0(SALU_CYCLE_1) | instskip(NEXT) | instid1(SALU_CYCLE_1)
	s_or_b32 s0, s1, s0
	s_and_not1_b32 exec_lo, exec_lo, s0
	s_cbranch_execnz .LBB181_5
; %bb.6:
	s_or_b32 exec_lo, exec_lo, s0
	s_bfe_u32 s0, ttmp6, 0x4000c
	s_and_b32 s1, ttmp6, 15
	s_add_co_i32 s0, s0, 1
	s_getreg_b32 s37, hwreg(HW_REG_IB_STS2, 6, 4)
	s_mul_i32 s0, ttmp9, s0
	s_wait_loadcnt_dscnt 0x0
	s_add_co_i32 s1, s1, s0
	s_cmp_eq_u32 s37, 0
	s_cselect_b32 s0, ttmp9, s1
	s_delay_alu instid0(SALU_CYCLE_1) | instskip(NEXT) | instid1(SALU_CYCLE_1)
	s_lshl_b32 s0, s0, 4
	v_and_or_b32 v6, 0xffffff0, s0, v2
	s_mov_b32 s0, exec_lo
	s_delay_alu instid0(VALU_DEP_1)
	v_cmpx_gt_i32_e64 s2, v6
	s_cbranch_execz .LBB181_45
; %bb.7:
	s_cmp_eq_u64 s[30:31], 0
	s_cbranch_scc1 .LBB181_9
; %bb.8:
	s_load_b32 s0, s[28:29], 0x0
	s_wait_kmcnt 0x0
	v_add_nc_u32_e32 v0, s0, v6
	global_load_b32 v6, v0, s[30:31] scale_offset
.LBB181_9:
	v_lshl_or_b32 v23, v2, 7, 0x1000
	v_lshlrev_b32_e32 v24, 8, v2
	s_wait_loadcnt 0x0
	v_ashrrev_i32_e32 v7, 31, v6
	s_and_not1_b32 vcc_lo, exec_lo, s36
	s_cbranch_vccnz .LBB181_27
; %bb.10:
	s_delay_alu instid0(VALU_DEP_1)
	v_lshl_add_u64 v[0:1], v[6:7], 3, s[12:13]
	v_mov_b32_e32 v11, 0
	s_mov_b32 s1, 0
	s_mov_b32 s0, s20
	s_mov_b32 s2, exec_lo
	global_load_b128 v[0:3], v[0:1], off
	v_sub_nc_u64_e64 v[14:15], v[10:11], s[0:1]
	s_wait_loadcnt 0x0
	v_sub_nc_u64_e64 v[12:13], v[2:3], s[0:1]
	s_delay_alu instid0(VALU_DEP_2) | instskip(NEXT) | instid1(VALU_DEP_1)
	v_add_nc_u64_e32 v[14:15], v[0:1], v[14:15]
	v_cmpx_lt_i64_e64 v[14:15], v[12:13]
	s_cbranch_execz .LBB181_26
; %bb.11:
	s_mov_b32 s0, s21
	s_mov_b32 s12, s1
	s_branch .LBB181_13
.LBB181_12:                             ;   in Loop: Header=BB181_13 Depth=1
	s_or_b32 exec_lo, exec_lo, s13
	v_add_nc_u64_e32 v[14:15], 16, v[14:15]
	s_delay_alu instid0(VALU_DEP_1) | instskip(SKIP_1) | instid1(SALU_CYCLE_1)
	v_cmp_ge_i64_e32 vcc_lo, v[14:15], v[12:13]
	s_or_b32 s12, vcc_lo, s12
	s_and_not1_b32 exec_lo, exec_lo, s12
	s_cbranch_execz .LBB181_26
.LBB181_13:                             ; =>This Loop Header: Depth=1
                                        ;     Child Loop BB181_17 Depth 2
                                        ;       Child Loop BB181_20 Depth 3
	v_lshl_add_u64 v[0:1], v[14:15], 2, s[14:15]
	s_mov_b32 s13, exec_lo
	global_load_b32 v0, v[0:1], off
	s_wait_loadcnt 0x0
	s_wait_xcnt 0x0
	v_subrev_nc_u32_e32 v0, s20, v0
	s_delay_alu instid0(VALU_DEP_1) | instskip(NEXT) | instid1(VALU_DEP_1)
	v_ashrrev_i32_e32 v1, 31, v0
	v_lshl_add_u64 v[0:1], v[0:1], 3, s[18:19]
	global_load_b128 v[0:3], v[0:1], off
	s_wait_loadcnt 0x0
	s_wait_xcnt 0x0
	v_cmpx_lt_i64_e64 v[0:1], v[2:3]
	s_cbranch_execz .LBB181_12
; %bb.14:                               ;   in Loop: Header=BB181_13 Depth=1
	v_lshl_add_u64 v[16:17], v[14:15], 3, s[16:17]
	v_sub_nc_u64_e64 v[2:3], v[2:3], s[0:1]
	v_sub_nc_u64_e64 v[0:1], v[0:1], s[0:1]
	s_mov_b32 s28, 0
	global_load_b64 v[16:17], v[16:17], off
	s_wait_loadcnt 0x0
	s_wait_xcnt 0x0
	v_mul_f64_e32 v[16:17], v[8:9], v[16:17]
	s_branch .LBB181_17
.LBB181_15:                             ;   in Loop: Header=BB181_17 Depth=2
	s_or_b32 exec_lo, exec_lo, s30
.LBB181_16:                             ;   in Loop: Header=BB181_17 Depth=2
	s_delay_alu instid0(SALU_CYCLE_1) | instskip(SKIP_4) | instid1(VALU_DEP_1)
	s_or_b32 exec_lo, exec_lo, s29
	s_wait_loadcnt 0x0
	v_mul_f64_e32 v[18:19], v[16:17], v[18:19]
	v_lshl_add_u32 v11, v11, 3, v24
	v_add_nc_u64_e32 v[0:1], 1, v[0:1]
	v_cmp_ge_i64_e32 vcc_lo, v[0:1], v[2:3]
	s_or_b32 s28, vcc_lo, s28
	ds_add_f64 v11, v[18:19]
	s_and_not1_b32 exec_lo, exec_lo, s28
	s_cbranch_execz .LBB181_12
.LBB181_17:                             ;   Parent Loop BB181_13 Depth=1
                                        ; =>  This Loop Header: Depth=2
                                        ;       Child Loop BB181_20 Depth 3
	v_lshl_add_u64 v[18:19], v[0:1], 2, s[24:25]
	s_mov_b32 s29, exec_lo
	global_load_b32 v11, v[18:19], off
	s_wait_xcnt 0x0
	v_lshl_add_u64 v[18:19], v[0:1], 3, s[26:27]
	global_load_b64 v[18:19], v[18:19], off
	s_wait_loadcnt 0x1
	v_subrev_nc_u32_e32 v25, s21, v11
	s_delay_alu instid0(VALU_DEP_1) | instskip(NEXT) | instid1(VALU_DEP_1)
	v_lshl_add_u32 v11, v25, 3, v25
	v_and_b32_e32 v11, 31, v11
	s_delay_alu instid0(VALU_DEP_1)
	v_lshl_add_u32 v26, v11, 2, v23
	ds_load_b32 v27, v26
	s_wait_dscnt 0x0
	s_wait_xcnt 0x0
	v_cmpx_ne_u32_e64 v27, v25
	s_cbranch_execz .LBB181_16
; %bb.18:                               ;   in Loop: Header=BB181_17 Depth=2
	s_mov_b32 s30, 0
	s_branch .LBB181_20
.LBB181_19:                             ;   in Loop: Header=BB181_20 Depth=3
	s_or_b32 exec_lo, exec_lo, s37
	s_delay_alu instid0(SALU_CYCLE_1) | instskip(NEXT) | instid1(SALU_CYCLE_1)
	s_and_b32 s31, exec_lo, s36
	s_or_b32 s30, s31, s30
	s_delay_alu instid0(SALU_CYCLE_1)
	s_and_not1_b32 exec_lo, exec_lo, s30
	s_cbranch_execz .LBB181_15
.LBB181_20:                             ;   Parent Loop BB181_13 Depth=1
                                        ;     Parent Loop BB181_17 Depth=2
                                        ; =>    This Inner Loop Header: Depth=3
	s_mov_b32 s31, 0
	s_mov_b32 s36, exec_lo
	v_cmpx_ne_u32_e64 s3, v27
	s_xor_b32 s36, exec_lo, s36
	s_cbranch_execz .LBB181_22
; %bb.21:                               ;   in Loop: Header=BB181_20 Depth=3
	v_add_nc_u32_e32 v11, 1, v11
	s_mov_b32 s31, exec_lo
                                        ; implicit-def: $vgpr26
	s_delay_alu instid0(VALU_DEP_1)
	v_and_b32_e32 v11, 31, v11
	s_and_not1_saveexec_b32 s36, s36
	s_cbranch_execz .LBB181_24
	s_branch .LBB181_23
.LBB181_22:                             ;   in Loop: Header=BB181_20 Depth=3
	s_and_not1_saveexec_b32 s36, s36
	s_cbranch_execz .LBB181_24
.LBB181_23:                             ;   in Loop: Header=BB181_20 Depth=3
	v_mov_b32_e32 v27, s3
	s_and_not1_b32 s31, s31, exec_lo
	ds_cmpstore_rtn_b32 v26, v26, v25, v27
	s_wait_dscnt 0x0
	v_cmp_ne_u32_e32 vcc_lo, s3, v26
	s_and_b32 s37, vcc_lo, exec_lo
	s_delay_alu instid0(SALU_CYCLE_1)
	s_or_b32 s31, s31, s37
.LBB181_24:                             ;   in Loop: Header=BB181_20 Depth=3
	s_or_b32 exec_lo, exec_lo, s36
	s_mov_b32 s36, -1
                                        ; implicit-def: $vgpr26
                                        ; implicit-def: $vgpr27
	s_and_saveexec_b32 s37, s31
	s_cbranch_execz .LBB181_19
; %bb.25:                               ;   in Loop: Header=BB181_20 Depth=3
	v_lshl_add_u32 v26, v11, 2, v23
	ds_load_b32 v27, v26
	s_wait_dscnt 0x0
	v_cmp_eq_u32_e32 vcc_lo, v27, v25
	s_or_not1_b32 s36, vcc_lo, exec_lo
	s_branch .LBB181_19
.LBB181_26:
	s_or_b32 exec_lo, exec_lo, s2
.LBB181_27:
	s_delay_alu instid0(SALU_CYCLE_1)
	s_and_not1_b32 vcc_lo, exec_lo, s33
	s_cbranch_vccnz .LBB181_30
; %bb.28:
	v_lshl_add_u64 v[0:1], v[6:7], 3, s[4:5]
	v_mov_b32_e32 v11, 0
	s_mov_b32 s1, 0
	s_mov_b32 s0, s23
	global_load_b128 v[12:15], v[0:1], off
	v_sub_nc_u64_e64 v[2:3], v[10:11], s[0:1]
	s_wait_loadcnt 0x0
	v_sub_nc_u64_e64 v[0:1], v[14:15], s[0:1]
	s_delay_alu instid0(VALU_DEP_2) | instskip(SKIP_1) | instid1(VALU_DEP_1)
	v_add_nc_u64_e32 v[2:3], v[12:13], v[2:3]
	s_mov_b32 s0, exec_lo
	v_cmpx_lt_i64_e64 v[2:3], v[0:1]
	s_cbranch_execnz .LBB181_36
.LBB181_29:
	s_or_b32 exec_lo, exec_lo, s0
.LBB181_30:
	v_lshl_add_u64 v[0:1], v[6:7], 3, s[10:11]
	s_wait_dscnt 0x0
	s_mov_b32 s23, 0
	v_mov_b32_e32 v3, 0
	global_load_b64 v[0:1], v[0:1], off
	s_wait_loadcnt 0x0
	v_sub_nc_u64_e64 v[0:1], v[0:1], s[22:23]
	s_delay_alu instid0(VALU_DEP_1)
	v_lshl_add_u64 v[0:1], v[0:1], 3, s[34:35]
	s_branch .LBB181_32
.LBB181_31:                             ;   in Loop: Header=BB181_32 Depth=1
	s_wait_xcnt 0x0
	s_or_b32 exec_lo, exec_lo, s0
	v_add_co_u32 v22, s0, v22, 16
	s_xor_b32 s0, s0, -1
	v_add_nc_u32_e32 v21, 0x80, v21
	v_add_nc_u32_e32 v20, 64, v20
	s_and_b32 s0, exec_lo, s0
	s_delay_alu instid0(SALU_CYCLE_1) | instskip(NEXT) | instid1(SALU_CYCLE_1)
	s_or_b32 s23, s0, s23
	s_and_not1_b32 exec_lo, exec_lo, s23
	s_cbranch_execz .LBB181_45
.LBB181_32:                             ; =>This Inner Loop Header: Depth=1
	ds_load_b32 v4, v20
	s_mov_b32 s0, exec_lo
	s_wait_dscnt 0x0
	v_cmpx_gt_i32_e64 s3, v4
	s_cbranch_execz .LBB181_31
; %bb.33:                               ;   in Loop: Header=BB181_32 Depth=1
	ds_load_b128 v[6:9], v23
	ds_load_b128 v[10:13], v23 offset:16
	s_wait_dscnt 0x1
	v_cmp_gt_i32_e32 vcc_lo, v4, v6
	v_cndmask_b32_e64 v2, 0, 1, vcc_lo
	v_cmp_gt_i32_e32 vcc_lo, v4, v7
	s_delay_alu instid0(VALU_DEP_2) | instskip(SKIP_2) | instid1(VALU_DEP_3)
	v_lshlrev_b32_e32 v2, 3, v2
	v_cndmask_b32_e64 v5, 0, 1, vcc_lo
	v_cmp_gt_i32_e32 vcc_lo, v4, v8
	v_add_nc_u64_e32 v[6:7], v[0:1], v[2:3]
	s_delay_alu instid0(VALU_DEP_3) | instskip(SKIP_2) | instid1(VALU_DEP_3)
	v_lshlrev_b32_e32 v2, 3, v5
	v_cndmask_b32_e64 v5, 0, 1, vcc_lo
	v_cmp_gt_i32_e32 vcc_lo, v4, v9
	v_add_nc_u64_e32 v[6:7], v[6:7], v[2:3]
	s_delay_alu instid0(VALU_DEP_3) | instskip(SKIP_3) | instid1(VALU_DEP_3)
	v_lshlrev_b32_e32 v2, 3, v5
	v_cndmask_b32_e64 v5, 0, 1, vcc_lo
	s_wait_dscnt 0x0
	v_cmp_gt_i32_e32 vcc_lo, v4, v10
	v_add_nc_u64_e32 v[6:7], v[6:7], v[2:3]
	s_delay_alu instid0(VALU_DEP_3) | instskip(SKIP_2) | instid1(VALU_DEP_3)
	v_lshlrev_b32_e32 v2, 3, v5
	v_cndmask_b32_e64 v5, 0, 1, vcc_lo
	v_cmp_gt_i32_e32 vcc_lo, v4, v11
	v_add_nc_u64_e32 v[14:15], v[6:7], v[2:3]
	ds_load_b128 v[6:9], v23 offset:32
	v_lshlrev_b32_e32 v2, 3, v5
	v_cndmask_b32_e64 v5, 0, 1, vcc_lo
	v_cmp_gt_i32_e32 vcc_lo, v4, v12
	s_delay_alu instid0(VALU_DEP_3) | instskip(NEXT) | instid1(VALU_DEP_3)
	v_add_nc_u64_e32 v[10:11], v[14:15], v[2:3]
	v_lshlrev_b32_e32 v2, 3, v5
	v_cndmask_b32_e64 v5, 0, 1, vcc_lo
	v_cmp_gt_i32_e32 vcc_lo, v4, v13
	s_delay_alu instid0(VALU_DEP_3) | instskip(NEXT) | instid1(VALU_DEP_3)
	v_add_nc_u64_e32 v[10:11], v[10:11], v[2:3]
	v_lshlrev_b32_e32 v2, 3, v5
	v_cndmask_b32_e64 v5, 0, 1, vcc_lo
	s_delay_alu instid0(VALU_DEP_2)
	v_add_nc_u64_e32 v[14:15], v[10:11], v[2:3]
	ds_load_b128 v[10:13], v23 offset:48
	s_wait_dscnt 0x1
	v_cmp_gt_i32_e32 vcc_lo, v4, v6
	v_lshlrev_b32_e32 v2, 3, v5
	v_cndmask_b32_e64 v5, 0, 1, vcc_lo
	v_cmp_gt_i32_e32 vcc_lo, v4, v7
	s_delay_alu instid0(VALU_DEP_3) | instskip(NEXT) | instid1(VALU_DEP_3)
	v_add_nc_u64_e32 v[14:15], v[14:15], v[2:3]
	v_lshlrev_b32_e32 v2, 3, v5
	v_cndmask_b32_e64 v5, 0, 1, vcc_lo
	v_cmp_gt_i32_e32 vcc_lo, v4, v8
	s_delay_alu instid0(VALU_DEP_3) | instskip(NEXT) | instid1(VALU_DEP_3)
	v_add_nc_u64_e32 v[6:7], v[14:15], v[2:3]
	;; [unrolled: 5-line block ×3, first 2 shown]
	v_lshlrev_b32_e32 v2, 3, v5
	v_cndmask_b32_e64 v5, 0, 1, vcc_lo
	s_wait_dscnt 0x0
	v_cmp_gt_i32_e32 vcc_lo, v4, v10
	s_delay_alu instid0(VALU_DEP_3) | instskip(NEXT) | instid1(VALU_DEP_3)
	v_add_nc_u64_e32 v[6:7], v[6:7], v[2:3]
	v_lshlrev_b32_e32 v2, 3, v5
	v_cndmask_b32_e64 v5, 0, 1, vcc_lo
	v_cmp_gt_i32_e32 vcc_lo, v4, v11
	s_delay_alu instid0(VALU_DEP_3) | instskip(SKIP_4) | instid1(VALU_DEP_3)
	v_add_nc_u64_e32 v[14:15], v[6:7], v[2:3]
	ds_load_b128 v[6:9], v23 offset:64
	v_lshlrev_b32_e32 v2, 3, v5
	v_cndmask_b32_e64 v5, 0, 1, vcc_lo
	v_cmp_gt_i32_e32 vcc_lo, v4, v12
	v_add_nc_u64_e32 v[10:11], v[14:15], v[2:3]
	s_delay_alu instid0(VALU_DEP_3) | instskip(SKIP_2) | instid1(VALU_DEP_3)
	v_lshlrev_b32_e32 v2, 3, v5
	v_cndmask_b32_e64 v5, 0, 1, vcc_lo
	v_cmp_gt_i32_e32 vcc_lo, v4, v13
	v_add_nc_u64_e32 v[10:11], v[10:11], v[2:3]
	s_delay_alu instid0(VALU_DEP_3) | instskip(SKIP_1) | instid1(VALU_DEP_2)
	v_lshlrev_b32_e32 v2, 3, v5
	v_cndmask_b32_e64 v5, 0, 1, vcc_lo
	v_add_nc_u64_e32 v[14:15], v[10:11], v[2:3]
	ds_load_b128 v[10:13], v23 offset:80
	s_wait_dscnt 0x1
	v_cmp_gt_i32_e32 vcc_lo, v4, v6
	v_lshlrev_b32_e32 v2, 3, v5
	v_cndmask_b32_e64 v5, 0, 1, vcc_lo
	v_cmp_gt_i32_e32 vcc_lo, v4, v7
	s_delay_alu instid0(VALU_DEP_3) | instskip(NEXT) | instid1(VALU_DEP_3)
	v_add_nc_u64_e32 v[14:15], v[14:15], v[2:3]
	v_lshlrev_b32_e32 v2, 3, v5
	v_cndmask_b32_e64 v5, 0, 1, vcc_lo
	v_cmp_gt_i32_e32 vcc_lo, v4, v8
	s_delay_alu instid0(VALU_DEP_3) | instskip(NEXT) | instid1(VALU_DEP_3)
	v_add_nc_u64_e32 v[6:7], v[14:15], v[2:3]
	;; [unrolled: 5-line block ×3, first 2 shown]
	v_lshlrev_b32_e32 v2, 3, v5
	v_cndmask_b32_e64 v5, 0, 1, vcc_lo
	s_wait_dscnt 0x0
	v_cmp_gt_i32_e32 vcc_lo, v4, v10
	s_delay_alu instid0(VALU_DEP_3) | instskip(NEXT) | instid1(VALU_DEP_3)
	v_add_nc_u64_e32 v[6:7], v[6:7], v[2:3]
	v_lshlrev_b32_e32 v2, 3, v5
	v_cndmask_b32_e64 v5, 0, 1, vcc_lo
	v_cmp_gt_i32_e32 vcc_lo, v4, v11
	s_delay_alu instid0(VALU_DEP_3) | instskip(SKIP_4) | instid1(VALU_DEP_3)
	v_add_nc_u64_e32 v[14:15], v[6:7], v[2:3]
	ds_load_b128 v[6:9], v23 offset:96
	v_lshlrev_b32_e32 v2, 3, v5
	v_cndmask_b32_e64 v5, 0, 1, vcc_lo
	v_cmp_gt_i32_e32 vcc_lo, v4, v12
	v_add_nc_u64_e32 v[10:11], v[14:15], v[2:3]
	s_delay_alu instid0(VALU_DEP_3) | instskip(SKIP_2) | instid1(VALU_DEP_3)
	v_lshlrev_b32_e32 v2, 3, v5
	v_cndmask_b32_e64 v5, 0, 1, vcc_lo
	v_cmp_gt_i32_e32 vcc_lo, v4, v13
	v_add_nc_u64_e32 v[10:11], v[10:11], v[2:3]
	s_delay_alu instid0(VALU_DEP_3) | instskip(SKIP_1) | instid1(VALU_DEP_2)
	v_lshlrev_b32_e32 v2, 3, v5
	v_cndmask_b32_e64 v5, 0, 1, vcc_lo
	v_add_nc_u64_e32 v[14:15], v[10:11], v[2:3]
	ds_load_b128 v[10:13], v23 offset:112
	s_wait_dscnt 0x1
	v_cmp_gt_i32_e32 vcc_lo, v4, v6
	v_lshlrev_b32_e32 v2, 3, v5
	v_cndmask_b32_e64 v5, 0, 1, vcc_lo
	v_cmp_gt_i32_e32 vcc_lo, v4, v7
	s_delay_alu instid0(VALU_DEP_3) | instskip(NEXT) | instid1(VALU_DEP_3)
	v_add_nc_u64_e32 v[14:15], v[14:15], v[2:3]
	v_lshlrev_b32_e32 v2, 3, v5
	v_cndmask_b32_e64 v5, 0, 1, vcc_lo
	v_cmp_gt_i32_e32 vcc_lo, v4, v8
	s_delay_alu instid0(VALU_DEP_3) | instskip(NEXT) | instid1(VALU_DEP_3)
	v_add_nc_u64_e32 v[6:7], v[14:15], v[2:3]
	v_lshlrev_b32_e32 v2, 3, v5
	v_cndmask_b32_e64 v5, 0, 1, vcc_lo
	v_cmp_gt_i32_e32 vcc_lo, v4, v9
	ds_load_b64 v[8:9], v21
	v_add_nc_u64_e32 v[6:7], v[6:7], v[2:3]
	v_lshlrev_b32_e32 v2, 3, v5
	v_cndmask_b32_e64 v5, 0, 1, vcc_lo
	s_wait_dscnt 0x1
	v_cmp_gt_i32_e32 vcc_lo, v4, v10
	s_delay_alu instid0(VALU_DEP_3) | instskip(NEXT) | instid1(VALU_DEP_3)
	v_add_nc_u64_e32 v[6:7], v[6:7], v[2:3]
	v_lshlrev_b32_e32 v2, 3, v5
	v_cndmask_b32_e64 v5, 0, 1, vcc_lo
	v_cmp_gt_i32_e32 vcc_lo, v4, v11
	s_delay_alu instid0(VALU_DEP_3) | instskip(NEXT) | instid1(VALU_DEP_3)
	v_add_nc_u64_e32 v[6:7], v[6:7], v[2:3]
	v_lshlrev_b32_e32 v2, 3, v5
	v_cndmask_b32_e64 v5, 0, 1, vcc_lo
	;; [unrolled: 5-line block ×4, first 2 shown]
	s_delay_alu instid0(VALU_DEP_2) | instskip(NEXT) | instid1(VALU_DEP_2)
	v_add_nc_u64_e32 v[4:5], v[6:7], v[2:3]
	v_lshlrev_b32_e32 v2, 3, v10
	s_delay_alu instid0(VALU_DEP_1)
	v_add_nc_u64_e32 v[4:5], v[4:5], v[2:3]
	s_wait_dscnt 0x0
	global_store_b64 v[4:5], v[8:9], off
	s_branch .LBB181_31
.LBB181_34:                             ;   in Loop: Header=BB181_36 Depth=1
	s_or_b32 exec_lo, exec_lo, s4
.LBB181_35:                             ;   in Loop: Header=BB181_36 Depth=1
	s_delay_alu instid0(SALU_CYCLE_1) | instskip(SKIP_4) | instid1(VALU_DEP_1)
	s_or_b32 exec_lo, exec_lo, s2
	s_wait_loadcnt 0x0
	v_mul_f64_e32 v[8:9], v[4:5], v[8:9]
	v_lshl_add_u32 v10, v10, 3, v24
	v_add_nc_u64_e32 v[2:3], 16, v[2:3]
	v_cmp_ge_i64_e32 vcc_lo, v[2:3], v[0:1]
	s_or_b32 s1, vcc_lo, s1
	ds_add_f64 v10, v[8:9]
	s_and_not1_b32 exec_lo, exec_lo, s1
	s_cbranch_execz .LBB181_29
.LBB181_36:                             ; =>This Loop Header: Depth=1
                                        ;     Child Loop BB181_39 Depth 2
	v_lshl_add_u64 v[8:9], v[2:3], 2, s[6:7]
	s_mov_b32 s2, exec_lo
	global_load_b32 v10, v[8:9], off
	s_wait_xcnt 0x0
	v_lshl_add_u64 v[8:9], v[2:3], 3, s[8:9]
	global_load_b64 v[8:9], v[8:9], off
	s_wait_loadcnt 0x1
	v_subrev_nc_u32_e32 v11, s23, v10
	s_delay_alu instid0(VALU_DEP_1) | instskip(NEXT) | instid1(VALU_DEP_1)
	v_lshl_add_u32 v10, v11, 3, v11
	v_and_b32_e32 v10, 31, v10
	s_delay_alu instid0(VALU_DEP_1)
	v_lshl_add_u32 v12, v10, 2, v23
	ds_load_b32 v13, v12
	s_wait_dscnt 0x0
	s_wait_xcnt 0x0
	v_cmpx_ne_u32_e64 v13, v11
	s_cbranch_execz .LBB181_35
; %bb.37:                               ;   in Loop: Header=BB181_36 Depth=1
	s_mov_b32 s4, 0
	s_branch .LBB181_39
.LBB181_38:                             ;   in Loop: Header=BB181_39 Depth=2
	s_or_b32 exec_lo, exec_lo, s13
	s_delay_alu instid0(SALU_CYCLE_1) | instskip(NEXT) | instid1(SALU_CYCLE_1)
	s_and_b32 s5, exec_lo, s12
	s_or_b32 s4, s5, s4
	s_delay_alu instid0(SALU_CYCLE_1)
	s_and_not1_b32 exec_lo, exec_lo, s4
	s_cbranch_execz .LBB181_34
.LBB181_39:                             ;   Parent Loop BB181_36 Depth=1
                                        ; =>  This Inner Loop Header: Depth=2
	s_mov_b32 s5, 0
	s_mov_b32 s12, exec_lo
	v_cmpx_ne_u32_e64 s3, v13
	s_xor_b32 s12, exec_lo, s12
	s_cbranch_execz .LBB181_41
; %bb.40:                               ;   in Loop: Header=BB181_39 Depth=2
	v_add_nc_u32_e32 v10, 1, v10
	s_mov_b32 s5, exec_lo
                                        ; implicit-def: $vgpr12
	s_delay_alu instid0(VALU_DEP_1)
	v_and_b32_e32 v10, 31, v10
	s_and_not1_saveexec_b32 s12, s12
	s_cbranch_execz .LBB181_43
	s_branch .LBB181_42
.LBB181_41:                             ;   in Loop: Header=BB181_39 Depth=2
	s_and_not1_saveexec_b32 s12, s12
	s_cbranch_execz .LBB181_43
.LBB181_42:                             ;   in Loop: Header=BB181_39 Depth=2
	v_mov_b32_e32 v13, s3
	s_and_not1_b32 s5, s5, exec_lo
	ds_cmpstore_rtn_b32 v12, v12, v11, v13
	s_wait_dscnt 0x0
	v_cmp_ne_u32_e32 vcc_lo, s3, v12
	s_and_b32 s13, vcc_lo, exec_lo
	s_delay_alu instid0(SALU_CYCLE_1)
	s_or_b32 s5, s5, s13
.LBB181_43:                             ;   in Loop: Header=BB181_39 Depth=2
	s_or_b32 exec_lo, exec_lo, s12
	s_mov_b32 s12, -1
                                        ; implicit-def: $vgpr12
                                        ; implicit-def: $vgpr13
	s_and_saveexec_b32 s13, s5
	s_cbranch_execz .LBB181_38
; %bb.44:                               ;   in Loop: Header=BB181_39 Depth=2
	v_lshl_add_u32 v12, v10, 2, v23
	ds_load_b32 v13, v12
	s_wait_dscnt 0x0
	v_cmp_eq_u32_e32 vcc_lo, v13, v11
	s_or_not1_b32 s12, vcc_lo, exec_lo
	s_branch .LBB181_38
.LBB181_45:
	s_endpgm
	.section	.rodata,"a",@progbits
	.p2align	6, 0x0
	.amdhsa_kernel _ZN9rocsparseL38csrgemm_numeric_fill_wf_per_row_kernelILj256ELj16ELj32ELj137ElidEEvT4_S1_PKS1_S3_NS_24const_host_device_scalarIT5_EEPKT3_S3_PKS5_S9_S3_SB_S6_S9_S3_SB_S9_S3_PS5_21rocsparse_index_base_SD_SD_SD_bbb
		.amdhsa_group_segment_fixed_size 6144
		.amdhsa_private_segment_fixed_size 0
		.amdhsa_kernarg_size 156
		.amdhsa_user_sgpr_count 2
		.amdhsa_user_sgpr_dispatch_ptr 0
		.amdhsa_user_sgpr_queue_ptr 0
		.amdhsa_user_sgpr_kernarg_segment_ptr 1
		.amdhsa_user_sgpr_dispatch_id 0
		.amdhsa_user_sgpr_kernarg_preload_length 0
		.amdhsa_user_sgpr_kernarg_preload_offset 0
		.amdhsa_user_sgpr_private_segment_size 0
		.amdhsa_wavefront_size32 1
		.amdhsa_uses_dynamic_stack 0
		.amdhsa_enable_private_segment 0
		.amdhsa_system_sgpr_workgroup_id_x 1
		.amdhsa_system_sgpr_workgroup_id_y 0
		.amdhsa_system_sgpr_workgroup_id_z 0
		.amdhsa_system_sgpr_workgroup_info 0
		.amdhsa_system_vgpr_workitem_id 0
		.amdhsa_next_free_vgpr 28
		.amdhsa_next_free_sgpr 38
		.amdhsa_named_barrier_count 0
		.amdhsa_reserve_vcc 1
		.amdhsa_float_round_mode_32 0
		.amdhsa_float_round_mode_16_64 0
		.amdhsa_float_denorm_mode_32 3
		.amdhsa_float_denorm_mode_16_64 3
		.amdhsa_fp16_overflow 0
		.amdhsa_memory_ordered 1
		.amdhsa_forward_progress 1
		.amdhsa_inst_pref_size 21
		.amdhsa_round_robin_scheduling 0
		.amdhsa_exception_fp_ieee_invalid_op 0
		.amdhsa_exception_fp_denorm_src 0
		.amdhsa_exception_fp_ieee_div_zero 0
		.amdhsa_exception_fp_ieee_overflow 0
		.amdhsa_exception_fp_ieee_underflow 0
		.amdhsa_exception_fp_ieee_inexact 0
		.amdhsa_exception_int_div_zero 0
	.end_amdhsa_kernel
	.section	.text._ZN9rocsparseL38csrgemm_numeric_fill_wf_per_row_kernelILj256ELj16ELj32ELj137ElidEEvT4_S1_PKS1_S3_NS_24const_host_device_scalarIT5_EEPKT3_S3_PKS5_S9_S3_SB_S6_S9_S3_SB_S9_S3_PS5_21rocsparse_index_base_SD_SD_SD_bbb,"axG",@progbits,_ZN9rocsparseL38csrgemm_numeric_fill_wf_per_row_kernelILj256ELj16ELj32ELj137ElidEEvT4_S1_PKS1_S3_NS_24const_host_device_scalarIT5_EEPKT3_S3_PKS5_S9_S3_SB_S6_S9_S3_SB_S9_S3_PS5_21rocsparse_index_base_SD_SD_SD_bbb,comdat
.Lfunc_end181:
	.size	_ZN9rocsparseL38csrgemm_numeric_fill_wf_per_row_kernelILj256ELj16ELj32ELj137ElidEEvT4_S1_PKS1_S3_NS_24const_host_device_scalarIT5_EEPKT3_S3_PKS5_S9_S3_SB_S6_S9_S3_SB_S9_S3_PS5_21rocsparse_index_base_SD_SD_SD_bbb, .Lfunc_end181-_ZN9rocsparseL38csrgemm_numeric_fill_wf_per_row_kernelILj256ELj16ELj32ELj137ElidEEvT4_S1_PKS1_S3_NS_24const_host_device_scalarIT5_EEPKT3_S3_PKS5_S9_S3_SB_S6_S9_S3_SB_S9_S3_PS5_21rocsparse_index_base_SD_SD_SD_bbb
                                        ; -- End function
	.set _ZN9rocsparseL38csrgemm_numeric_fill_wf_per_row_kernelILj256ELj16ELj32ELj137ElidEEvT4_S1_PKS1_S3_NS_24const_host_device_scalarIT5_EEPKT3_S3_PKS5_S9_S3_SB_S6_S9_S3_SB_S9_S3_PS5_21rocsparse_index_base_SD_SD_SD_bbb.num_vgpr, 28
	.set _ZN9rocsparseL38csrgemm_numeric_fill_wf_per_row_kernelILj256ELj16ELj32ELj137ElidEEvT4_S1_PKS1_S3_NS_24const_host_device_scalarIT5_EEPKT3_S3_PKS5_S9_S3_SB_S6_S9_S3_SB_S9_S3_PS5_21rocsparse_index_base_SD_SD_SD_bbb.num_agpr, 0
	.set _ZN9rocsparseL38csrgemm_numeric_fill_wf_per_row_kernelILj256ELj16ELj32ELj137ElidEEvT4_S1_PKS1_S3_NS_24const_host_device_scalarIT5_EEPKT3_S3_PKS5_S9_S3_SB_S6_S9_S3_SB_S9_S3_PS5_21rocsparse_index_base_SD_SD_SD_bbb.numbered_sgpr, 38
	.set _ZN9rocsparseL38csrgemm_numeric_fill_wf_per_row_kernelILj256ELj16ELj32ELj137ElidEEvT4_S1_PKS1_S3_NS_24const_host_device_scalarIT5_EEPKT3_S3_PKS5_S9_S3_SB_S6_S9_S3_SB_S9_S3_PS5_21rocsparse_index_base_SD_SD_SD_bbb.num_named_barrier, 0
	.set _ZN9rocsparseL38csrgemm_numeric_fill_wf_per_row_kernelILj256ELj16ELj32ELj137ElidEEvT4_S1_PKS1_S3_NS_24const_host_device_scalarIT5_EEPKT3_S3_PKS5_S9_S3_SB_S6_S9_S3_SB_S9_S3_PS5_21rocsparse_index_base_SD_SD_SD_bbb.private_seg_size, 0
	.set _ZN9rocsparseL38csrgemm_numeric_fill_wf_per_row_kernelILj256ELj16ELj32ELj137ElidEEvT4_S1_PKS1_S3_NS_24const_host_device_scalarIT5_EEPKT3_S3_PKS5_S9_S3_SB_S6_S9_S3_SB_S9_S3_PS5_21rocsparse_index_base_SD_SD_SD_bbb.uses_vcc, 1
	.set _ZN9rocsparseL38csrgemm_numeric_fill_wf_per_row_kernelILj256ELj16ELj32ELj137ElidEEvT4_S1_PKS1_S3_NS_24const_host_device_scalarIT5_EEPKT3_S3_PKS5_S9_S3_SB_S6_S9_S3_SB_S9_S3_PS5_21rocsparse_index_base_SD_SD_SD_bbb.uses_flat_scratch, 0
	.set _ZN9rocsparseL38csrgemm_numeric_fill_wf_per_row_kernelILj256ELj16ELj32ELj137ElidEEvT4_S1_PKS1_S3_NS_24const_host_device_scalarIT5_EEPKT3_S3_PKS5_S9_S3_SB_S6_S9_S3_SB_S9_S3_PS5_21rocsparse_index_base_SD_SD_SD_bbb.has_dyn_sized_stack, 0
	.set _ZN9rocsparseL38csrgemm_numeric_fill_wf_per_row_kernelILj256ELj16ELj32ELj137ElidEEvT4_S1_PKS1_S3_NS_24const_host_device_scalarIT5_EEPKT3_S3_PKS5_S9_S3_SB_S6_S9_S3_SB_S9_S3_PS5_21rocsparse_index_base_SD_SD_SD_bbb.has_recursion, 0
	.set _ZN9rocsparseL38csrgemm_numeric_fill_wf_per_row_kernelILj256ELj16ELj32ELj137ElidEEvT4_S1_PKS1_S3_NS_24const_host_device_scalarIT5_EEPKT3_S3_PKS5_S9_S3_SB_S6_S9_S3_SB_S9_S3_PS5_21rocsparse_index_base_SD_SD_SD_bbb.has_indirect_call, 0
	.section	.AMDGPU.csdata,"",@progbits
; Kernel info:
; codeLenInByte = 2616
; TotalNumSgprs: 40
; NumVgprs: 28
; ScratchSize: 0
; MemoryBound: 0
; FloatMode: 240
; IeeeMode: 1
; LDSByteSize: 6144 bytes/workgroup (compile time only)
; SGPRBlocks: 0
; VGPRBlocks: 1
; NumSGPRsForWavesPerEU: 40
; NumVGPRsForWavesPerEU: 28
; NamedBarCnt: 0
; Occupancy: 16
; WaveLimiterHint : 1
; COMPUTE_PGM_RSRC2:SCRATCH_EN: 0
; COMPUTE_PGM_RSRC2:USER_SGPR: 2
; COMPUTE_PGM_RSRC2:TRAP_HANDLER: 0
; COMPUTE_PGM_RSRC2:TGID_X_EN: 1
; COMPUTE_PGM_RSRC2:TGID_Y_EN: 0
; COMPUTE_PGM_RSRC2:TGID_Z_EN: 0
; COMPUTE_PGM_RSRC2:TIDIG_COMP_CNT: 0
	.section	.text._ZN9rocsparseL41csrgemm_numeric_fill_block_per_row_kernelILj128ELj16ELj256ELj137ELj32ElidEEvT5_PKS1_S3_NS_24const_host_device_scalarIT6_EEPKT4_S3_PKS5_S9_S3_SB_S6_S9_S3_SB_S9_S3_PS5_21rocsparse_index_base_SD_SD_SD_bbb,"axG",@progbits,_ZN9rocsparseL41csrgemm_numeric_fill_block_per_row_kernelILj128ELj16ELj256ELj137ELj32ElidEEvT5_PKS1_S3_NS_24const_host_device_scalarIT6_EEPKT4_S3_PKS5_S9_S3_SB_S6_S9_S3_SB_S9_S3_PS5_21rocsparse_index_base_SD_SD_SD_bbb,comdat
	.globl	_ZN9rocsparseL41csrgemm_numeric_fill_block_per_row_kernelILj128ELj16ELj256ELj137ELj32ElidEEvT5_PKS1_S3_NS_24const_host_device_scalarIT6_EEPKT4_S3_PKS5_S9_S3_SB_S6_S9_S3_SB_S9_S3_PS5_21rocsparse_index_base_SD_SD_SD_bbb ; -- Begin function _ZN9rocsparseL41csrgemm_numeric_fill_block_per_row_kernelILj128ELj16ELj256ELj137ELj32ElidEEvT5_PKS1_S3_NS_24const_host_device_scalarIT6_EEPKT4_S3_PKS5_S9_S3_SB_S6_S9_S3_SB_S9_S3_PS5_21rocsparse_index_base_SD_SD_SD_bbb
	.p2align	8
	.type	_ZN9rocsparseL41csrgemm_numeric_fill_block_per_row_kernelILj128ELj16ELj256ELj137ELj32ElidEEvT5_PKS1_S3_NS_24const_host_device_scalarIT6_EEPKT4_S3_PKS5_S9_S3_SB_S6_S9_S3_SB_S9_S3_PS5_21rocsparse_index_base_SD_SD_SD_bbb,@function
_ZN9rocsparseL41csrgemm_numeric_fill_block_per_row_kernelILj128ELj16ELj256ELj137ELj32ElidEEvT5_PKS1_S3_NS_24const_host_device_scalarIT6_EEPKT4_S3_PKS5_S9_S3_SB_S6_S9_S3_SB_S9_S3_PS5_21rocsparse_index_base_SD_SD_SD_bbb: ; @_ZN9rocsparseL41csrgemm_numeric_fill_block_per_row_kernelILj128ELj16ELj256ELj137ELj32ElidEEvT5_PKS1_S3_NS_24const_host_device_scalarIT6_EEPKT4_S3_PKS5_S9_S3_SB_S6_S9_S3_SB_S9_S3_PS5_21rocsparse_index_base_SD_SD_SD_bbb
; %bb.0:
	s_clause 0x2
	s_load_b32 s6, s[0:1], 0x98
	s_load_b64 s[4:5], s[0:1], 0x18
	s_load_b64 s[2:3], s[0:1], 0x50
	s_wait_kmcnt 0x0
	s_bitcmp1_b32 s6, 0
	s_cselect_b32 s37, -1, 0
	s_bitcmp1_b32 s6, 16
	s_cselect_b32 s7, -1, 0
	s_xor_b32 s8, s37, -1
	s_delay_alu instid0(SALU_CYCLE_1)
	s_or_b32 s10, s7, s8
	s_and_b32 s8, s37, exec_lo
	s_cselect_b32 s9, s5, 0
	s_cselect_b32 s8, s4, 0
	s_and_b32 vcc_lo, exec_lo, s10
	v_mov_b64_e32 v[4:5], s[8:9]
	s_cbranch_vccnz .LBB182_2
; %bb.1:
	v_mov_b32_e32 v1, 0
	flat_load_b64 v[4:5], v1, s[4:5]
.LBB182_2:
	s_load_b128 s[20:23], s[0:1], 0x88
	s_bitcmp1_b32 s6, 8
	s_cselect_b32 s36, -1, 0
	s_delay_alu instid0(SALU_CYCLE_1) | instskip(NEXT) | instid1(SALU_CYCLE_1)
	s_xor_b32 s4, s36, -1
	s_or_b32 s6, s7, s4
	s_and_b32 s4, s36, exec_lo
	s_cselect_b32 s5, s3, 0
	s_cselect_b32 s4, s2, 0
	s_and_b32 vcc_lo, exec_lo, s6
	v_mov_b64_e32 v[2:3], s[4:5]
	s_cbranch_vccnz .LBB182_4
; %bb.3:
	v_mov_b32_e32 v1, 0
	flat_load_b64 v[2:3], v1, s[2:3]
.LBB182_4:
	s_clause 0x1
	s_load_b128 s[28:31], s[0:1], 0x8
	s_load_b32 s33, s[0:1], 0x0
	v_cmp_gt_u32_e64 s2, 0x100, v0
	v_lshlrev_b32_e32 v20, 3, v0
	v_or_b32_e32 v18, 0xffffff80, v0
	v_lshl_add_u32 v19, v0, 2, 0
	s_and_saveexec_b32 s3, s2
	s_cbranch_execz .LBB182_7
; %bb.5:
	v_mov_b64_e32 v[6:7], 0
	v_add3_u32 v1, v20, 0, 0x400
	v_or_b32_e32 v8, 0xffffff80, v0
	v_lshl_add_u32 v9, v0, 2, 0
	s_wait_kmcnt 0x0
	v_mov_b32_e32 v10, s33
	s_mov_b32 s4, 0
.LBB182_6:                              ; =>This Inner Loop Header: Depth=1
	v_add_co_u32 v8, s5, 0x80, v8
	s_xor_b32 s5, s5, -1
	ds_store_b32 v9, v10
	ds_store_b64 v1, v[6:7]
	v_add_nc_u32_e32 v1, 0x400, v1
	v_add_nc_u32_e32 v9, 0x200, v9
	s_and_b32 s5, exec_lo, s5
	s_delay_alu instid0(SALU_CYCLE_1) | instskip(NEXT) | instid1(SALU_CYCLE_1)
	s_or_b32 s4, s5, s4
	s_and_not1_b32 exec_lo, exec_lo, s4
	s_cbranch_execnz .LBB182_6
.LBB182_7:
	s_or_b32 exec_lo, exec_lo, s3
	s_clause 0x3
	s_load_b64 s[34:35], s[0:1], 0x80
	s_load_b256 s[4:11], s[0:1], 0x58
	s_load_b128 s[24:27], s[0:1], 0x40
	s_load_b256 s[12:19], s[0:1], 0x20
	s_wait_loadcnt_dscnt 0x0
	s_barrier_signal -1
	s_barrier_wait -1
	s_wait_kmcnt 0x0
	s_load_b32 s0, s[28:29], 0x0
	s_bfe_u32 s1, ttmp6, 0x4000c
	s_and_b32 s3, ttmp6, 15
	s_add_co_i32 s1, s1, 1
	s_wait_xcnt 0x0
	s_getreg_b32 s28, hwreg(HW_REG_IB_STS2, 6, 4)
	s_mul_i32 s1, ttmp9, s1
	s_delay_alu instid0(SALU_CYCLE_1)
	s_add_co_i32 s3, s3, s1
	s_cmp_eq_u32 s28, 0
	s_cselect_b32 s1, ttmp9, s3
	s_and_b32 vcc_lo, s37, exec_lo
	s_wait_kmcnt 0x0
	s_add_co_i32 s0, s0, s1
	s_mov_b32 s1, 0
	s_load_b32 s28, s[30:31], s0 offset:0x0 scale_offset
	s_cbranch_vccz .LBB182_25
; %bb.8:
	s_wait_kmcnt 0x0
	s_ashr_i32 s29, s28, 31
	v_dual_mov_b32 v9, 0 :: v_dual_lshrrev_b32 v8, 4, v0
	s_lshl_b64 s[30:31], s[28:29], 3
	s_mov_b32 s0, s20
	s_add_nc_u64 s[12:13], s[12:13], s[30:31]
	s_mov_b32 s3, exec_lo
	s_load_b128 s[40:43], s[12:13], 0x0
	v_sub_nc_u64_e64 v[6:7], v[8:9], s[0:1]
	s_wait_kmcnt 0x0
	s_delay_alu instid0(VALU_DEP_1)
	v_add_nc_u64_e32 v[6:7], s[40:41], v[6:7]
	s_sub_nc_u64 s[0:1], s[42:43], s[0:1]
	s_delay_alu instid0(VALU_DEP_1) | instid1(SALU_CYCLE_1)
	v_cmpx_gt_i64_e64 s[0:1], v[6:7]
	s_cbranch_execz .LBB182_24
; %bb.9:
	v_and_b32_e32 v8, 15, v0
	s_mov_b32 s13, 0
	s_mov_b32 s12, s21
	;; [unrolled: 1-line block ×3, first 2 shown]
	s_delay_alu instid0(VALU_DEP_1)
	v_sub_nc_u64_e64 v[8:9], v[8:9], s[12:13]
	s_branch .LBB182_11
.LBB182_10:                             ;   in Loop: Header=BB182_11 Depth=1
	s_or_b32 exec_lo, exec_lo, s30
	v_add_nc_u64_e32 v[6:7], 8, v[6:7]
	s_delay_alu instid0(VALU_DEP_1) | instskip(SKIP_1) | instid1(SALU_CYCLE_1)
	v_cmp_le_i64_e32 vcc_lo, s[0:1], v[6:7]
	s_or_b32 s29, vcc_lo, s29
	s_and_not1_b32 exec_lo, exec_lo, s29
	s_cbranch_execz .LBB182_24
.LBB182_11:                             ; =>This Loop Header: Depth=1
                                        ;     Child Loop BB182_15 Depth 2
                                        ;       Child Loop BB182_18 Depth 3
	v_lshl_add_u64 v[10:11], v[6:7], 2, s[14:15]
	s_mov_b32 s30, exec_lo
	global_load_b32 v1, v[10:11], off
	s_wait_loadcnt 0x0
	s_wait_xcnt 0x0
	v_subrev_nc_u32_e32 v10, s20, v1
	s_delay_alu instid0(VALU_DEP_1) | instskip(NEXT) | instid1(VALU_DEP_1)
	v_ashrrev_i32_e32 v11, 31, v10
	v_lshl_add_u64 v[10:11], v[10:11], 3, s[18:19]
	global_load_b128 v[12:15], v[10:11], off
	s_wait_loadcnt 0x0
	s_wait_xcnt 0x0
	v_sub_nc_u64_e64 v[10:11], v[14:15], s[12:13]
	v_add_nc_u64_e32 v[12:13], v[12:13], v[8:9]
	s_delay_alu instid0(VALU_DEP_1)
	v_cmpx_lt_i64_e64 v[12:13], v[10:11]
	s_cbranch_execz .LBB182_10
; %bb.12:                               ;   in Loop: Header=BB182_11 Depth=1
	v_lshl_add_u64 v[14:15], v[6:7], 3, s[16:17]
	s_mov_b32 s31, 0
	global_load_b64 v[14:15], v[14:15], off
	s_wait_loadcnt 0x0
	s_wait_xcnt 0x0
	v_mul_f64_e32 v[14:15], v[4:5], v[14:15]
	s_branch .LBB182_15
.LBB182_13:                             ;   in Loop: Header=BB182_15 Depth=2
	s_or_b32 exec_lo, exec_lo, s38
.LBB182_14:                             ;   in Loop: Header=BB182_15 Depth=2
	s_delay_alu instid0(SALU_CYCLE_1) | instskip(SKIP_4) | instid1(VALU_DEP_1)
	s_or_b32 exec_lo, exec_lo, s37
	s_wait_loadcnt 0x0
	v_mul_f64_e32 v[16:17], v[14:15], v[16:17]
	v_lshl_add_u32 v1, v1, 3, 0
	v_add_nc_u64_e32 v[12:13], 16, v[12:13]
	v_cmp_ge_i64_e32 vcc_lo, v[12:13], v[10:11]
	s_or_b32 s31, vcc_lo, s31
	ds_add_f64 v1, v[16:17] offset:1024
	s_and_not1_b32 exec_lo, exec_lo, s31
	s_cbranch_execz .LBB182_10
.LBB182_15:                             ;   Parent Loop BB182_11 Depth=1
                                        ; =>  This Loop Header: Depth=2
                                        ;       Child Loop BB182_18 Depth 3
	v_lshl_add_u64 v[16:17], v[12:13], 2, s[24:25]
	s_mov_b32 s37, exec_lo
	global_load_b32 v1, v[16:17], off
	s_wait_xcnt 0x0
	v_lshl_add_u64 v[16:17], v[12:13], 3, s[26:27]
	global_load_b64 v[16:17], v[16:17], off
	s_wait_loadcnt 0x1
	v_subrev_nc_u32_e32 v21, s21, v1
	s_delay_alu instid0(VALU_DEP_1) | instskip(NEXT) | instid1(VALU_DEP_1)
	v_mul_lo_u32 v1, 0x89, v21
	v_and_b32_e32 v1, 0xff, v1
	s_delay_alu instid0(VALU_DEP_1)
	v_lshl_add_u32 v22, v1, 2, 0
	ds_load_b32 v23, v22
	s_wait_dscnt 0x0
	s_wait_xcnt 0x0
	v_cmpx_ne_u32_e64 v23, v21
	s_cbranch_execz .LBB182_14
; %bb.16:                               ;   in Loop: Header=BB182_15 Depth=2
	s_mov_b32 s38, 0
	s_branch .LBB182_18
.LBB182_17:                             ;   in Loop: Header=BB182_18 Depth=3
	s_or_b32 exec_lo, exec_lo, s41
	s_delay_alu instid0(SALU_CYCLE_1) | instskip(NEXT) | instid1(SALU_CYCLE_1)
	s_and_b32 s39, exec_lo, s40
	s_or_b32 s38, s39, s38
	s_delay_alu instid0(SALU_CYCLE_1)
	s_and_not1_b32 exec_lo, exec_lo, s38
	s_cbranch_execz .LBB182_13
.LBB182_18:                             ;   Parent Loop BB182_11 Depth=1
                                        ;     Parent Loop BB182_15 Depth=2
                                        ; =>    This Inner Loop Header: Depth=3
	s_mov_b32 s39, 0
	s_mov_b32 s40, exec_lo
	v_cmpx_ne_u32_e64 s33, v23
	s_xor_b32 s40, exec_lo, s40
	s_cbranch_execz .LBB182_20
; %bb.19:                               ;   in Loop: Header=BB182_18 Depth=3
	v_add_nc_u32_e32 v1, 1, v1
	s_mov_b32 s39, exec_lo
                                        ; implicit-def: $vgpr22
	s_delay_alu instid0(VALU_DEP_1)
	v_and_b32_e32 v1, 0xff, v1
	s_and_not1_saveexec_b32 s40, s40
	s_cbranch_execz .LBB182_22
	s_branch .LBB182_21
.LBB182_20:                             ;   in Loop: Header=BB182_18 Depth=3
	s_and_not1_saveexec_b32 s40, s40
	s_cbranch_execz .LBB182_22
.LBB182_21:                             ;   in Loop: Header=BB182_18 Depth=3
	v_mov_b32_e32 v23, s33
	s_and_not1_b32 s39, s39, exec_lo
	ds_cmpstore_rtn_b32 v22, v22, v21, v23
	s_wait_dscnt 0x0
	v_cmp_ne_u32_e32 vcc_lo, s33, v22
	s_and_b32 s41, vcc_lo, exec_lo
	s_delay_alu instid0(SALU_CYCLE_1)
	s_or_b32 s39, s39, s41
.LBB182_22:                             ;   in Loop: Header=BB182_18 Depth=3
	s_or_b32 exec_lo, exec_lo, s40
	s_mov_b32 s40, -1
                                        ; implicit-def: $vgpr22
                                        ; implicit-def: $vgpr23
	s_and_saveexec_b32 s41, s39
	s_cbranch_execz .LBB182_17
; %bb.23:                               ;   in Loop: Header=BB182_18 Depth=3
	v_lshl_add_u32 v22, v1, 2, 0
	ds_load_b32 v23, v22
	s_wait_dscnt 0x0
	v_cmp_eq_u32_e32 vcc_lo, v23, v21
	s_or_not1_b32 s40, vcc_lo, exec_lo
	s_branch .LBB182_17
.LBB182_24:
	s_or_b32 exec_lo, exec_lo, s3
.LBB182_25:
	s_delay_alu instid0(SALU_CYCLE_1)
	s_and_not1_b32 vcc_lo, exec_lo, s36
	s_cbranch_vccnz .LBB182_28
; %bb.26:
	s_wait_kmcnt 0x0
	s_ashr_i32 s29, s28, 31
	v_mov_b32_e32 v1, 0
	s_lshl_b64 s[0:1], s[28:29], 3
	s_delay_alu instid0(SALU_CYCLE_1) | instskip(SKIP_4) | instid1(SALU_CYCLE_1)
	s_add_nc_u64 s[0:1], s[4:5], s[0:1]
	s_load_b128 s[12:15], s[0:1], 0x0
	s_wait_xcnt 0x0
	s_mov_b32 s1, 0
	s_mov_b32 s0, s23
	v_sub_nc_u64_e64 v[4:5], v[0:1], s[0:1]
	s_wait_kmcnt 0x0
	s_delay_alu instid0(VALU_DEP_1) | instskip(SKIP_2) | instid1(VALU_DEP_1)
	v_add_nc_u64_e32 v[4:5], s[12:13], v[4:5]
	s_sub_nc_u64 s[4:5], s[14:15], s[0:1]
	s_mov_b32 s0, exec_lo
	v_cmpx_gt_i64_e64 s[4:5], v[4:5]
	s_cbranch_execnz .LBB182_43
.LBB182_27:
	s_or_b32 exec_lo, exec_lo, s0
.LBB182_28:
	s_wait_dscnt 0x0
	s_barrier_signal -1
	s_barrier_wait -1
	s_and_saveexec_b32 s4, s2
	s_cbranch_execz .LBB182_52
; %bb.29:
	v_mbcnt_lo_u32_b32 v2, -1, 0
	v_dual_lshrrev_b32 v3, 3, v0 :: v_dual_mov_b32 v1, 0
	s_wait_xcnt 0x0
	v_cmp_lt_u32_e64 s0, 31, v0
	v_cmp_lt_u32_e64 s1, 63, v0
	s_delay_alu instid0(VALU_DEP_3)
	v_dual_mov_b32 v7, 0 :: v_dual_bitop2_b32 v3, 12, v3 bitop3:0x40
	v_xor_b32_e32 v2, 31, v2
	v_cmp_lt_u32_e64 s2, 0x5f, v0
	v_add3_u32 v6, v20, 0, 0x400
	s_mov_b32 s5, 0
	v_add_nc_u32_e32 v3, 0, v3
	v_lshrrev_b32_e64 v2, v2, -1
	v_cmp_eq_u32_e32 vcc_lo, 0x7f, v0
	s_branch .LBB182_31
.LBB182_30:                             ;   in Loop: Header=BB182_31 Depth=1
	s_or_b32 exec_lo, exec_lo, s3
	s_wait_dscnt 0x0
	s_barrier_signal -1
	s_barrier_wait -1
	ds_load_b32 v4, v1 offset:3084
	v_add_co_u32 v18, s3, 0x80, v18
	s_xor_b32 s3, s3, -1
	v_add_nc_u32_e32 v6, 0x400, v6
	v_add_nc_u32_e32 v19, 0x200, v19
	s_and_b32 s3, exec_lo, s3
	s_delay_alu instid0(SALU_CYCLE_1)
	s_or_b32 s5, s3, s5
	s_wait_dscnt 0x0
	v_add_nc_u32_e32 v7, v4, v7
	s_and_not1_b32 exec_lo, exec_lo, s5
	s_cbranch_execz .LBB182_52
.LBB182_31:                             ; =>This Inner Loop Header: Depth=1
	ds_load_b32 v8, v19
	ds_load_b64 v[4:5], v6
	s_wait_dscnt 0x0
	s_barrier_signal -1
	s_barrier_wait -1
	v_cmp_gt_i32_e64 s3, s33, v8
	s_bcnt1_i32_b32 s6, s3
	s_delay_alu instid0(SALU_CYCLE_1) | instskip(NEXT) | instid1(VALU_DEP_1)
	v_dual_mov_b32 v10, s6 :: v_dual_bitop2_b32 v9, s3, v2 bitop3:0x40
	v_bcnt_u32_b32 v9, v9, 0
	ds_store_b32 v3, v10 offset:3072
	s_wait_dscnt 0x0
	s_barrier_signal -1
	s_barrier_wait -1
	s_and_saveexec_b32 s6, s0
	s_cbranch_execz .LBB182_36
; %bb.32:                               ;   in Loop: Header=BB182_31 Depth=1
	ds_load_b32 v10, v1 offset:3072
	s_wait_dscnt 0x0
	v_add_nc_u32_e32 v9, v10, v9
	s_or_b32 exec_lo, exec_lo, s6
	s_and_saveexec_b32 s6, s1
	s_cbranch_execnz .LBB182_37
.LBB182_33:                             ;   in Loop: Header=BB182_31 Depth=1
	s_or_b32 exec_lo, exec_lo, s6
	s_and_saveexec_b32 s6, s2
	s_cbranch_execz .LBB182_38
.LBB182_34:                             ;   in Loop: Header=BB182_31 Depth=1
	ds_load_b32 v10, v1 offset:3080
	s_wait_dscnt 0x0
	v_add_nc_u32_e32 v9, v10, v9
	s_or_b32 exec_lo, exec_lo, s6
	s_and_saveexec_b32 s6, s3
	s_cbranch_execnz .LBB182_39
.LBB182_35:                             ;   in Loop: Header=BB182_31 Depth=1
	s_or_b32 exec_lo, exec_lo, s6
	s_and_saveexec_b32 s3, vcc_lo
	s_cbranch_execz .LBB182_30
	s_branch .LBB182_40
.LBB182_36:                             ;   in Loop: Header=BB182_31 Depth=1
	s_or_b32 exec_lo, exec_lo, s6
	s_and_saveexec_b32 s6, s1
	s_cbranch_execz .LBB182_33
.LBB182_37:                             ;   in Loop: Header=BB182_31 Depth=1
	ds_load_b32 v10, v1 offset:3076
	s_wait_dscnt 0x0
	v_add_nc_u32_e32 v9, v10, v9
	s_or_b32 exec_lo, exec_lo, s6
	s_and_saveexec_b32 s6, s2
	s_cbranch_execnz .LBB182_34
.LBB182_38:                             ;   in Loop: Header=BB182_31 Depth=1
	s_or_b32 exec_lo, exec_lo, s6
	s_and_saveexec_b32 s6, s3
	s_cbranch_execz .LBB182_35
.LBB182_39:                             ;   in Loop: Header=BB182_31 Depth=1
	s_delay_alu instid0(VALU_DEP_1) | instskip(SKIP_1) | instid1(VALU_DEP_2)
	v_add3_u32 v10, v7, -1, v9
	v_add_nc_u32_e32 v11, v7, v9
	v_lshl_add_u32 v10, v10, 2, 0
	s_delay_alu instid0(VALU_DEP_2)
	v_lshl_add_u32 v11, v11, 3, 0
	ds_store_b32 v10, v8
	ds_store_b64 v11, v[4:5] offset:1016
	s_or_b32 exec_lo, exec_lo, s6
	s_and_saveexec_b32 s3, vcc_lo
	s_cbranch_execz .LBB182_30
.LBB182_40:                             ;   in Loop: Header=BB182_31 Depth=1
	ds_store_b32 v1, v9 offset:3084
	s_branch .LBB182_30
.LBB182_41:                             ;   in Loop: Header=BB182_43 Depth=1
	s_or_b32 exec_lo, exec_lo, s12
.LBB182_42:                             ;   in Loop: Header=BB182_43 Depth=1
	s_delay_alu instid0(SALU_CYCLE_1) | instskip(SKIP_4) | instid1(VALU_DEP_1)
	s_or_b32 exec_lo, exec_lo, s3
	s_wait_loadcnt 0x0
	v_mul_f64_e32 v[6:7], v[2:3], v[6:7]
	v_lshl_add_u32 v1, v1, 3, 0
	v_add_nc_u64_e32 v[4:5], 0x80, v[4:5]
	v_cmp_le_i64_e32 vcc_lo, s[4:5], v[4:5]
	s_or_b32 s1, vcc_lo, s1
	ds_add_f64 v1, v[6:7] offset:1024
	s_and_not1_b32 exec_lo, exec_lo, s1
	s_cbranch_execz .LBB182_27
.LBB182_43:                             ; =>This Loop Header: Depth=1
                                        ;     Child Loop BB182_46 Depth 2
	v_lshl_add_u64 v[6:7], v[4:5], 2, s[6:7]
	s_mov_b32 s3, exec_lo
	global_load_b32 v1, v[6:7], off
	s_wait_xcnt 0x0
	v_lshl_add_u64 v[6:7], v[4:5], 3, s[8:9]
	global_load_b64 v[6:7], v[6:7], off
	s_wait_loadcnt 0x1
	v_subrev_nc_u32_e32 v8, s23, v1
	s_delay_alu instid0(VALU_DEP_1) | instskip(NEXT) | instid1(VALU_DEP_1)
	v_mul_lo_u32 v1, 0x89, v8
	v_and_b32_e32 v1, 0xff, v1
	s_delay_alu instid0(VALU_DEP_1)
	v_lshl_add_u32 v9, v1, 2, 0
	ds_load_b32 v10, v9
	s_wait_dscnt 0x0
	s_wait_xcnt 0x0
	v_cmpx_ne_u32_e64 v10, v8
	s_cbranch_execz .LBB182_42
; %bb.44:                               ;   in Loop: Header=BB182_43 Depth=1
	s_mov_b32 s12, 0
	s_branch .LBB182_46
.LBB182_45:                             ;   in Loop: Header=BB182_46 Depth=2
	s_or_b32 exec_lo, exec_lo, s15
	s_delay_alu instid0(SALU_CYCLE_1) | instskip(NEXT) | instid1(SALU_CYCLE_1)
	s_and_b32 s13, exec_lo, s14
	s_or_b32 s12, s13, s12
	s_delay_alu instid0(SALU_CYCLE_1)
	s_and_not1_b32 exec_lo, exec_lo, s12
	s_cbranch_execz .LBB182_41
.LBB182_46:                             ;   Parent Loop BB182_43 Depth=1
                                        ; =>  This Inner Loop Header: Depth=2
	s_mov_b32 s13, 0
	s_mov_b32 s14, exec_lo
	v_cmpx_ne_u32_e64 s33, v10
	s_xor_b32 s14, exec_lo, s14
	s_cbranch_execz .LBB182_48
; %bb.47:                               ;   in Loop: Header=BB182_46 Depth=2
	v_add_nc_u32_e32 v1, 1, v1
	s_mov_b32 s13, exec_lo
                                        ; implicit-def: $vgpr9
	s_delay_alu instid0(VALU_DEP_1)
	v_and_b32_e32 v1, 0xff, v1
	s_and_not1_saveexec_b32 s14, s14
	s_cbranch_execz .LBB182_50
	s_branch .LBB182_49
.LBB182_48:                             ;   in Loop: Header=BB182_46 Depth=2
	s_and_not1_saveexec_b32 s14, s14
	s_cbranch_execz .LBB182_50
.LBB182_49:                             ;   in Loop: Header=BB182_46 Depth=2
	v_mov_b32_e32 v10, s33
	s_and_not1_b32 s13, s13, exec_lo
	ds_cmpstore_rtn_b32 v9, v9, v8, v10
	s_wait_dscnt 0x0
	v_cmp_ne_u32_e32 vcc_lo, s33, v9
	s_and_b32 s15, vcc_lo, exec_lo
	s_delay_alu instid0(SALU_CYCLE_1)
	s_or_b32 s13, s13, s15
.LBB182_50:                             ;   in Loop: Header=BB182_46 Depth=2
	s_or_b32 exec_lo, exec_lo, s14
	s_mov_b32 s14, -1
                                        ; implicit-def: $vgpr9
                                        ; implicit-def: $vgpr10
	s_and_saveexec_b32 s15, s13
	s_cbranch_execz .LBB182_45
; %bb.51:                               ;   in Loop: Header=BB182_46 Depth=2
	v_lshl_add_u32 v9, v1, 2, 0
	ds_load_b32 v10, v9
	s_wait_dscnt 0x0
	v_cmp_eq_u32_e32 vcc_lo, v10, v8
	s_or_not1_b32 s14, vcc_lo, exec_lo
	s_branch .LBB182_45
.LBB182_52:
	s_or_b32 exec_lo, exec_lo, s4
	s_wait_kmcnt 0x0
	s_ashr_i32 s29, s28, 31
	s_delay_alu instid0(SALU_CYCLE_1) | instskip(NEXT) | instid1(SALU_CYCLE_1)
	s_lshl_b64 s[0:1], s[28:29], 3
	s_add_nc_u64 s[4:5], s[10:11], s[0:1]
	s_load_b128 s[0:3], s[4:5], 0x0
	s_wait_xcnt 0x0
	s_mov_b32 s4, exec_lo
	s_wait_kmcnt 0x0
	s_sub_co_i32 s3, s2, s0
	s_delay_alu instid0(SALU_CYCLE_1)
	v_cmpx_gt_i32_e64 s3, v0
	s_cbranch_execz .LBB182_62
; %bb.53:
	s_sub_co_i32 s4, s0, s2
	s_and_b32 s2, s3, 7
	s_cmp_lt_u32 s4, -7
	s_mov_b32 s23, 0
	s_cselect_b32 s4, -1, 0
	s_and_b32 s5, s3, -8
	s_cmp_lg_u32 s2, 0
	s_sub_nc_u64 s[0:1], s[0:1], s[22:23]
	s_cselect_b32 s6, -1, 0
	s_mov_b32 s7, 0
	s_branch .LBB182_55
.LBB182_54:                             ;   in Loop: Header=BB182_55 Depth=1
	v_add_nc_u32_e32 v0, 0x80, v0
	s_delay_alu instid0(VALU_DEP_2) | instskip(NEXT) | instid1(VALU_DEP_2)
	v_lshl_add_u64 v[4:5], v[4:5], 3, s[34:35]
	v_cmp_le_i32_e32 vcc_lo, s3, v0
	s_wait_dscnt 0x0
	global_store_b64 v[4:5], v[2:3], off
	s_or_b32 s7, vcc_lo, s7
	s_wait_xcnt 0x0
	s_and_not1_b32 exec_lo, exec_lo, s7
	s_cbranch_execz .LBB182_62
.LBB182_55:                             ; =>This Loop Header: Depth=1
                                        ;     Child Loop BB182_57 Depth 2
                                        ;     Child Loop BB182_61 Depth 2
	v_lshlrev_b32_e32 v1, 2, v0
	v_mov_b64_e32 v[4:5], s[0:1]
	s_and_not1_b32 vcc_lo, exec_lo, s4
	s_mov_b32 s8, 0
	s_delay_alu instid0(VALU_DEP_2) | instskip(NEXT) | instid1(VALU_DEP_1)
	v_add_nc_u32_e32 v2, 0, v1
	v_add_nc_u32_e32 v3, v2, v1
	ds_load_b32 v1, v2
	ds_load_b64 v[2:3], v3 offset:1024
	s_cbranch_vccnz .LBB182_59
; %bb.56:                               ;   in Loop: Header=BB182_55 Depth=1
	v_mov_b64_e32 v[4:5], s[0:1]
	s_mov_b32 s9, 0
.LBB182_57:                             ;   Parent Loop BB182_55 Depth=1
                                        ; =>  This Inner Loop Header: Depth=2
	s_delay_alu instid0(SALU_CYCLE_1)
	v_dual_mov_b32 v10, s9 :: v_dual_mov_b32 v11, s23
	v_mov_b32_e32 v17, s23
	s_add_co_i32 s8, s8, 8
	s_add_co_i32 s9, s9, 32
	ds_load_2addr_b32 v[6:7], v10 offset1:1
	ds_load_2addr_b32 v[8:9], v10 offset0:2 offset1:3
	ds_load_2addr_b32 v[12:13], v10 offset0:4 offset1:5
	;; [unrolled: 1-line block ×3, first 2 shown]
	s_cmp_eq_u32 s5, s8
	s_wait_dscnt 0x3
	v_cmp_gt_i32_e32 vcc_lo, v1, v6
	v_cndmask_b32_e64 v10, 0, 1, vcc_lo
	v_cmp_gt_i32_e32 vcc_lo, v1, v7
	v_mov_b32_e32 v7, s23
	s_delay_alu instid0(VALU_DEP_3) | instskip(SKIP_4) | instid1(VALU_DEP_3)
	v_add_nc_u64_e32 v[4:5], v[4:5], v[10:11]
	v_cndmask_b32_e64 v16, 0, 1, vcc_lo
	s_wait_dscnt 0x2
	v_cmp_gt_i32_e32 vcc_lo, v1, v8
	v_cndmask_b32_e64 v6, 0, 1, vcc_lo
	v_add_nc_u64_e32 v[4:5], v[4:5], v[16:17]
	v_cmp_gt_i32_e32 vcc_lo, v1, v9
	v_mov_b32_e32 v9, s23
	v_cndmask_b32_e64 v10, 0, 1, vcc_lo
	s_delay_alu instid0(VALU_DEP_4) | instskip(SKIP_3) | instid1(VALU_DEP_3)
	v_add_nc_u64_e32 v[4:5], v[4:5], v[6:7]
	s_wait_dscnt 0x1
	v_cmp_gt_i32_e32 vcc_lo, v1, v12
	v_cndmask_b32_e64 v6, 0, 1, vcc_lo
	v_add_nc_u64_e32 v[4:5], v[4:5], v[10:11]
	v_cmp_gt_i32_e32 vcc_lo, v1, v13
	v_cndmask_b32_e64 v8, 0, 1, vcc_lo
	s_delay_alu instid0(VALU_DEP_3) | instskip(SKIP_3) | instid1(VALU_DEP_3)
	v_add_nc_u64_e32 v[4:5], v[4:5], v[6:7]
	s_wait_dscnt 0x0
	v_cmp_gt_i32_e32 vcc_lo, v1, v14
	v_cndmask_b32_e64 v6, 0, 1, vcc_lo
	v_add_nc_u64_e32 v[4:5], v[4:5], v[8:9]
	v_cmp_gt_i32_e32 vcc_lo, v1, v15
	v_cndmask_b32_e64 v8, 0, 1, vcc_lo
	s_delay_alu instid0(VALU_DEP_3) | instskip(NEXT) | instid1(VALU_DEP_1)
	v_add_nc_u64_e32 v[4:5], v[4:5], v[6:7]
	v_add_nc_u64_e32 v[4:5], v[4:5], v[8:9]
	s_cbranch_scc0 .LBB182_57
; %bb.58:                               ;   in Loop: Header=BB182_55 Depth=1
	s_mov_b32 s8, s5
.LBB182_59:                             ;   in Loop: Header=BB182_55 Depth=1
	s_and_not1_b32 vcc_lo, exec_lo, s6
	s_cbranch_vccnz .LBB182_54
; %bb.60:                               ;   in Loop: Header=BB182_55 Depth=1
	s_lshl_b32 s8, s8, 2
	s_mov_b32 s9, s2
	s_add_co_i32 s8, s8, 0
.LBB182_61:                             ;   Parent Loop BB182_55 Depth=1
                                        ; =>  This Inner Loop Header: Depth=2
	s_delay_alu instid0(SALU_CYCLE_1)
	v_dual_mov_b32 v6, s8 :: v_dual_mov_b32 v7, s23
	s_add_co_i32 s9, s9, -1
	s_add_co_i32 s8, s8, 4
	s_cmp_lg_u32 s9, 0
	ds_load_b32 v6, v6
	s_wait_dscnt 0x0
	v_cmp_gt_i32_e32 vcc_lo, v1, v6
	v_cndmask_b32_e64 v6, 0, 1, vcc_lo
	s_delay_alu instid0(VALU_DEP_1)
	v_add_nc_u64_e32 v[4:5], v[4:5], v[6:7]
	s_cbranch_scc1 .LBB182_61
	s_branch .LBB182_54
.LBB182_62:
	s_endpgm
	.section	.rodata,"a",@progbits
	.p2align	6, 0x0
	.amdhsa_kernel _ZN9rocsparseL41csrgemm_numeric_fill_block_per_row_kernelILj128ELj16ELj256ELj137ELj32ElidEEvT5_PKS1_S3_NS_24const_host_device_scalarIT6_EEPKT4_S3_PKS5_S9_S3_SB_S6_S9_S3_SB_S9_S3_PS5_21rocsparse_index_base_SD_SD_SD_bbb
		.amdhsa_group_segment_fixed_size 0
		.amdhsa_private_segment_fixed_size 0
		.amdhsa_kernarg_size 156
		.amdhsa_user_sgpr_count 2
		.amdhsa_user_sgpr_dispatch_ptr 0
		.amdhsa_user_sgpr_queue_ptr 0
		.amdhsa_user_sgpr_kernarg_segment_ptr 1
		.amdhsa_user_sgpr_dispatch_id 0
		.amdhsa_user_sgpr_kernarg_preload_length 0
		.amdhsa_user_sgpr_kernarg_preload_offset 0
		.amdhsa_user_sgpr_private_segment_size 0
		.amdhsa_wavefront_size32 1
		.amdhsa_uses_dynamic_stack 0
		.amdhsa_enable_private_segment 0
		.amdhsa_system_sgpr_workgroup_id_x 1
		.amdhsa_system_sgpr_workgroup_id_y 0
		.amdhsa_system_sgpr_workgroup_id_z 0
		.amdhsa_system_sgpr_workgroup_info 0
		.amdhsa_system_vgpr_workitem_id 0
		.amdhsa_next_free_vgpr 24
		.amdhsa_next_free_sgpr 44
		.amdhsa_named_barrier_count 0
		.amdhsa_reserve_vcc 1
		.amdhsa_float_round_mode_32 0
		.amdhsa_float_round_mode_16_64 0
		.amdhsa_float_denorm_mode_32 3
		.amdhsa_float_denorm_mode_16_64 3
		.amdhsa_fp16_overflow 0
		.amdhsa_memory_ordered 1
		.amdhsa_forward_progress 1
		.amdhsa_inst_pref_size 21
		.amdhsa_round_robin_scheduling 0
		.amdhsa_exception_fp_ieee_invalid_op 0
		.amdhsa_exception_fp_denorm_src 0
		.amdhsa_exception_fp_ieee_div_zero 0
		.amdhsa_exception_fp_ieee_overflow 0
		.amdhsa_exception_fp_ieee_underflow 0
		.amdhsa_exception_fp_ieee_inexact 0
		.amdhsa_exception_int_div_zero 0
	.end_amdhsa_kernel
	.section	.text._ZN9rocsparseL41csrgemm_numeric_fill_block_per_row_kernelILj128ELj16ELj256ELj137ELj32ElidEEvT5_PKS1_S3_NS_24const_host_device_scalarIT6_EEPKT4_S3_PKS5_S9_S3_SB_S6_S9_S3_SB_S9_S3_PS5_21rocsparse_index_base_SD_SD_SD_bbb,"axG",@progbits,_ZN9rocsparseL41csrgemm_numeric_fill_block_per_row_kernelILj128ELj16ELj256ELj137ELj32ElidEEvT5_PKS1_S3_NS_24const_host_device_scalarIT6_EEPKT4_S3_PKS5_S9_S3_SB_S6_S9_S3_SB_S9_S3_PS5_21rocsparse_index_base_SD_SD_SD_bbb,comdat
.Lfunc_end182:
	.size	_ZN9rocsparseL41csrgemm_numeric_fill_block_per_row_kernelILj128ELj16ELj256ELj137ELj32ElidEEvT5_PKS1_S3_NS_24const_host_device_scalarIT6_EEPKT4_S3_PKS5_S9_S3_SB_S6_S9_S3_SB_S9_S3_PS5_21rocsparse_index_base_SD_SD_SD_bbb, .Lfunc_end182-_ZN9rocsparseL41csrgemm_numeric_fill_block_per_row_kernelILj128ELj16ELj256ELj137ELj32ElidEEvT5_PKS1_S3_NS_24const_host_device_scalarIT6_EEPKT4_S3_PKS5_S9_S3_SB_S6_S9_S3_SB_S9_S3_PS5_21rocsparse_index_base_SD_SD_SD_bbb
                                        ; -- End function
	.set _ZN9rocsparseL41csrgemm_numeric_fill_block_per_row_kernelILj128ELj16ELj256ELj137ELj32ElidEEvT5_PKS1_S3_NS_24const_host_device_scalarIT6_EEPKT4_S3_PKS5_S9_S3_SB_S6_S9_S3_SB_S9_S3_PS5_21rocsparse_index_base_SD_SD_SD_bbb.num_vgpr, 24
	.set _ZN9rocsparseL41csrgemm_numeric_fill_block_per_row_kernelILj128ELj16ELj256ELj137ELj32ElidEEvT5_PKS1_S3_NS_24const_host_device_scalarIT6_EEPKT4_S3_PKS5_S9_S3_SB_S6_S9_S3_SB_S9_S3_PS5_21rocsparse_index_base_SD_SD_SD_bbb.num_agpr, 0
	.set _ZN9rocsparseL41csrgemm_numeric_fill_block_per_row_kernelILj128ELj16ELj256ELj137ELj32ElidEEvT5_PKS1_S3_NS_24const_host_device_scalarIT6_EEPKT4_S3_PKS5_S9_S3_SB_S6_S9_S3_SB_S9_S3_PS5_21rocsparse_index_base_SD_SD_SD_bbb.numbered_sgpr, 44
	.set _ZN9rocsparseL41csrgemm_numeric_fill_block_per_row_kernelILj128ELj16ELj256ELj137ELj32ElidEEvT5_PKS1_S3_NS_24const_host_device_scalarIT6_EEPKT4_S3_PKS5_S9_S3_SB_S6_S9_S3_SB_S9_S3_PS5_21rocsparse_index_base_SD_SD_SD_bbb.num_named_barrier, 0
	.set _ZN9rocsparseL41csrgemm_numeric_fill_block_per_row_kernelILj128ELj16ELj256ELj137ELj32ElidEEvT5_PKS1_S3_NS_24const_host_device_scalarIT6_EEPKT4_S3_PKS5_S9_S3_SB_S6_S9_S3_SB_S9_S3_PS5_21rocsparse_index_base_SD_SD_SD_bbb.private_seg_size, 0
	.set _ZN9rocsparseL41csrgemm_numeric_fill_block_per_row_kernelILj128ELj16ELj256ELj137ELj32ElidEEvT5_PKS1_S3_NS_24const_host_device_scalarIT6_EEPKT4_S3_PKS5_S9_S3_SB_S6_S9_S3_SB_S9_S3_PS5_21rocsparse_index_base_SD_SD_SD_bbb.uses_vcc, 1
	.set _ZN9rocsparseL41csrgemm_numeric_fill_block_per_row_kernelILj128ELj16ELj256ELj137ELj32ElidEEvT5_PKS1_S3_NS_24const_host_device_scalarIT6_EEPKT4_S3_PKS5_S9_S3_SB_S6_S9_S3_SB_S9_S3_PS5_21rocsparse_index_base_SD_SD_SD_bbb.uses_flat_scratch, 0
	.set _ZN9rocsparseL41csrgemm_numeric_fill_block_per_row_kernelILj128ELj16ELj256ELj137ELj32ElidEEvT5_PKS1_S3_NS_24const_host_device_scalarIT6_EEPKT4_S3_PKS5_S9_S3_SB_S6_S9_S3_SB_S9_S3_PS5_21rocsparse_index_base_SD_SD_SD_bbb.has_dyn_sized_stack, 0
	.set _ZN9rocsparseL41csrgemm_numeric_fill_block_per_row_kernelILj128ELj16ELj256ELj137ELj32ElidEEvT5_PKS1_S3_NS_24const_host_device_scalarIT6_EEPKT4_S3_PKS5_S9_S3_SB_S6_S9_S3_SB_S9_S3_PS5_21rocsparse_index_base_SD_SD_SD_bbb.has_recursion, 0
	.set _ZN9rocsparseL41csrgemm_numeric_fill_block_per_row_kernelILj128ELj16ELj256ELj137ELj32ElidEEvT5_PKS1_S3_NS_24const_host_device_scalarIT6_EEPKT4_S3_PKS5_S9_S3_SB_S6_S9_S3_SB_S9_S3_PS5_21rocsparse_index_base_SD_SD_SD_bbb.has_indirect_call, 0
	.section	.AMDGPU.csdata,"",@progbits
; Kernel info:
; codeLenInByte = 2648
; TotalNumSgprs: 46
; NumVgprs: 24
; ScratchSize: 0
; MemoryBound: 0
; FloatMode: 240
; IeeeMode: 1
; LDSByteSize: 0 bytes/workgroup (compile time only)
; SGPRBlocks: 0
; VGPRBlocks: 1
; NumSGPRsForWavesPerEU: 46
; NumVGPRsForWavesPerEU: 24
; NamedBarCnt: 0
; Occupancy: 16
; WaveLimiterHint : 1
; COMPUTE_PGM_RSRC2:SCRATCH_EN: 0
; COMPUTE_PGM_RSRC2:USER_SGPR: 2
; COMPUTE_PGM_RSRC2:TRAP_HANDLER: 0
; COMPUTE_PGM_RSRC2:TGID_X_EN: 1
; COMPUTE_PGM_RSRC2:TGID_Y_EN: 0
; COMPUTE_PGM_RSRC2:TGID_Z_EN: 0
; COMPUTE_PGM_RSRC2:TIDIG_COMP_CNT: 0
	.section	.text._ZN9rocsparseL41csrgemm_numeric_fill_block_per_row_kernelILj128ELj16ELj256ELj137ELj64ElidEEvT5_PKS1_S3_NS_24const_host_device_scalarIT6_EEPKT4_S3_PKS5_S9_S3_SB_S6_S9_S3_SB_S9_S3_PS5_21rocsparse_index_base_SD_SD_SD_bbb,"axG",@progbits,_ZN9rocsparseL41csrgemm_numeric_fill_block_per_row_kernelILj128ELj16ELj256ELj137ELj64ElidEEvT5_PKS1_S3_NS_24const_host_device_scalarIT6_EEPKT4_S3_PKS5_S9_S3_SB_S6_S9_S3_SB_S9_S3_PS5_21rocsparse_index_base_SD_SD_SD_bbb,comdat
	.globl	_ZN9rocsparseL41csrgemm_numeric_fill_block_per_row_kernelILj128ELj16ELj256ELj137ELj64ElidEEvT5_PKS1_S3_NS_24const_host_device_scalarIT6_EEPKT4_S3_PKS5_S9_S3_SB_S6_S9_S3_SB_S9_S3_PS5_21rocsparse_index_base_SD_SD_SD_bbb ; -- Begin function _ZN9rocsparseL41csrgemm_numeric_fill_block_per_row_kernelILj128ELj16ELj256ELj137ELj64ElidEEvT5_PKS1_S3_NS_24const_host_device_scalarIT6_EEPKT4_S3_PKS5_S9_S3_SB_S6_S9_S3_SB_S9_S3_PS5_21rocsparse_index_base_SD_SD_SD_bbb
	.p2align	8
	.type	_ZN9rocsparseL41csrgemm_numeric_fill_block_per_row_kernelILj128ELj16ELj256ELj137ELj64ElidEEvT5_PKS1_S3_NS_24const_host_device_scalarIT6_EEPKT4_S3_PKS5_S9_S3_SB_S6_S9_S3_SB_S9_S3_PS5_21rocsparse_index_base_SD_SD_SD_bbb,@function
_ZN9rocsparseL41csrgemm_numeric_fill_block_per_row_kernelILj128ELj16ELj256ELj137ELj64ElidEEvT5_PKS1_S3_NS_24const_host_device_scalarIT6_EEPKT4_S3_PKS5_S9_S3_SB_S6_S9_S3_SB_S9_S3_PS5_21rocsparse_index_base_SD_SD_SD_bbb: ; @_ZN9rocsparseL41csrgemm_numeric_fill_block_per_row_kernelILj128ELj16ELj256ELj137ELj64ElidEEvT5_PKS1_S3_NS_24const_host_device_scalarIT6_EEPKT4_S3_PKS5_S9_S3_SB_S6_S9_S3_SB_S9_S3_PS5_21rocsparse_index_base_SD_SD_SD_bbb
; %bb.0:
	s_clause 0x2
	s_load_b32 s6, s[0:1], 0x98
	s_load_b64 s[4:5], s[0:1], 0x18
	s_load_b64 s[2:3], s[0:1], 0x50
	s_wait_kmcnt 0x0
	s_bitcmp1_b32 s6, 0
	s_cselect_b32 s36, -1, 0
	s_bitcmp1_b32 s6, 16
	s_cselect_b32 s7, -1, 0
	s_xor_b32 s8, s36, -1
	s_delay_alu instid0(SALU_CYCLE_1)
	s_or_b32 s10, s7, s8
	s_and_b32 s8, s36, exec_lo
	s_cselect_b32 s9, s5, 0
	s_cselect_b32 s8, s4, 0
	s_and_b32 vcc_lo, exec_lo, s10
	v_mov_b64_e32 v[6:7], s[8:9]
	s_cbranch_vccnz .LBB183_2
; %bb.1:
	v_mov_b32_e32 v1, 0
	flat_load_b64 v[6:7], v1, s[4:5]
.LBB183_2:
	s_load_b128 s[20:23], s[0:1], 0x88
	s_bitcmp1_b32 s6, 8
	s_cselect_b32 s33, -1, 0
	s_delay_alu instid0(SALU_CYCLE_1) | instskip(NEXT) | instid1(SALU_CYCLE_1)
	s_xor_b32 s4, s33, -1
	s_or_b32 s6, s7, s4
	s_and_b32 s4, s33, exec_lo
	s_cselect_b32 s5, s3, 0
	s_cselect_b32 s4, s2, 0
	s_and_b32 vcc_lo, exec_lo, s6
	v_mov_b64_e32 v[2:3], s[4:5]
	s_cbranch_vccnz .LBB183_4
; %bb.3:
	v_mov_b32_e32 v1, 0
	flat_load_b64 v[2:3], v1, s[2:3]
.LBB183_4:
	s_clause 0x1
	s_load_b128 s[28:31], s[0:1], 0x8
	s_load_b32 s3, s[0:1], 0x0
	v_cmp_gt_u32_e64 s2, 0x100, v0
	v_lshlrev_b32_e32 v22, 3, v0
	v_or_b32_e32 v20, 0xffffff80, v0
	v_lshl_add_u32 v21, v0, 2, 0
	s_and_saveexec_b32 s4, s2
	s_cbranch_execz .LBB183_7
; %bb.5:
	v_mov_b64_e32 v[4:5], 0
	v_add3_u32 v1, v22, 0, 0x400
	v_or_b32_e32 v8, 0xffffff80, v0
	v_lshl_add_u32 v9, v0, 2, 0
	s_wait_kmcnt 0x0
	v_mov_b32_e32 v10, s3
	s_mov_b32 s5, 0
.LBB183_6:                              ; =>This Inner Loop Header: Depth=1
	v_add_co_u32 v8, s6, 0x80, v8
	s_xor_b32 s6, s6, -1
	ds_store_b32 v9, v10
	ds_store_b64 v1, v[4:5]
	v_add_nc_u32_e32 v1, 0x400, v1
	v_add_nc_u32_e32 v9, 0x200, v9
	s_and_b32 s6, exec_lo, s6
	s_delay_alu instid0(SALU_CYCLE_1) | instskip(NEXT) | instid1(SALU_CYCLE_1)
	s_or_b32 s5, s6, s5
	s_and_not1_b32 exec_lo, exec_lo, s5
	s_cbranch_execnz .LBB183_6
.LBB183_7:
	s_or_b32 exec_lo, exec_lo, s4
	s_clause 0x3
	s_load_b64 s[34:35], s[0:1], 0x80
	s_load_b256 s[4:11], s[0:1], 0x58
	s_load_b128 s[24:27], s[0:1], 0x40
	s_load_b256 s[12:19], s[0:1], 0x20
	s_wait_loadcnt_dscnt 0x0
	s_barrier_signal -1
	s_barrier_wait -1
	s_wait_kmcnt 0x0
	s_load_b32 s0, s[28:29], 0x0
	s_bfe_u32 s1, ttmp6, 0x4000c
	s_wait_xcnt 0x0
	s_and_b32 s28, ttmp6, 15
	s_add_co_i32 s1, s1, 1
	s_getreg_b32 s29, hwreg(HW_REG_IB_STS2, 6, 4)
	s_mul_i32 s1, ttmp9, s1
	v_lshrrev_b32_e32 v4, 4, v0
	s_add_co_i32 s28, s28, s1
	s_cmp_eq_u32 s29, 0
	s_cselect_b32 s1, ttmp9, s28
	s_and_b32 vcc_lo, s36, exec_lo
	s_wait_kmcnt 0x0
	s_add_co_i32 s0, s0, s1
	s_mov_b32 s1, 0
	s_load_b32 s28, s[30:31], s0 offset:0x0 scale_offset
	s_cbranch_vccz .LBB183_25
; %bb.8:
	s_wait_kmcnt 0x0
	s_ashr_i32 s29, s28, 31
	v_mov_b32_e32 v5, 0
	s_lshl_b64 s[30:31], s[28:29], 3
	s_mov_b32 s0, s20
	s_add_nc_u64 s[12:13], s[12:13], s[30:31]
	s_mov_b32 s29, exec_lo
	s_load_b128 s[36:39], s[12:13], 0x0
	v_sub_nc_u64_e64 v[8:9], v[4:5], s[0:1]
	s_wait_kmcnt 0x0
	s_delay_alu instid0(VALU_DEP_1)
	v_add_nc_u64_e32 v[8:9], s[36:37], v[8:9]
	s_sub_nc_u64 s[0:1], s[38:39], s[0:1]
	s_delay_alu instid0(VALU_DEP_1) | instid1(SALU_CYCLE_1)
	v_cmpx_gt_i64_e64 s[0:1], v[8:9]
	s_cbranch_execz .LBB183_24
; %bb.9:
	v_dual_mov_b32 v11, v5 :: v_dual_bitop2_b32 v10, 15, v0 bitop3:0x40
	s_mov_b32 s13, 0
	s_mov_b32 s12, s21
	;; [unrolled: 1-line block ×3, first 2 shown]
	s_delay_alu instid0(VALU_DEP_1)
	v_sub_nc_u64_e64 v[10:11], v[10:11], s[12:13]
	s_branch .LBB183_11
.LBB183_10:                             ;   in Loop: Header=BB183_11 Depth=1
	s_or_b32 exec_lo, exec_lo, s31
	v_add_nc_u64_e32 v[8:9], 8, v[8:9]
	s_delay_alu instid0(VALU_DEP_1) | instskip(SKIP_1) | instid1(SALU_CYCLE_1)
	v_cmp_le_i64_e32 vcc_lo, s[0:1], v[8:9]
	s_or_b32 s30, vcc_lo, s30
	s_and_not1_b32 exec_lo, exec_lo, s30
	s_cbranch_execz .LBB183_24
.LBB183_11:                             ; =>This Loop Header: Depth=1
                                        ;     Child Loop BB183_15 Depth 2
                                        ;       Child Loop BB183_18 Depth 3
	v_lshl_add_u64 v[12:13], v[8:9], 2, s[14:15]
	s_mov_b32 s31, exec_lo
	global_load_b32 v1, v[12:13], off
	s_wait_loadcnt 0x0
	s_wait_xcnt 0x0
	v_subrev_nc_u32_e32 v12, s20, v1
	s_delay_alu instid0(VALU_DEP_1) | instskip(NEXT) | instid1(VALU_DEP_1)
	v_ashrrev_i32_e32 v13, 31, v12
	v_lshl_add_u64 v[12:13], v[12:13], 3, s[18:19]
	global_load_b128 v[14:17], v[12:13], off
	s_wait_loadcnt 0x0
	s_wait_xcnt 0x0
	v_sub_nc_u64_e64 v[12:13], v[16:17], s[12:13]
	v_add_nc_u64_e32 v[14:15], v[14:15], v[10:11]
	s_delay_alu instid0(VALU_DEP_1)
	v_cmpx_lt_i64_e64 v[14:15], v[12:13]
	s_cbranch_execz .LBB183_10
; %bb.12:                               ;   in Loop: Header=BB183_11 Depth=1
	v_lshl_add_u64 v[16:17], v[8:9], 3, s[16:17]
	s_mov_b32 s36, 0
	global_load_b64 v[16:17], v[16:17], off
	s_wait_loadcnt 0x0
	s_wait_xcnt 0x0
	v_mul_f64_e32 v[16:17], v[6:7], v[16:17]
	s_branch .LBB183_15
.LBB183_13:                             ;   in Loop: Header=BB183_15 Depth=2
	s_or_b32 exec_lo, exec_lo, s38
.LBB183_14:                             ;   in Loop: Header=BB183_15 Depth=2
	s_delay_alu instid0(SALU_CYCLE_1) | instskip(SKIP_4) | instid1(VALU_DEP_1)
	s_or_b32 exec_lo, exec_lo, s37
	s_wait_loadcnt 0x0
	v_mul_f64_e32 v[18:19], v[16:17], v[18:19]
	v_lshl_add_u32 v1, v1, 3, 0
	v_add_nc_u64_e32 v[14:15], 16, v[14:15]
	v_cmp_ge_i64_e32 vcc_lo, v[14:15], v[12:13]
	s_or_b32 s36, vcc_lo, s36
	ds_add_f64 v1, v[18:19] offset:1024
	s_and_not1_b32 exec_lo, exec_lo, s36
	s_cbranch_execz .LBB183_10
.LBB183_15:                             ;   Parent Loop BB183_11 Depth=1
                                        ; =>  This Loop Header: Depth=2
                                        ;       Child Loop BB183_18 Depth 3
	v_lshl_add_u64 v[18:19], v[14:15], 2, s[24:25]
	s_mov_b32 s37, exec_lo
	global_load_b32 v1, v[18:19], off
	s_wait_xcnt 0x0
	v_lshl_add_u64 v[18:19], v[14:15], 3, s[26:27]
	global_load_b64 v[18:19], v[18:19], off
	s_wait_loadcnt 0x1
	v_subrev_nc_u32_e32 v5, s21, v1
	s_delay_alu instid0(VALU_DEP_1) | instskip(NEXT) | instid1(VALU_DEP_1)
	v_mul_lo_u32 v1, 0x89, v5
	v_and_b32_e32 v1, 0xff, v1
	s_delay_alu instid0(VALU_DEP_1)
	v_lshl_add_u32 v23, v1, 2, 0
	ds_load_b32 v24, v23
	s_wait_dscnt 0x0
	s_wait_xcnt 0x0
	v_cmpx_ne_u32_e64 v24, v5
	s_cbranch_execz .LBB183_14
; %bb.16:                               ;   in Loop: Header=BB183_15 Depth=2
	s_mov_b32 s38, 0
	s_branch .LBB183_18
.LBB183_17:                             ;   in Loop: Header=BB183_18 Depth=3
	s_or_b32 exec_lo, exec_lo, s41
	s_delay_alu instid0(SALU_CYCLE_1) | instskip(NEXT) | instid1(SALU_CYCLE_1)
	s_and_b32 s39, exec_lo, s40
	s_or_b32 s38, s39, s38
	s_delay_alu instid0(SALU_CYCLE_1)
	s_and_not1_b32 exec_lo, exec_lo, s38
	s_cbranch_execz .LBB183_13
.LBB183_18:                             ;   Parent Loop BB183_11 Depth=1
                                        ;     Parent Loop BB183_15 Depth=2
                                        ; =>    This Inner Loop Header: Depth=3
	s_mov_b32 s39, 0
	s_mov_b32 s40, exec_lo
	v_cmpx_ne_u32_e64 s3, v24
	s_xor_b32 s40, exec_lo, s40
	s_cbranch_execz .LBB183_20
; %bb.19:                               ;   in Loop: Header=BB183_18 Depth=3
	v_add_nc_u32_e32 v1, 1, v1
	s_mov_b32 s39, exec_lo
                                        ; implicit-def: $vgpr23
	s_delay_alu instid0(VALU_DEP_1)
	v_and_b32_e32 v1, 0xff, v1
	s_and_not1_saveexec_b32 s40, s40
	s_cbranch_execz .LBB183_22
	s_branch .LBB183_21
.LBB183_20:                             ;   in Loop: Header=BB183_18 Depth=3
	s_and_not1_saveexec_b32 s40, s40
	s_cbranch_execz .LBB183_22
.LBB183_21:                             ;   in Loop: Header=BB183_18 Depth=3
	v_mov_b32_e32 v24, s3
	s_and_not1_b32 s39, s39, exec_lo
	ds_cmpstore_rtn_b32 v23, v23, v5, v24
	s_wait_dscnt 0x0
	v_cmp_ne_u32_e32 vcc_lo, s3, v23
	s_and_b32 s41, vcc_lo, exec_lo
	s_delay_alu instid0(SALU_CYCLE_1)
	s_or_b32 s39, s39, s41
.LBB183_22:                             ;   in Loop: Header=BB183_18 Depth=3
	s_or_b32 exec_lo, exec_lo, s40
	s_mov_b32 s40, -1
                                        ; implicit-def: $vgpr23
                                        ; implicit-def: $vgpr24
	s_and_saveexec_b32 s41, s39
	s_cbranch_execz .LBB183_17
; %bb.23:                               ;   in Loop: Header=BB183_18 Depth=3
	v_lshl_add_u32 v23, v1, 2, 0
	ds_load_b32 v24, v23
	s_wait_dscnt 0x0
	v_cmp_eq_u32_e32 vcc_lo, v24, v5
	s_or_not1_b32 s40, vcc_lo, exec_lo
	s_branch .LBB183_17
.LBB183_24:
	s_or_b32 exec_lo, exec_lo, s29
.LBB183_25:
	s_delay_alu instid0(SALU_CYCLE_1)
	s_and_not1_b32 vcc_lo, exec_lo, s33
	s_cbranch_vccnz .LBB183_28
; %bb.26:
	s_wait_kmcnt 0x0
	s_ashr_i32 s29, s28, 31
	v_mov_b32_e32 v1, 0
	s_lshl_b64 s[0:1], s[28:29], 3
	s_delay_alu instid0(SALU_CYCLE_1) | instskip(SKIP_4) | instid1(SALU_CYCLE_1)
	s_add_nc_u64 s[0:1], s[4:5], s[0:1]
	s_load_b128 s[12:15], s[0:1], 0x0
	s_wait_xcnt 0x0
	s_mov_b32 s1, 0
	s_mov_b32 s0, s23
	v_sub_nc_u64_e64 v[6:7], v[0:1], s[0:1]
	s_wait_kmcnt 0x0
	s_delay_alu instid0(VALU_DEP_1) | instskip(SKIP_2) | instid1(VALU_DEP_1)
	v_add_nc_u64_e32 v[6:7], s[12:13], v[6:7]
	s_sub_nc_u64 s[4:5], s[14:15], s[0:1]
	s_mov_b32 s0, exec_lo
	v_cmpx_gt_i64_e64 s[4:5], v[6:7]
	s_cbranch_execnz .LBB183_39
.LBB183_27:
	s_or_b32 exec_lo, exec_lo, s0
.LBB183_28:
	s_wait_dscnt 0x0
	s_barrier_signal -1
	s_barrier_wait -1
	s_and_saveexec_b32 s4, s2
	s_cbranch_execz .LBB183_48
; %bb.29:
	v_mbcnt_lo_u32_b32 v2, -1, 0
	v_dual_mov_b32 v1, 0 :: v_dual_bitop2_b32 v4, 4, v4 bitop3:0x40
	s_wait_xcnt 0x0
	v_cmp_eq_u32_e64 s0, 0x7f, v0
	v_add3_u32 v3, v22, 0, 0x400
	v_dual_mov_b32 v7, 0 :: v_dual_bitop2_b32 v2, 31, v2 bitop3:0x14
	v_add_nc_u32_e32 v6, 0, v4
	s_mov_b32 s2, 0
	v_cmp_lt_u32_e32 vcc_lo, 63, v0
	s_delay_alu instid0(VALU_DEP_3)
	v_lshrrev_b32_e64 v2, v2, -1
	s_branch .LBB183_31
.LBB183_30:                             ;   in Loop: Header=BB183_31 Depth=1
	s_or_b32 exec_lo, exec_lo, s1
	s_wait_dscnt 0x0
	s_barrier_signal -1
	s_barrier_wait -1
	ds_load_b32 v4, v1 offset:3076
	v_add_co_u32 v20, s1, 0x80, v20
	s_xor_b32 s1, s1, -1
	v_add_nc_u32_e32 v3, 0x400, v3
	v_add_nc_u32_e32 v21, 0x200, v21
	s_and_b32 s1, exec_lo, s1
	s_delay_alu instid0(SALU_CYCLE_1)
	s_or_b32 s2, s1, s2
	s_wait_dscnt 0x0
	v_add_nc_u32_e32 v7, v4, v7
	s_and_not1_b32 exec_lo, exec_lo, s2
	s_cbranch_execz .LBB183_48
.LBB183_31:                             ; =>This Inner Loop Header: Depth=1
	ds_load_b32 v8, v21
	ds_load_b64 v[4:5], v3
	s_wait_dscnt 0x0
	s_barrier_signal -1
	s_barrier_wait -1
	v_cmp_gt_i32_e64 s1, s3, v8
	s_bcnt1_i32_b32 s5, s1
	s_delay_alu instid0(SALU_CYCLE_1) | instskip(NEXT) | instid1(VALU_DEP_1)
	v_dual_mov_b32 v10, s5 :: v_dual_bitop2_b32 v9, s1, v2 bitop3:0x40
	v_bcnt_u32_b32 v9, v9, 0
	ds_store_b32 v6, v10 offset:3072
	s_wait_dscnt 0x0
	s_barrier_signal -1
	s_barrier_wait -1
	s_and_saveexec_b32 s5, vcc_lo
	s_cbranch_execz .LBB183_34
; %bb.32:                               ;   in Loop: Header=BB183_31 Depth=1
	ds_load_b32 v10, v1 offset:3072
	s_wait_dscnt 0x0
	v_add_nc_u32_e32 v9, v10, v9
	s_or_b32 exec_lo, exec_lo, s5
	s_and_saveexec_b32 s5, s1
	s_cbranch_execnz .LBB183_35
.LBB183_33:                             ;   in Loop: Header=BB183_31 Depth=1
	s_or_b32 exec_lo, exec_lo, s5
	s_and_saveexec_b32 s1, s0
	s_cbranch_execz .LBB183_30
	s_branch .LBB183_36
.LBB183_34:                             ;   in Loop: Header=BB183_31 Depth=1
	s_or_b32 exec_lo, exec_lo, s5
	s_and_saveexec_b32 s5, s1
	s_cbranch_execz .LBB183_33
.LBB183_35:                             ;   in Loop: Header=BB183_31 Depth=1
	s_delay_alu instid0(VALU_DEP_1) | instskip(SKIP_1) | instid1(VALU_DEP_2)
	v_add3_u32 v10, v7, -1, v9
	v_add_nc_u32_e32 v11, v7, v9
	v_lshl_add_u32 v10, v10, 2, 0
	s_delay_alu instid0(VALU_DEP_2)
	v_lshl_add_u32 v11, v11, 3, 0
	ds_store_b32 v10, v8
	ds_store_b64 v11, v[4:5] offset:1016
	s_or_b32 exec_lo, exec_lo, s5
	s_and_saveexec_b32 s1, s0
	s_cbranch_execz .LBB183_30
.LBB183_36:                             ;   in Loop: Header=BB183_31 Depth=1
	ds_store_b32 v1, v9 offset:3076
	s_branch .LBB183_30
.LBB183_37:                             ;   in Loop: Header=BB183_39 Depth=1
	s_or_b32 exec_lo, exec_lo, s13
.LBB183_38:                             ;   in Loop: Header=BB183_39 Depth=1
	s_delay_alu instid0(SALU_CYCLE_1) | instskip(SKIP_4) | instid1(VALU_DEP_1)
	s_or_b32 exec_lo, exec_lo, s12
	s_wait_loadcnt 0x0
	v_mul_f64_e32 v[8:9], v[2:3], v[8:9]
	v_lshl_add_u32 v1, v1, 3, 0
	v_add_nc_u64_e32 v[6:7], 0x80, v[6:7]
	v_cmp_le_i64_e32 vcc_lo, s[4:5], v[6:7]
	s_or_b32 s1, vcc_lo, s1
	ds_add_f64 v1, v[8:9] offset:1024
	s_and_not1_b32 exec_lo, exec_lo, s1
	s_cbranch_execz .LBB183_27
.LBB183_39:                             ; =>This Loop Header: Depth=1
                                        ;     Child Loop BB183_42 Depth 2
	v_lshl_add_u64 v[8:9], v[6:7], 2, s[6:7]
	s_mov_b32 s12, exec_lo
	global_load_b32 v1, v[8:9], off
	s_wait_xcnt 0x0
	v_lshl_add_u64 v[8:9], v[6:7], 3, s[8:9]
	global_load_b64 v[8:9], v[8:9], off
	s_wait_loadcnt 0x1
	v_subrev_nc_u32_e32 v5, s23, v1
	s_delay_alu instid0(VALU_DEP_1) | instskip(NEXT) | instid1(VALU_DEP_1)
	v_mul_lo_u32 v1, 0x89, v5
	v_and_b32_e32 v1, 0xff, v1
	s_delay_alu instid0(VALU_DEP_1)
	v_lshl_add_u32 v10, v1, 2, 0
	ds_load_b32 v11, v10
	s_wait_dscnt 0x0
	s_wait_xcnt 0x0
	v_cmpx_ne_u32_e64 v11, v5
	s_cbranch_execz .LBB183_38
; %bb.40:                               ;   in Loop: Header=BB183_39 Depth=1
	s_mov_b32 s13, 0
	s_branch .LBB183_42
.LBB183_41:                             ;   in Loop: Header=BB183_42 Depth=2
	s_or_b32 exec_lo, exec_lo, s16
	s_delay_alu instid0(SALU_CYCLE_1) | instskip(NEXT) | instid1(SALU_CYCLE_1)
	s_and_b32 s14, exec_lo, s15
	s_or_b32 s13, s14, s13
	s_delay_alu instid0(SALU_CYCLE_1)
	s_and_not1_b32 exec_lo, exec_lo, s13
	s_cbranch_execz .LBB183_37
.LBB183_42:                             ;   Parent Loop BB183_39 Depth=1
                                        ; =>  This Inner Loop Header: Depth=2
	s_mov_b32 s14, 0
	s_mov_b32 s15, exec_lo
	v_cmpx_ne_u32_e64 s3, v11
	s_xor_b32 s15, exec_lo, s15
	s_cbranch_execz .LBB183_44
; %bb.43:                               ;   in Loop: Header=BB183_42 Depth=2
	v_add_nc_u32_e32 v1, 1, v1
	s_mov_b32 s14, exec_lo
                                        ; implicit-def: $vgpr10
	s_delay_alu instid0(VALU_DEP_1)
	v_and_b32_e32 v1, 0xff, v1
	s_and_not1_saveexec_b32 s15, s15
	s_cbranch_execz .LBB183_46
	s_branch .LBB183_45
.LBB183_44:                             ;   in Loop: Header=BB183_42 Depth=2
	s_and_not1_saveexec_b32 s15, s15
	s_cbranch_execz .LBB183_46
.LBB183_45:                             ;   in Loop: Header=BB183_42 Depth=2
	v_mov_b32_e32 v11, s3
	s_and_not1_b32 s14, s14, exec_lo
	ds_cmpstore_rtn_b32 v10, v10, v5, v11
	s_wait_dscnt 0x0
	v_cmp_ne_u32_e32 vcc_lo, s3, v10
	s_and_b32 s16, vcc_lo, exec_lo
	s_delay_alu instid0(SALU_CYCLE_1)
	s_or_b32 s14, s14, s16
.LBB183_46:                             ;   in Loop: Header=BB183_42 Depth=2
	s_or_b32 exec_lo, exec_lo, s15
	s_mov_b32 s15, -1
                                        ; implicit-def: $vgpr10
                                        ; implicit-def: $vgpr11
	s_and_saveexec_b32 s16, s14
	s_cbranch_execz .LBB183_41
; %bb.47:                               ;   in Loop: Header=BB183_42 Depth=2
	v_lshl_add_u32 v10, v1, 2, 0
	ds_load_b32 v11, v10
	s_wait_dscnt 0x0
	v_cmp_eq_u32_e32 vcc_lo, v11, v5
	s_or_not1_b32 s15, vcc_lo, exec_lo
	s_branch .LBB183_41
.LBB183_48:
	s_or_b32 exec_lo, exec_lo, s4
	s_wait_kmcnt 0x0
	s_ashr_i32 s29, s28, 31
	s_delay_alu instid0(SALU_CYCLE_1) | instskip(NEXT) | instid1(SALU_CYCLE_1)
	s_lshl_b64 s[0:1], s[28:29], 3
	s_add_nc_u64 s[4:5], s[10:11], s[0:1]
	s_load_b128 s[0:3], s[4:5], 0x0
	s_wait_xcnt 0x0
	s_mov_b32 s4, exec_lo
	s_wait_kmcnt 0x0
	s_sub_co_i32 s3, s2, s0
	s_delay_alu instid0(SALU_CYCLE_1)
	v_cmpx_gt_i32_e64 s3, v0
	s_cbranch_execz .LBB183_58
; %bb.49:
	s_sub_co_i32 s4, s0, s2
	s_and_b32 s2, s3, 7
	s_cmp_lt_u32 s4, -7
	s_mov_b32 s23, 0
	s_cselect_b32 s4, -1, 0
	s_and_b32 s5, s3, -8
	s_cmp_lg_u32 s2, 0
	s_sub_nc_u64 s[0:1], s[0:1], s[22:23]
	s_cselect_b32 s6, -1, 0
	s_mov_b32 s7, 0
	s_branch .LBB183_51
.LBB183_50:                             ;   in Loop: Header=BB183_51 Depth=1
	v_add_nc_u32_e32 v0, 0x80, v0
	s_delay_alu instid0(VALU_DEP_2) | instskip(NEXT) | instid1(VALU_DEP_2)
	v_lshl_add_u64 v[4:5], v[4:5], 3, s[34:35]
	v_cmp_le_i32_e32 vcc_lo, s3, v0
	s_wait_dscnt 0x0
	global_store_b64 v[4:5], v[2:3], off
	s_or_b32 s7, vcc_lo, s7
	s_wait_xcnt 0x0
	s_and_not1_b32 exec_lo, exec_lo, s7
	s_cbranch_execz .LBB183_58
.LBB183_51:                             ; =>This Loop Header: Depth=1
                                        ;     Child Loop BB183_53 Depth 2
                                        ;     Child Loop BB183_57 Depth 2
	v_lshlrev_b32_e32 v1, 2, v0
	v_mov_b64_e32 v[4:5], s[0:1]
	s_and_not1_b32 vcc_lo, exec_lo, s4
	s_mov_b32 s8, 0
	s_delay_alu instid0(VALU_DEP_2) | instskip(NEXT) | instid1(VALU_DEP_1)
	v_add_nc_u32_e32 v2, 0, v1
	v_add_nc_u32_e32 v3, v2, v1
	ds_load_b32 v1, v2
	ds_load_b64 v[2:3], v3 offset:1024
	s_cbranch_vccnz .LBB183_55
; %bb.52:                               ;   in Loop: Header=BB183_51 Depth=1
	v_mov_b64_e32 v[4:5], s[0:1]
	s_mov_b32 s9, 0
.LBB183_53:                             ;   Parent Loop BB183_51 Depth=1
                                        ; =>  This Inner Loop Header: Depth=2
	s_delay_alu instid0(SALU_CYCLE_1)
	v_dual_mov_b32 v10, s9 :: v_dual_mov_b32 v11, s23
	v_mov_b32_e32 v17, s23
	s_add_co_i32 s8, s8, 8
	s_add_co_i32 s9, s9, 32
	ds_load_2addr_b32 v[6:7], v10 offset1:1
	ds_load_2addr_b32 v[8:9], v10 offset0:2 offset1:3
	ds_load_2addr_b32 v[12:13], v10 offset0:4 offset1:5
	;; [unrolled: 1-line block ×3, first 2 shown]
	s_cmp_eq_u32 s5, s8
	s_wait_dscnt 0x3
	v_cmp_gt_i32_e32 vcc_lo, v1, v6
	v_cndmask_b32_e64 v10, 0, 1, vcc_lo
	v_cmp_gt_i32_e32 vcc_lo, v1, v7
	v_mov_b32_e32 v7, s23
	s_delay_alu instid0(VALU_DEP_3) | instskip(SKIP_4) | instid1(VALU_DEP_3)
	v_add_nc_u64_e32 v[4:5], v[4:5], v[10:11]
	v_cndmask_b32_e64 v16, 0, 1, vcc_lo
	s_wait_dscnt 0x2
	v_cmp_gt_i32_e32 vcc_lo, v1, v8
	v_cndmask_b32_e64 v6, 0, 1, vcc_lo
	v_add_nc_u64_e32 v[4:5], v[4:5], v[16:17]
	v_cmp_gt_i32_e32 vcc_lo, v1, v9
	v_mov_b32_e32 v9, s23
	v_cndmask_b32_e64 v10, 0, 1, vcc_lo
	s_delay_alu instid0(VALU_DEP_4) | instskip(SKIP_3) | instid1(VALU_DEP_3)
	v_add_nc_u64_e32 v[4:5], v[4:5], v[6:7]
	s_wait_dscnt 0x1
	v_cmp_gt_i32_e32 vcc_lo, v1, v12
	v_cndmask_b32_e64 v6, 0, 1, vcc_lo
	v_add_nc_u64_e32 v[4:5], v[4:5], v[10:11]
	v_cmp_gt_i32_e32 vcc_lo, v1, v13
	v_cndmask_b32_e64 v8, 0, 1, vcc_lo
	s_delay_alu instid0(VALU_DEP_3) | instskip(SKIP_3) | instid1(VALU_DEP_3)
	v_add_nc_u64_e32 v[4:5], v[4:5], v[6:7]
	s_wait_dscnt 0x0
	v_cmp_gt_i32_e32 vcc_lo, v1, v14
	v_cndmask_b32_e64 v6, 0, 1, vcc_lo
	v_add_nc_u64_e32 v[4:5], v[4:5], v[8:9]
	v_cmp_gt_i32_e32 vcc_lo, v1, v15
	v_cndmask_b32_e64 v8, 0, 1, vcc_lo
	s_delay_alu instid0(VALU_DEP_3) | instskip(NEXT) | instid1(VALU_DEP_1)
	v_add_nc_u64_e32 v[4:5], v[4:5], v[6:7]
	v_add_nc_u64_e32 v[4:5], v[4:5], v[8:9]
	s_cbranch_scc0 .LBB183_53
; %bb.54:                               ;   in Loop: Header=BB183_51 Depth=1
	s_mov_b32 s8, s5
.LBB183_55:                             ;   in Loop: Header=BB183_51 Depth=1
	s_and_not1_b32 vcc_lo, exec_lo, s6
	s_cbranch_vccnz .LBB183_50
; %bb.56:                               ;   in Loop: Header=BB183_51 Depth=1
	s_lshl_b32 s8, s8, 2
	s_mov_b32 s9, s2
	s_add_co_i32 s8, s8, 0
.LBB183_57:                             ;   Parent Loop BB183_51 Depth=1
                                        ; =>  This Inner Loop Header: Depth=2
	s_delay_alu instid0(SALU_CYCLE_1)
	v_dual_mov_b32 v6, s8 :: v_dual_mov_b32 v7, s23
	s_add_co_i32 s9, s9, -1
	s_add_co_i32 s8, s8, 4
	s_cmp_lg_u32 s9, 0
	ds_load_b32 v6, v6
	s_wait_dscnt 0x0
	v_cmp_gt_i32_e32 vcc_lo, v1, v6
	v_cndmask_b32_e64 v6, 0, 1, vcc_lo
	s_delay_alu instid0(VALU_DEP_1)
	v_add_nc_u64_e32 v[4:5], v[4:5], v[6:7]
	s_cbranch_scc1 .LBB183_57
	s_branch .LBB183_50
.LBB183_58:
	s_endpgm
	.section	.rodata,"a",@progbits
	.p2align	6, 0x0
	.amdhsa_kernel _ZN9rocsparseL41csrgemm_numeric_fill_block_per_row_kernelILj128ELj16ELj256ELj137ELj64ElidEEvT5_PKS1_S3_NS_24const_host_device_scalarIT6_EEPKT4_S3_PKS5_S9_S3_SB_S6_S9_S3_SB_S9_S3_PS5_21rocsparse_index_base_SD_SD_SD_bbb
		.amdhsa_group_segment_fixed_size 0
		.amdhsa_private_segment_fixed_size 0
		.amdhsa_kernarg_size 156
		.amdhsa_user_sgpr_count 2
		.amdhsa_user_sgpr_dispatch_ptr 0
		.amdhsa_user_sgpr_queue_ptr 0
		.amdhsa_user_sgpr_kernarg_segment_ptr 1
		.amdhsa_user_sgpr_dispatch_id 0
		.amdhsa_user_sgpr_kernarg_preload_length 0
		.amdhsa_user_sgpr_kernarg_preload_offset 0
		.amdhsa_user_sgpr_private_segment_size 0
		.amdhsa_wavefront_size32 1
		.amdhsa_uses_dynamic_stack 0
		.amdhsa_enable_private_segment 0
		.amdhsa_system_sgpr_workgroup_id_x 1
		.amdhsa_system_sgpr_workgroup_id_y 0
		.amdhsa_system_sgpr_workgroup_id_z 0
		.amdhsa_system_sgpr_workgroup_info 0
		.amdhsa_system_vgpr_workitem_id 0
		.amdhsa_next_free_vgpr 25
		.amdhsa_next_free_sgpr 42
		.amdhsa_named_barrier_count 0
		.amdhsa_reserve_vcc 1
		.amdhsa_float_round_mode_32 0
		.amdhsa_float_round_mode_16_64 0
		.amdhsa_float_denorm_mode_32 3
		.amdhsa_float_denorm_mode_16_64 3
		.amdhsa_fp16_overflow 0
		.amdhsa_memory_ordered 1
		.amdhsa_forward_progress 1
		.amdhsa_inst_pref_size 20
		.amdhsa_round_robin_scheduling 0
		.amdhsa_exception_fp_ieee_invalid_op 0
		.amdhsa_exception_fp_denorm_src 0
		.amdhsa_exception_fp_ieee_div_zero 0
		.amdhsa_exception_fp_ieee_overflow 0
		.amdhsa_exception_fp_ieee_underflow 0
		.amdhsa_exception_fp_ieee_inexact 0
		.amdhsa_exception_int_div_zero 0
	.end_amdhsa_kernel
	.section	.text._ZN9rocsparseL41csrgemm_numeric_fill_block_per_row_kernelILj128ELj16ELj256ELj137ELj64ElidEEvT5_PKS1_S3_NS_24const_host_device_scalarIT6_EEPKT4_S3_PKS5_S9_S3_SB_S6_S9_S3_SB_S9_S3_PS5_21rocsparse_index_base_SD_SD_SD_bbb,"axG",@progbits,_ZN9rocsparseL41csrgemm_numeric_fill_block_per_row_kernelILj128ELj16ELj256ELj137ELj64ElidEEvT5_PKS1_S3_NS_24const_host_device_scalarIT6_EEPKT4_S3_PKS5_S9_S3_SB_S6_S9_S3_SB_S9_S3_PS5_21rocsparse_index_base_SD_SD_SD_bbb,comdat
.Lfunc_end183:
	.size	_ZN9rocsparseL41csrgemm_numeric_fill_block_per_row_kernelILj128ELj16ELj256ELj137ELj64ElidEEvT5_PKS1_S3_NS_24const_host_device_scalarIT6_EEPKT4_S3_PKS5_S9_S3_SB_S6_S9_S3_SB_S9_S3_PS5_21rocsparse_index_base_SD_SD_SD_bbb, .Lfunc_end183-_ZN9rocsparseL41csrgemm_numeric_fill_block_per_row_kernelILj128ELj16ELj256ELj137ELj64ElidEEvT5_PKS1_S3_NS_24const_host_device_scalarIT6_EEPKT4_S3_PKS5_S9_S3_SB_S6_S9_S3_SB_S9_S3_PS5_21rocsparse_index_base_SD_SD_SD_bbb
                                        ; -- End function
	.set _ZN9rocsparseL41csrgemm_numeric_fill_block_per_row_kernelILj128ELj16ELj256ELj137ELj64ElidEEvT5_PKS1_S3_NS_24const_host_device_scalarIT6_EEPKT4_S3_PKS5_S9_S3_SB_S6_S9_S3_SB_S9_S3_PS5_21rocsparse_index_base_SD_SD_SD_bbb.num_vgpr, 25
	.set _ZN9rocsparseL41csrgemm_numeric_fill_block_per_row_kernelILj128ELj16ELj256ELj137ELj64ElidEEvT5_PKS1_S3_NS_24const_host_device_scalarIT6_EEPKT4_S3_PKS5_S9_S3_SB_S6_S9_S3_SB_S9_S3_PS5_21rocsparse_index_base_SD_SD_SD_bbb.num_agpr, 0
	.set _ZN9rocsparseL41csrgemm_numeric_fill_block_per_row_kernelILj128ELj16ELj256ELj137ELj64ElidEEvT5_PKS1_S3_NS_24const_host_device_scalarIT6_EEPKT4_S3_PKS5_S9_S3_SB_S6_S9_S3_SB_S9_S3_PS5_21rocsparse_index_base_SD_SD_SD_bbb.numbered_sgpr, 42
	.set _ZN9rocsparseL41csrgemm_numeric_fill_block_per_row_kernelILj128ELj16ELj256ELj137ELj64ElidEEvT5_PKS1_S3_NS_24const_host_device_scalarIT6_EEPKT4_S3_PKS5_S9_S3_SB_S6_S9_S3_SB_S9_S3_PS5_21rocsparse_index_base_SD_SD_SD_bbb.num_named_barrier, 0
	.set _ZN9rocsparseL41csrgemm_numeric_fill_block_per_row_kernelILj128ELj16ELj256ELj137ELj64ElidEEvT5_PKS1_S3_NS_24const_host_device_scalarIT6_EEPKT4_S3_PKS5_S9_S3_SB_S6_S9_S3_SB_S9_S3_PS5_21rocsparse_index_base_SD_SD_SD_bbb.private_seg_size, 0
	.set _ZN9rocsparseL41csrgemm_numeric_fill_block_per_row_kernelILj128ELj16ELj256ELj137ELj64ElidEEvT5_PKS1_S3_NS_24const_host_device_scalarIT6_EEPKT4_S3_PKS5_S9_S3_SB_S6_S9_S3_SB_S9_S3_PS5_21rocsparse_index_base_SD_SD_SD_bbb.uses_vcc, 1
	.set _ZN9rocsparseL41csrgemm_numeric_fill_block_per_row_kernelILj128ELj16ELj256ELj137ELj64ElidEEvT5_PKS1_S3_NS_24const_host_device_scalarIT6_EEPKT4_S3_PKS5_S9_S3_SB_S6_S9_S3_SB_S9_S3_PS5_21rocsparse_index_base_SD_SD_SD_bbb.uses_flat_scratch, 0
	.set _ZN9rocsparseL41csrgemm_numeric_fill_block_per_row_kernelILj128ELj16ELj256ELj137ELj64ElidEEvT5_PKS1_S3_NS_24const_host_device_scalarIT6_EEPKT4_S3_PKS5_S9_S3_SB_S6_S9_S3_SB_S9_S3_PS5_21rocsparse_index_base_SD_SD_SD_bbb.has_dyn_sized_stack, 0
	.set _ZN9rocsparseL41csrgemm_numeric_fill_block_per_row_kernelILj128ELj16ELj256ELj137ELj64ElidEEvT5_PKS1_S3_NS_24const_host_device_scalarIT6_EEPKT4_S3_PKS5_S9_S3_SB_S6_S9_S3_SB_S9_S3_PS5_21rocsparse_index_base_SD_SD_SD_bbb.has_recursion, 0
	.set _ZN9rocsparseL41csrgemm_numeric_fill_block_per_row_kernelILj128ELj16ELj256ELj137ELj64ElidEEvT5_PKS1_S3_NS_24const_host_device_scalarIT6_EEPKT4_S3_PKS5_S9_S3_SB_S6_S9_S3_SB_S9_S3_PS5_21rocsparse_index_base_SD_SD_SD_bbb.has_indirect_call, 0
	.section	.AMDGPU.csdata,"",@progbits
; Kernel info:
; codeLenInByte = 2548
; TotalNumSgprs: 44
; NumVgprs: 25
; ScratchSize: 0
; MemoryBound: 0
; FloatMode: 240
; IeeeMode: 1
; LDSByteSize: 0 bytes/workgroup (compile time only)
; SGPRBlocks: 0
; VGPRBlocks: 1
; NumSGPRsForWavesPerEU: 44
; NumVGPRsForWavesPerEU: 25
; NamedBarCnt: 0
; Occupancy: 16
; WaveLimiterHint : 1
; COMPUTE_PGM_RSRC2:SCRATCH_EN: 0
; COMPUTE_PGM_RSRC2:USER_SGPR: 2
; COMPUTE_PGM_RSRC2:TRAP_HANDLER: 0
; COMPUTE_PGM_RSRC2:TGID_X_EN: 1
; COMPUTE_PGM_RSRC2:TGID_Y_EN: 0
; COMPUTE_PGM_RSRC2:TGID_Z_EN: 0
; COMPUTE_PGM_RSRC2:TIDIG_COMP_CNT: 0
	.section	.text._ZN9rocsparseL41csrgemm_numeric_fill_block_per_row_kernelILj256ELj32ELj512ELj137ELj32ElidEEvT5_PKS1_S3_NS_24const_host_device_scalarIT6_EEPKT4_S3_PKS5_S9_S3_SB_S6_S9_S3_SB_S9_S3_PS5_21rocsparse_index_base_SD_SD_SD_bbb,"axG",@progbits,_ZN9rocsparseL41csrgemm_numeric_fill_block_per_row_kernelILj256ELj32ELj512ELj137ELj32ElidEEvT5_PKS1_S3_NS_24const_host_device_scalarIT6_EEPKT4_S3_PKS5_S9_S3_SB_S6_S9_S3_SB_S9_S3_PS5_21rocsparse_index_base_SD_SD_SD_bbb,comdat
	.globl	_ZN9rocsparseL41csrgemm_numeric_fill_block_per_row_kernelILj256ELj32ELj512ELj137ELj32ElidEEvT5_PKS1_S3_NS_24const_host_device_scalarIT6_EEPKT4_S3_PKS5_S9_S3_SB_S6_S9_S3_SB_S9_S3_PS5_21rocsparse_index_base_SD_SD_SD_bbb ; -- Begin function _ZN9rocsparseL41csrgemm_numeric_fill_block_per_row_kernelILj256ELj32ELj512ELj137ELj32ElidEEvT5_PKS1_S3_NS_24const_host_device_scalarIT6_EEPKT4_S3_PKS5_S9_S3_SB_S6_S9_S3_SB_S9_S3_PS5_21rocsparse_index_base_SD_SD_SD_bbb
	.p2align	8
	.type	_ZN9rocsparseL41csrgemm_numeric_fill_block_per_row_kernelILj256ELj32ELj512ELj137ELj32ElidEEvT5_PKS1_S3_NS_24const_host_device_scalarIT6_EEPKT4_S3_PKS5_S9_S3_SB_S6_S9_S3_SB_S9_S3_PS5_21rocsparse_index_base_SD_SD_SD_bbb,@function
_ZN9rocsparseL41csrgemm_numeric_fill_block_per_row_kernelILj256ELj32ELj512ELj137ELj32ElidEEvT5_PKS1_S3_NS_24const_host_device_scalarIT6_EEPKT4_S3_PKS5_S9_S3_SB_S6_S9_S3_SB_S9_S3_PS5_21rocsparse_index_base_SD_SD_SD_bbb: ; @_ZN9rocsparseL41csrgemm_numeric_fill_block_per_row_kernelILj256ELj32ELj512ELj137ELj32ElidEEvT5_PKS1_S3_NS_24const_host_device_scalarIT6_EEPKT4_S3_PKS5_S9_S3_SB_S6_S9_S3_SB_S9_S3_PS5_21rocsparse_index_base_SD_SD_SD_bbb
; %bb.0:
	s_clause 0x2
	s_load_b32 s6, s[0:1], 0x98
	s_load_b64 s[4:5], s[0:1], 0x18
	s_load_b64 s[2:3], s[0:1], 0x50
	s_wait_kmcnt 0x0
	s_bitcmp1_b32 s6, 0
	s_cselect_b32 s37, -1, 0
	s_bitcmp1_b32 s6, 16
	s_cselect_b32 s7, -1, 0
	s_xor_b32 s8, s37, -1
	s_delay_alu instid0(SALU_CYCLE_1)
	s_or_b32 s10, s7, s8
	s_and_b32 s8, s37, exec_lo
	s_cselect_b32 s9, s5, 0
	s_cselect_b32 s8, s4, 0
	s_and_b32 vcc_lo, exec_lo, s10
	v_mov_b64_e32 v[6:7], s[8:9]
	s_cbranch_vccnz .LBB184_2
; %bb.1:
	v_mov_b32_e32 v1, 0
	flat_load_b64 v[6:7], v1, s[4:5]
.LBB184_2:
	s_load_b128 s[20:23], s[0:1], 0x88
	s_bitcmp1_b32 s6, 8
	s_cselect_b32 s36, -1, 0
	s_delay_alu instid0(SALU_CYCLE_1) | instskip(NEXT) | instid1(SALU_CYCLE_1)
	s_xor_b32 s4, s36, -1
	s_or_b32 s6, s7, s4
	s_and_b32 s4, s36, exec_lo
	s_cselect_b32 s5, s3, 0
	s_cselect_b32 s4, s2, 0
	s_and_b32 vcc_lo, exec_lo, s6
	v_mov_b64_e32 v[2:3], s[4:5]
	s_cbranch_vccnz .LBB184_4
; %bb.3:
	v_mov_b32_e32 v1, 0
	flat_load_b64 v[2:3], v1, s[2:3]
.LBB184_4:
	s_clause 0x1
	s_load_b128 s[28:31], s[0:1], 0x8
	s_load_b32 s33, s[0:1], 0x0
	v_cmp_gt_u32_e64 s2, 0x200, v0
	v_lshlrev_b32_e32 v22, 3, v0
	v_or_b32_e32 v20, 0xffffff00, v0
	v_lshl_add_u32 v21, v0, 2, 0
	s_and_saveexec_b32 s3, s2
	s_cbranch_execz .LBB184_7
; %bb.5:
	v_mov_b64_e32 v[4:5], 0
	v_add3_u32 v1, v22, 0, 0x800
	v_or_b32_e32 v8, 0xffffff00, v0
	v_lshl_add_u32 v9, v0, 2, 0
	s_wait_kmcnt 0x0
	v_mov_b32_e32 v10, s33
	s_mov_b32 s4, 0
.LBB184_6:                              ; =>This Inner Loop Header: Depth=1
	v_add_co_u32 v8, s5, 0x100, v8
	s_xor_b32 s5, s5, -1
	ds_store_b32 v9, v10
	ds_store_b64 v1, v[4:5]
	v_add_nc_u32_e32 v1, 0x800, v1
	v_add_nc_u32_e32 v9, 0x400, v9
	s_and_b32 s5, exec_lo, s5
	s_delay_alu instid0(SALU_CYCLE_1) | instskip(NEXT) | instid1(SALU_CYCLE_1)
	s_or_b32 s4, s5, s4
	s_and_not1_b32 exec_lo, exec_lo, s4
	s_cbranch_execnz .LBB184_6
.LBB184_7:
	s_or_b32 exec_lo, exec_lo, s3
	s_clause 0x3
	s_load_b64 s[34:35], s[0:1], 0x80
	s_load_b256 s[4:11], s[0:1], 0x58
	s_load_b128 s[24:27], s[0:1], 0x40
	s_load_b256 s[12:19], s[0:1], 0x20
	s_wait_loadcnt_dscnt 0x0
	s_barrier_signal -1
	s_barrier_wait -1
	s_wait_kmcnt 0x0
	s_load_b32 s0, s[28:29], 0x0
	s_bfe_u32 s1, ttmp6, 0x4000c
	s_and_b32 s3, ttmp6, 15
	s_add_co_i32 s1, s1, 1
	s_wait_xcnt 0x0
	s_getreg_b32 s28, hwreg(HW_REG_IB_STS2, 6, 4)
	s_mul_i32 s1, ttmp9, s1
	v_lshrrev_b32_e32 v4, 5, v0
	s_add_co_i32 s3, s3, s1
	s_cmp_eq_u32 s28, 0
	s_cselect_b32 s1, ttmp9, s3
	s_and_b32 vcc_lo, s37, exec_lo
	s_wait_kmcnt 0x0
	s_add_co_i32 s0, s0, s1
	s_mov_b32 s1, 0
	s_load_b32 s28, s[30:31], s0 offset:0x0 scale_offset
	s_cbranch_vccz .LBB184_25
; %bb.8:
	s_wait_kmcnt 0x0
	s_ashr_i32 s29, s28, 31
	v_mov_b32_e32 v5, 0
	s_lshl_b64 s[30:31], s[28:29], 3
	s_mov_b32 s0, s20
	s_add_nc_u64 s[12:13], s[12:13], s[30:31]
	s_mov_b32 s3, exec_lo
	s_load_b128 s[40:43], s[12:13], 0x0
	v_sub_nc_u64_e64 v[8:9], v[4:5], s[0:1]
	s_wait_kmcnt 0x0
	s_delay_alu instid0(VALU_DEP_1)
	v_add_nc_u64_e32 v[8:9], s[40:41], v[8:9]
	s_sub_nc_u64 s[0:1], s[42:43], s[0:1]
	s_delay_alu instid0(VALU_DEP_1) | instid1(SALU_CYCLE_1)
	v_cmpx_gt_i64_e64 s[0:1], v[8:9]
	s_cbranch_execz .LBB184_24
; %bb.9:
	v_dual_mov_b32 v11, v5 :: v_dual_bitop2_b32 v10, 31, v0 bitop3:0x40
	s_mov_b32 s13, 0
	s_mov_b32 s12, s21
	s_mov_b32 s29, s13
	s_delay_alu instid0(VALU_DEP_1)
	v_sub_nc_u64_e64 v[10:11], v[10:11], s[12:13]
	s_branch .LBB184_11
.LBB184_10:                             ;   in Loop: Header=BB184_11 Depth=1
	s_or_b32 exec_lo, exec_lo, s30
	v_add_nc_u64_e32 v[8:9], 8, v[8:9]
	s_delay_alu instid0(VALU_DEP_1) | instskip(SKIP_1) | instid1(SALU_CYCLE_1)
	v_cmp_le_i64_e32 vcc_lo, s[0:1], v[8:9]
	s_or_b32 s29, vcc_lo, s29
	s_and_not1_b32 exec_lo, exec_lo, s29
	s_cbranch_execz .LBB184_24
.LBB184_11:                             ; =>This Loop Header: Depth=1
                                        ;     Child Loop BB184_15 Depth 2
                                        ;       Child Loop BB184_18 Depth 3
	v_lshl_add_u64 v[12:13], v[8:9], 2, s[14:15]
	s_mov_b32 s30, exec_lo
	global_load_b32 v1, v[12:13], off
	s_wait_loadcnt 0x0
	s_wait_xcnt 0x0
	v_subrev_nc_u32_e32 v12, s20, v1
	s_delay_alu instid0(VALU_DEP_1) | instskip(NEXT) | instid1(VALU_DEP_1)
	v_ashrrev_i32_e32 v13, 31, v12
	v_lshl_add_u64 v[12:13], v[12:13], 3, s[18:19]
	global_load_b128 v[14:17], v[12:13], off
	s_wait_loadcnt 0x0
	s_wait_xcnt 0x0
	v_sub_nc_u64_e64 v[12:13], v[16:17], s[12:13]
	v_add_nc_u64_e32 v[14:15], v[14:15], v[10:11]
	s_delay_alu instid0(VALU_DEP_1)
	v_cmpx_lt_i64_e64 v[14:15], v[12:13]
	s_cbranch_execz .LBB184_10
; %bb.12:                               ;   in Loop: Header=BB184_11 Depth=1
	v_lshl_add_u64 v[16:17], v[8:9], 3, s[16:17]
	s_mov_b32 s31, 0
	global_load_b64 v[16:17], v[16:17], off
	s_wait_loadcnt 0x0
	s_wait_xcnt 0x0
	v_mul_f64_e32 v[16:17], v[6:7], v[16:17]
	s_branch .LBB184_15
.LBB184_13:                             ;   in Loop: Header=BB184_15 Depth=2
	s_or_b32 exec_lo, exec_lo, s38
.LBB184_14:                             ;   in Loop: Header=BB184_15 Depth=2
	s_delay_alu instid0(SALU_CYCLE_1) | instskip(SKIP_4) | instid1(VALU_DEP_1)
	s_or_b32 exec_lo, exec_lo, s37
	s_wait_loadcnt 0x0
	v_mul_f64_e32 v[18:19], v[16:17], v[18:19]
	v_lshl_add_u32 v1, v1, 3, 0
	v_add_nc_u64_e32 v[14:15], 32, v[14:15]
	v_cmp_ge_i64_e32 vcc_lo, v[14:15], v[12:13]
	s_or_b32 s31, vcc_lo, s31
	ds_add_f64 v1, v[18:19] offset:2048
	s_and_not1_b32 exec_lo, exec_lo, s31
	s_cbranch_execz .LBB184_10
.LBB184_15:                             ;   Parent Loop BB184_11 Depth=1
                                        ; =>  This Loop Header: Depth=2
                                        ;       Child Loop BB184_18 Depth 3
	v_lshl_add_u64 v[18:19], v[14:15], 2, s[24:25]
	s_mov_b32 s37, exec_lo
	global_load_b32 v1, v[18:19], off
	s_wait_xcnt 0x0
	v_lshl_add_u64 v[18:19], v[14:15], 3, s[26:27]
	global_load_b64 v[18:19], v[18:19], off
	s_wait_loadcnt 0x1
	v_subrev_nc_u32_e32 v5, s21, v1
	s_delay_alu instid0(VALU_DEP_1) | instskip(NEXT) | instid1(VALU_DEP_1)
	v_mul_lo_u32 v1, 0x89, v5
	v_and_b32_e32 v1, 0x1ff, v1
	s_delay_alu instid0(VALU_DEP_1)
	v_lshl_add_u32 v23, v1, 2, 0
	ds_load_b32 v24, v23
	s_wait_dscnt 0x0
	s_wait_xcnt 0x0
	v_cmpx_ne_u32_e64 v24, v5
	s_cbranch_execz .LBB184_14
; %bb.16:                               ;   in Loop: Header=BB184_15 Depth=2
	s_mov_b32 s38, 0
	s_branch .LBB184_18
.LBB184_17:                             ;   in Loop: Header=BB184_18 Depth=3
	s_or_b32 exec_lo, exec_lo, s41
	s_delay_alu instid0(SALU_CYCLE_1) | instskip(NEXT) | instid1(SALU_CYCLE_1)
	s_and_b32 s39, exec_lo, s40
	s_or_b32 s38, s39, s38
	s_delay_alu instid0(SALU_CYCLE_1)
	s_and_not1_b32 exec_lo, exec_lo, s38
	s_cbranch_execz .LBB184_13
.LBB184_18:                             ;   Parent Loop BB184_11 Depth=1
                                        ;     Parent Loop BB184_15 Depth=2
                                        ; =>    This Inner Loop Header: Depth=3
	s_mov_b32 s39, 0
	s_mov_b32 s40, exec_lo
	v_cmpx_ne_u32_e64 s33, v24
	s_xor_b32 s40, exec_lo, s40
	s_cbranch_execz .LBB184_20
; %bb.19:                               ;   in Loop: Header=BB184_18 Depth=3
	v_add_nc_u32_e32 v1, 1, v1
	s_mov_b32 s39, exec_lo
                                        ; implicit-def: $vgpr23
	s_delay_alu instid0(VALU_DEP_1)
	v_and_b32_e32 v1, 0x1ff, v1
	s_and_not1_saveexec_b32 s40, s40
	s_cbranch_execz .LBB184_22
	s_branch .LBB184_21
.LBB184_20:                             ;   in Loop: Header=BB184_18 Depth=3
	s_and_not1_saveexec_b32 s40, s40
	s_cbranch_execz .LBB184_22
.LBB184_21:                             ;   in Loop: Header=BB184_18 Depth=3
	v_mov_b32_e32 v24, s33
	s_and_not1_b32 s39, s39, exec_lo
	ds_cmpstore_rtn_b32 v23, v23, v5, v24
	s_wait_dscnt 0x0
	v_cmp_ne_u32_e32 vcc_lo, s33, v23
	s_and_b32 s41, vcc_lo, exec_lo
	s_delay_alu instid0(SALU_CYCLE_1)
	s_or_b32 s39, s39, s41
.LBB184_22:                             ;   in Loop: Header=BB184_18 Depth=3
	s_or_b32 exec_lo, exec_lo, s40
	s_mov_b32 s40, -1
                                        ; implicit-def: $vgpr23
                                        ; implicit-def: $vgpr24
	s_and_saveexec_b32 s41, s39
	s_cbranch_execz .LBB184_17
; %bb.23:                               ;   in Loop: Header=BB184_18 Depth=3
	v_lshl_add_u32 v23, v1, 2, 0
	ds_load_b32 v24, v23
	s_wait_dscnt 0x0
	v_cmp_eq_u32_e32 vcc_lo, v24, v5
	s_or_not1_b32 s40, vcc_lo, exec_lo
	s_branch .LBB184_17
.LBB184_24:
	s_or_b32 exec_lo, exec_lo, s3
.LBB184_25:
	s_delay_alu instid0(SALU_CYCLE_1)
	s_and_not1_b32 vcc_lo, exec_lo, s36
	s_cbranch_vccnz .LBB184_28
; %bb.26:
	s_wait_kmcnt 0x0
	s_ashr_i32 s29, s28, 31
	v_mov_b32_e32 v1, 0
	s_lshl_b64 s[0:1], s[28:29], 3
	s_delay_alu instid0(SALU_CYCLE_1) | instskip(SKIP_4) | instid1(SALU_CYCLE_1)
	s_add_nc_u64 s[0:1], s[4:5], s[0:1]
	s_load_b128 s[12:15], s[0:1], 0x0
	s_wait_xcnt 0x0
	s_mov_b32 s1, 0
	s_mov_b32 s0, s23
	v_sub_nc_u64_e64 v[6:7], v[0:1], s[0:1]
	s_wait_kmcnt 0x0
	s_delay_alu instid0(VALU_DEP_1) | instskip(SKIP_2) | instid1(VALU_DEP_1)
	v_add_nc_u64_e32 v[6:7], s[12:13], v[6:7]
	s_sub_nc_u64 s[4:5], s[14:15], s[0:1]
	s_mov_b32 s0, exec_lo
	v_cmpx_gt_i64_e64 s[4:5], v[6:7]
	s_cbranch_execnz .LBB184_51
.LBB184_27:
	s_or_b32 exec_lo, exec_lo, s0
.LBB184_28:
	s_wait_dscnt 0x0
	s_barrier_signal -1
	s_barrier_wait -1
	s_and_saveexec_b32 s8, s2
	s_cbranch_execz .LBB184_60
; %bb.29:
	v_mbcnt_lo_u32_b32 v2, -1, 0
	v_mov_b32_e32 v1, 0
	v_lshl_add_u32 v3, v4, 2, 0
	s_wait_xcnt 0x0
	v_cmp_lt_u32_e64 s0, 31, v0
	v_cmp_lt_u32_e64 s1, 63, v0
	v_xor_b32_e32 v2, 31, v2
	v_cmp_lt_u32_e64 s2, 0x5f, v0
	v_cmp_lt_u32_e64 s3, 0x7f, v0
	;; [unrolled: 1-line block ×4, first 2 shown]
	v_lshrrev_b32_e64 v2, v2, -1
	v_cmp_lt_u32_e64 s6, 0xdf, v0
	v_add3_u32 v6, v22, 0, 0x800
	v_mov_b32_e32 v7, 0
	s_mov_b32 s9, 0
	v_cmp_eq_u32_e32 vcc_lo, 0xff, v0
	s_branch .LBB184_31
.LBB184_30:                             ;   in Loop: Header=BB184_31 Depth=1
	s_or_b32 exec_lo, exec_lo, s7
	s_wait_dscnt 0x0
	s_barrier_signal -1
	s_barrier_wait -1
	ds_load_b32 v4, v1 offset:6172
	v_add_co_u32 v20, s7, 0x100, v20
	s_xor_b32 s7, s7, -1
	v_add_nc_u32_e32 v6, 0x800, v6
	v_add_nc_u32_e32 v21, 0x400, v21
	s_and_b32 s7, exec_lo, s7
	s_delay_alu instid0(SALU_CYCLE_1)
	s_or_b32 s9, s7, s9
	s_wait_dscnt 0x0
	v_add_nc_u32_e32 v7, v4, v7
	s_and_not1_b32 exec_lo, exec_lo, s9
	s_cbranch_execz .LBB184_60
.LBB184_31:                             ; =>This Inner Loop Header: Depth=1
	ds_load_b32 v8, v21
	ds_load_b64 v[4:5], v6
	s_wait_dscnt 0x0
	s_barrier_signal -1
	s_barrier_wait -1
	v_cmp_gt_i32_e64 s7, s33, v8
	s_bcnt1_i32_b32 s12, s7
	s_delay_alu instid0(SALU_CYCLE_1) | instskip(NEXT) | instid1(VALU_DEP_1)
	v_dual_mov_b32 v10, s12 :: v_dual_bitop2_b32 v9, s7, v2 bitop3:0x40
	v_bcnt_u32_b32 v9, v9, 0
	ds_store_b32 v3, v10 offset:6144
	s_wait_dscnt 0x0
	s_barrier_signal -1
	s_barrier_wait -1
	s_and_saveexec_b32 s12, s0
	s_cbranch_execz .LBB184_40
; %bb.32:                               ;   in Loop: Header=BB184_31 Depth=1
	ds_load_b32 v10, v1 offset:6144
	s_wait_dscnt 0x0
	v_add_nc_u32_e32 v9, v10, v9
	s_or_b32 exec_lo, exec_lo, s12
	s_and_saveexec_b32 s12, s1
	s_cbranch_execnz .LBB184_41
.LBB184_33:                             ;   in Loop: Header=BB184_31 Depth=1
	s_or_b32 exec_lo, exec_lo, s12
	s_and_saveexec_b32 s12, s2
	s_cbranch_execz .LBB184_42
.LBB184_34:                             ;   in Loop: Header=BB184_31 Depth=1
	ds_load_b32 v10, v1 offset:6152
	s_wait_dscnt 0x0
	v_add_nc_u32_e32 v9, v10, v9
	s_or_b32 exec_lo, exec_lo, s12
	s_and_saveexec_b32 s12, s3
	s_cbranch_execnz .LBB184_43
.LBB184_35:                             ;   in Loop: Header=BB184_31 Depth=1
	s_or_b32 exec_lo, exec_lo, s12
	s_and_saveexec_b32 s12, s4
	s_cbranch_execz .LBB184_44
.LBB184_36:                             ;   in Loop: Header=BB184_31 Depth=1
	ds_load_b32 v10, v1 offset:6160
	s_wait_dscnt 0x0
	v_add_nc_u32_e32 v9, v10, v9
	s_or_b32 exec_lo, exec_lo, s12
	s_and_saveexec_b32 s12, s5
	s_cbranch_execnz .LBB184_45
.LBB184_37:                             ;   in Loop: Header=BB184_31 Depth=1
	s_or_b32 exec_lo, exec_lo, s12
	s_and_saveexec_b32 s12, s6
	s_cbranch_execz .LBB184_46
.LBB184_38:                             ;   in Loop: Header=BB184_31 Depth=1
	ds_load_b32 v10, v1 offset:6168
	s_wait_dscnt 0x0
	v_add_nc_u32_e32 v9, v10, v9
	s_or_b32 exec_lo, exec_lo, s12
	s_and_saveexec_b32 s12, s7
	s_cbranch_execnz .LBB184_47
.LBB184_39:                             ;   in Loop: Header=BB184_31 Depth=1
	s_or_b32 exec_lo, exec_lo, s12
	s_and_saveexec_b32 s7, vcc_lo
	s_cbranch_execz .LBB184_30
	s_branch .LBB184_48
.LBB184_40:                             ;   in Loop: Header=BB184_31 Depth=1
	s_or_b32 exec_lo, exec_lo, s12
	s_and_saveexec_b32 s12, s1
	s_cbranch_execz .LBB184_33
.LBB184_41:                             ;   in Loop: Header=BB184_31 Depth=1
	ds_load_b32 v10, v1 offset:6148
	s_wait_dscnt 0x0
	v_add_nc_u32_e32 v9, v10, v9
	s_or_b32 exec_lo, exec_lo, s12
	s_and_saveexec_b32 s12, s2
	s_cbranch_execnz .LBB184_34
.LBB184_42:                             ;   in Loop: Header=BB184_31 Depth=1
	s_or_b32 exec_lo, exec_lo, s12
	s_and_saveexec_b32 s12, s3
	s_cbranch_execz .LBB184_35
.LBB184_43:                             ;   in Loop: Header=BB184_31 Depth=1
	ds_load_b32 v10, v1 offset:6156
	s_wait_dscnt 0x0
	v_add_nc_u32_e32 v9, v10, v9
	s_or_b32 exec_lo, exec_lo, s12
	s_and_saveexec_b32 s12, s4
	s_cbranch_execnz .LBB184_36
.LBB184_44:                             ;   in Loop: Header=BB184_31 Depth=1
	s_or_b32 exec_lo, exec_lo, s12
	s_and_saveexec_b32 s12, s5
	s_cbranch_execz .LBB184_37
.LBB184_45:                             ;   in Loop: Header=BB184_31 Depth=1
	ds_load_b32 v10, v1 offset:6164
	s_wait_dscnt 0x0
	v_add_nc_u32_e32 v9, v10, v9
	s_or_b32 exec_lo, exec_lo, s12
	s_and_saveexec_b32 s12, s6
	s_cbranch_execnz .LBB184_38
.LBB184_46:                             ;   in Loop: Header=BB184_31 Depth=1
	s_or_b32 exec_lo, exec_lo, s12
	s_and_saveexec_b32 s12, s7
	s_cbranch_execz .LBB184_39
.LBB184_47:                             ;   in Loop: Header=BB184_31 Depth=1
	s_delay_alu instid0(VALU_DEP_1) | instskip(SKIP_1) | instid1(VALU_DEP_2)
	v_add3_u32 v10, v7, -1, v9
	v_add_nc_u32_e32 v11, v7, v9
	v_lshl_add_u32 v10, v10, 2, 0
	s_delay_alu instid0(VALU_DEP_2)
	v_lshl_add_u32 v11, v11, 3, 0
	ds_store_b32 v10, v8
	ds_store_b64 v11, v[4:5] offset:2040
	s_or_b32 exec_lo, exec_lo, s12
	s_and_saveexec_b32 s7, vcc_lo
	s_cbranch_execz .LBB184_30
.LBB184_48:                             ;   in Loop: Header=BB184_31 Depth=1
	ds_store_b32 v1, v9 offset:6172
	s_branch .LBB184_30
.LBB184_49:                             ;   in Loop: Header=BB184_51 Depth=1
	s_or_b32 exec_lo, exec_lo, s12
.LBB184_50:                             ;   in Loop: Header=BB184_51 Depth=1
	s_delay_alu instid0(SALU_CYCLE_1) | instskip(SKIP_4) | instid1(VALU_DEP_1)
	s_or_b32 exec_lo, exec_lo, s3
	s_wait_loadcnt 0x0
	v_mul_f64_e32 v[8:9], v[2:3], v[8:9]
	v_lshl_add_u32 v1, v1, 3, 0
	v_add_nc_u64_e32 v[6:7], 0x100, v[6:7]
	v_cmp_le_i64_e32 vcc_lo, s[4:5], v[6:7]
	s_or_b32 s1, vcc_lo, s1
	ds_add_f64 v1, v[8:9] offset:2048
	s_and_not1_b32 exec_lo, exec_lo, s1
	s_cbranch_execz .LBB184_27
.LBB184_51:                             ; =>This Loop Header: Depth=1
                                        ;     Child Loop BB184_54 Depth 2
	v_lshl_add_u64 v[8:9], v[6:7], 2, s[6:7]
	s_mov_b32 s3, exec_lo
	global_load_b32 v1, v[8:9], off
	s_wait_xcnt 0x0
	v_lshl_add_u64 v[8:9], v[6:7], 3, s[8:9]
	global_load_b64 v[8:9], v[8:9], off
	s_wait_loadcnt 0x1
	v_subrev_nc_u32_e32 v5, s23, v1
	s_delay_alu instid0(VALU_DEP_1) | instskip(NEXT) | instid1(VALU_DEP_1)
	v_mul_lo_u32 v1, 0x89, v5
	v_and_b32_e32 v1, 0x1ff, v1
	s_delay_alu instid0(VALU_DEP_1)
	v_lshl_add_u32 v10, v1, 2, 0
	ds_load_b32 v11, v10
	s_wait_dscnt 0x0
	s_wait_xcnt 0x0
	v_cmpx_ne_u32_e64 v11, v5
	s_cbranch_execz .LBB184_50
; %bb.52:                               ;   in Loop: Header=BB184_51 Depth=1
	s_mov_b32 s12, 0
	s_branch .LBB184_54
.LBB184_53:                             ;   in Loop: Header=BB184_54 Depth=2
	s_or_b32 exec_lo, exec_lo, s15
	s_delay_alu instid0(SALU_CYCLE_1) | instskip(NEXT) | instid1(SALU_CYCLE_1)
	s_and_b32 s13, exec_lo, s14
	s_or_b32 s12, s13, s12
	s_delay_alu instid0(SALU_CYCLE_1)
	s_and_not1_b32 exec_lo, exec_lo, s12
	s_cbranch_execz .LBB184_49
.LBB184_54:                             ;   Parent Loop BB184_51 Depth=1
                                        ; =>  This Inner Loop Header: Depth=2
	s_mov_b32 s13, 0
	s_mov_b32 s14, exec_lo
	v_cmpx_ne_u32_e64 s33, v11
	s_xor_b32 s14, exec_lo, s14
	s_cbranch_execz .LBB184_56
; %bb.55:                               ;   in Loop: Header=BB184_54 Depth=2
	v_add_nc_u32_e32 v1, 1, v1
	s_mov_b32 s13, exec_lo
                                        ; implicit-def: $vgpr10
	s_delay_alu instid0(VALU_DEP_1)
	v_and_b32_e32 v1, 0x1ff, v1
	s_and_not1_saveexec_b32 s14, s14
	s_cbranch_execz .LBB184_58
	s_branch .LBB184_57
.LBB184_56:                             ;   in Loop: Header=BB184_54 Depth=2
	s_and_not1_saveexec_b32 s14, s14
	s_cbranch_execz .LBB184_58
.LBB184_57:                             ;   in Loop: Header=BB184_54 Depth=2
	v_mov_b32_e32 v11, s33
	s_and_not1_b32 s13, s13, exec_lo
	ds_cmpstore_rtn_b32 v10, v10, v5, v11
	s_wait_dscnt 0x0
	v_cmp_ne_u32_e32 vcc_lo, s33, v10
	s_and_b32 s15, vcc_lo, exec_lo
	s_delay_alu instid0(SALU_CYCLE_1)
	s_or_b32 s13, s13, s15
.LBB184_58:                             ;   in Loop: Header=BB184_54 Depth=2
	s_or_b32 exec_lo, exec_lo, s14
	s_mov_b32 s14, -1
                                        ; implicit-def: $vgpr10
                                        ; implicit-def: $vgpr11
	s_and_saveexec_b32 s15, s13
	s_cbranch_execz .LBB184_53
; %bb.59:                               ;   in Loop: Header=BB184_54 Depth=2
	v_lshl_add_u32 v10, v1, 2, 0
	ds_load_b32 v11, v10
	s_wait_dscnt 0x0
	v_cmp_eq_u32_e32 vcc_lo, v11, v5
	s_or_not1_b32 s14, vcc_lo, exec_lo
	s_branch .LBB184_53
.LBB184_60:
	s_or_b32 exec_lo, exec_lo, s8
	s_wait_kmcnt 0x0
	s_ashr_i32 s29, s28, 31
	s_delay_alu instid0(SALU_CYCLE_1) | instskip(NEXT) | instid1(SALU_CYCLE_1)
	s_lshl_b64 s[0:1], s[28:29], 3
	s_add_nc_u64 s[4:5], s[10:11], s[0:1]
	s_load_b128 s[0:3], s[4:5], 0x0
	s_wait_xcnt 0x0
	s_mov_b32 s4, exec_lo
	s_wait_kmcnt 0x0
	s_sub_co_i32 s3, s2, s0
	s_delay_alu instid0(SALU_CYCLE_1)
	v_cmpx_gt_i32_e64 s3, v0
	s_cbranch_execz .LBB184_70
; %bb.61:
	s_sub_co_i32 s4, s0, s2
	s_and_b32 s2, s3, 7
	s_cmp_lt_u32 s4, -7
	s_mov_b32 s23, 0
	s_cselect_b32 s4, -1, 0
	s_and_b32 s5, s3, -8
	s_cmp_lg_u32 s2, 0
	s_sub_nc_u64 s[0:1], s[0:1], s[22:23]
	s_cselect_b32 s6, -1, 0
	s_mov_b32 s7, 0
	s_branch .LBB184_63
.LBB184_62:                             ;   in Loop: Header=BB184_63 Depth=1
	v_add_nc_u32_e32 v0, 0x100, v0
	s_delay_alu instid0(VALU_DEP_2) | instskip(NEXT) | instid1(VALU_DEP_2)
	v_lshl_add_u64 v[4:5], v[4:5], 3, s[34:35]
	v_cmp_le_i32_e32 vcc_lo, s3, v0
	s_wait_dscnt 0x0
	global_store_b64 v[4:5], v[2:3], off
	s_or_b32 s7, vcc_lo, s7
	s_wait_xcnt 0x0
	s_and_not1_b32 exec_lo, exec_lo, s7
	s_cbranch_execz .LBB184_70
.LBB184_63:                             ; =>This Loop Header: Depth=1
                                        ;     Child Loop BB184_65 Depth 2
                                        ;     Child Loop BB184_69 Depth 2
	v_lshlrev_b32_e32 v1, 2, v0
	v_mov_b64_e32 v[4:5], s[0:1]
	s_and_not1_b32 vcc_lo, exec_lo, s4
	s_mov_b32 s8, 0
	s_delay_alu instid0(VALU_DEP_2) | instskip(NEXT) | instid1(VALU_DEP_1)
	v_add_nc_u32_e32 v2, 0, v1
	v_add_nc_u32_e32 v3, v2, v1
	ds_load_b32 v1, v2
	ds_load_b64 v[2:3], v3 offset:2048
	s_cbranch_vccnz .LBB184_67
; %bb.64:                               ;   in Loop: Header=BB184_63 Depth=1
	v_mov_b64_e32 v[4:5], s[0:1]
	s_mov_b32 s9, 0
.LBB184_65:                             ;   Parent Loop BB184_63 Depth=1
                                        ; =>  This Inner Loop Header: Depth=2
	s_delay_alu instid0(SALU_CYCLE_1)
	v_dual_mov_b32 v10, s9 :: v_dual_mov_b32 v11, s23
	v_mov_b32_e32 v17, s23
	s_add_co_i32 s8, s8, 8
	s_add_co_i32 s9, s9, 32
	ds_load_2addr_b32 v[6:7], v10 offset1:1
	ds_load_2addr_b32 v[8:9], v10 offset0:2 offset1:3
	ds_load_2addr_b32 v[12:13], v10 offset0:4 offset1:5
	;; [unrolled: 1-line block ×3, first 2 shown]
	s_cmp_eq_u32 s5, s8
	s_wait_dscnt 0x3
	v_cmp_gt_i32_e32 vcc_lo, v1, v6
	v_cndmask_b32_e64 v10, 0, 1, vcc_lo
	v_cmp_gt_i32_e32 vcc_lo, v1, v7
	v_mov_b32_e32 v7, s23
	s_delay_alu instid0(VALU_DEP_3) | instskip(SKIP_4) | instid1(VALU_DEP_3)
	v_add_nc_u64_e32 v[4:5], v[4:5], v[10:11]
	v_cndmask_b32_e64 v16, 0, 1, vcc_lo
	s_wait_dscnt 0x2
	v_cmp_gt_i32_e32 vcc_lo, v1, v8
	v_cndmask_b32_e64 v6, 0, 1, vcc_lo
	v_add_nc_u64_e32 v[4:5], v[4:5], v[16:17]
	v_cmp_gt_i32_e32 vcc_lo, v1, v9
	v_mov_b32_e32 v9, s23
	v_cndmask_b32_e64 v10, 0, 1, vcc_lo
	s_delay_alu instid0(VALU_DEP_4) | instskip(SKIP_3) | instid1(VALU_DEP_3)
	v_add_nc_u64_e32 v[4:5], v[4:5], v[6:7]
	s_wait_dscnt 0x1
	v_cmp_gt_i32_e32 vcc_lo, v1, v12
	v_cndmask_b32_e64 v6, 0, 1, vcc_lo
	v_add_nc_u64_e32 v[4:5], v[4:5], v[10:11]
	v_cmp_gt_i32_e32 vcc_lo, v1, v13
	v_cndmask_b32_e64 v8, 0, 1, vcc_lo
	s_delay_alu instid0(VALU_DEP_3) | instskip(SKIP_3) | instid1(VALU_DEP_3)
	v_add_nc_u64_e32 v[4:5], v[4:5], v[6:7]
	s_wait_dscnt 0x0
	v_cmp_gt_i32_e32 vcc_lo, v1, v14
	v_cndmask_b32_e64 v6, 0, 1, vcc_lo
	v_add_nc_u64_e32 v[4:5], v[4:5], v[8:9]
	v_cmp_gt_i32_e32 vcc_lo, v1, v15
	v_cndmask_b32_e64 v8, 0, 1, vcc_lo
	s_delay_alu instid0(VALU_DEP_3) | instskip(NEXT) | instid1(VALU_DEP_1)
	v_add_nc_u64_e32 v[4:5], v[4:5], v[6:7]
	v_add_nc_u64_e32 v[4:5], v[4:5], v[8:9]
	s_cbranch_scc0 .LBB184_65
; %bb.66:                               ;   in Loop: Header=BB184_63 Depth=1
	s_mov_b32 s8, s5
.LBB184_67:                             ;   in Loop: Header=BB184_63 Depth=1
	s_and_not1_b32 vcc_lo, exec_lo, s6
	s_cbranch_vccnz .LBB184_62
; %bb.68:                               ;   in Loop: Header=BB184_63 Depth=1
	s_lshl_b32 s8, s8, 2
	s_mov_b32 s9, s2
	s_add_co_i32 s8, s8, 0
.LBB184_69:                             ;   Parent Loop BB184_63 Depth=1
                                        ; =>  This Inner Loop Header: Depth=2
	s_delay_alu instid0(SALU_CYCLE_1)
	v_dual_mov_b32 v6, s8 :: v_dual_mov_b32 v7, s23
	s_add_co_i32 s9, s9, -1
	s_add_co_i32 s8, s8, 4
	s_cmp_lg_u32 s9, 0
	ds_load_b32 v6, v6
	s_wait_dscnt 0x0
	v_cmp_gt_i32_e32 vcc_lo, v1, v6
	v_cndmask_b32_e64 v6, 0, 1, vcc_lo
	s_delay_alu instid0(VALU_DEP_1)
	v_add_nc_u64_e32 v[4:5], v[4:5], v[6:7]
	s_cbranch_scc1 .LBB184_69
	s_branch .LBB184_62
.LBB184_70:
	s_endpgm
	.section	.rodata,"a",@progbits
	.p2align	6, 0x0
	.amdhsa_kernel _ZN9rocsparseL41csrgemm_numeric_fill_block_per_row_kernelILj256ELj32ELj512ELj137ELj32ElidEEvT5_PKS1_S3_NS_24const_host_device_scalarIT6_EEPKT4_S3_PKS5_S9_S3_SB_S6_S9_S3_SB_S9_S3_PS5_21rocsparse_index_base_SD_SD_SD_bbb
		.amdhsa_group_segment_fixed_size 0
		.amdhsa_private_segment_fixed_size 0
		.amdhsa_kernarg_size 156
		.amdhsa_user_sgpr_count 2
		.amdhsa_user_sgpr_dispatch_ptr 0
		.amdhsa_user_sgpr_queue_ptr 0
		.amdhsa_user_sgpr_kernarg_segment_ptr 1
		.amdhsa_user_sgpr_dispatch_id 0
		.amdhsa_user_sgpr_kernarg_preload_length 0
		.amdhsa_user_sgpr_kernarg_preload_offset 0
		.amdhsa_user_sgpr_private_segment_size 0
		.amdhsa_wavefront_size32 1
		.amdhsa_uses_dynamic_stack 0
		.amdhsa_enable_private_segment 0
		.amdhsa_system_sgpr_workgroup_id_x 1
		.amdhsa_system_sgpr_workgroup_id_y 0
		.amdhsa_system_sgpr_workgroup_id_z 0
		.amdhsa_system_sgpr_workgroup_info 0
		.amdhsa_system_vgpr_workitem_id 0
		.amdhsa_next_free_vgpr 25
		.amdhsa_next_free_sgpr 44
		.amdhsa_named_barrier_count 0
		.amdhsa_reserve_vcc 1
		.amdhsa_float_round_mode_32 0
		.amdhsa_float_round_mode_16_64 0
		.amdhsa_float_denorm_mode_32 3
		.amdhsa_float_denorm_mode_16_64 3
		.amdhsa_fp16_overflow 0
		.amdhsa_memory_ordered 1
		.amdhsa_forward_progress 1
		.amdhsa_inst_pref_size 23
		.amdhsa_round_robin_scheduling 0
		.amdhsa_exception_fp_ieee_invalid_op 0
		.amdhsa_exception_fp_denorm_src 0
		.amdhsa_exception_fp_ieee_div_zero 0
		.amdhsa_exception_fp_ieee_overflow 0
		.amdhsa_exception_fp_ieee_underflow 0
		.amdhsa_exception_fp_ieee_inexact 0
		.amdhsa_exception_int_div_zero 0
	.end_amdhsa_kernel
	.section	.text._ZN9rocsparseL41csrgemm_numeric_fill_block_per_row_kernelILj256ELj32ELj512ELj137ELj32ElidEEvT5_PKS1_S3_NS_24const_host_device_scalarIT6_EEPKT4_S3_PKS5_S9_S3_SB_S6_S9_S3_SB_S9_S3_PS5_21rocsparse_index_base_SD_SD_SD_bbb,"axG",@progbits,_ZN9rocsparseL41csrgemm_numeric_fill_block_per_row_kernelILj256ELj32ELj512ELj137ELj32ElidEEvT5_PKS1_S3_NS_24const_host_device_scalarIT6_EEPKT4_S3_PKS5_S9_S3_SB_S6_S9_S3_SB_S9_S3_PS5_21rocsparse_index_base_SD_SD_SD_bbb,comdat
.Lfunc_end184:
	.size	_ZN9rocsparseL41csrgemm_numeric_fill_block_per_row_kernelILj256ELj32ELj512ELj137ELj32ElidEEvT5_PKS1_S3_NS_24const_host_device_scalarIT6_EEPKT4_S3_PKS5_S9_S3_SB_S6_S9_S3_SB_S9_S3_PS5_21rocsparse_index_base_SD_SD_SD_bbb, .Lfunc_end184-_ZN9rocsparseL41csrgemm_numeric_fill_block_per_row_kernelILj256ELj32ELj512ELj137ELj32ElidEEvT5_PKS1_S3_NS_24const_host_device_scalarIT6_EEPKT4_S3_PKS5_S9_S3_SB_S6_S9_S3_SB_S9_S3_PS5_21rocsparse_index_base_SD_SD_SD_bbb
                                        ; -- End function
	.set _ZN9rocsparseL41csrgemm_numeric_fill_block_per_row_kernelILj256ELj32ELj512ELj137ELj32ElidEEvT5_PKS1_S3_NS_24const_host_device_scalarIT6_EEPKT4_S3_PKS5_S9_S3_SB_S6_S9_S3_SB_S9_S3_PS5_21rocsparse_index_base_SD_SD_SD_bbb.num_vgpr, 25
	.set _ZN9rocsparseL41csrgemm_numeric_fill_block_per_row_kernelILj256ELj32ELj512ELj137ELj32ElidEEvT5_PKS1_S3_NS_24const_host_device_scalarIT6_EEPKT4_S3_PKS5_S9_S3_SB_S6_S9_S3_SB_S9_S3_PS5_21rocsparse_index_base_SD_SD_SD_bbb.num_agpr, 0
	.set _ZN9rocsparseL41csrgemm_numeric_fill_block_per_row_kernelILj256ELj32ELj512ELj137ELj32ElidEEvT5_PKS1_S3_NS_24const_host_device_scalarIT6_EEPKT4_S3_PKS5_S9_S3_SB_S6_S9_S3_SB_S9_S3_PS5_21rocsparse_index_base_SD_SD_SD_bbb.numbered_sgpr, 44
	.set _ZN9rocsparseL41csrgemm_numeric_fill_block_per_row_kernelILj256ELj32ELj512ELj137ELj32ElidEEvT5_PKS1_S3_NS_24const_host_device_scalarIT6_EEPKT4_S3_PKS5_S9_S3_SB_S6_S9_S3_SB_S9_S3_PS5_21rocsparse_index_base_SD_SD_SD_bbb.num_named_barrier, 0
	.set _ZN9rocsparseL41csrgemm_numeric_fill_block_per_row_kernelILj256ELj32ELj512ELj137ELj32ElidEEvT5_PKS1_S3_NS_24const_host_device_scalarIT6_EEPKT4_S3_PKS5_S9_S3_SB_S6_S9_S3_SB_S9_S3_PS5_21rocsparse_index_base_SD_SD_SD_bbb.private_seg_size, 0
	.set _ZN9rocsparseL41csrgemm_numeric_fill_block_per_row_kernelILj256ELj32ELj512ELj137ELj32ElidEEvT5_PKS1_S3_NS_24const_host_device_scalarIT6_EEPKT4_S3_PKS5_S9_S3_SB_S6_S9_S3_SB_S9_S3_PS5_21rocsparse_index_base_SD_SD_SD_bbb.uses_vcc, 1
	.set _ZN9rocsparseL41csrgemm_numeric_fill_block_per_row_kernelILj256ELj32ELj512ELj137ELj32ElidEEvT5_PKS1_S3_NS_24const_host_device_scalarIT6_EEPKT4_S3_PKS5_S9_S3_SB_S6_S9_S3_SB_S9_S3_PS5_21rocsparse_index_base_SD_SD_SD_bbb.uses_flat_scratch, 0
	.set _ZN9rocsparseL41csrgemm_numeric_fill_block_per_row_kernelILj256ELj32ELj512ELj137ELj32ElidEEvT5_PKS1_S3_NS_24const_host_device_scalarIT6_EEPKT4_S3_PKS5_S9_S3_SB_S6_S9_S3_SB_S9_S3_PS5_21rocsparse_index_base_SD_SD_SD_bbb.has_dyn_sized_stack, 0
	.set _ZN9rocsparseL41csrgemm_numeric_fill_block_per_row_kernelILj256ELj32ELj512ELj137ELj32ElidEEvT5_PKS1_S3_NS_24const_host_device_scalarIT6_EEPKT4_S3_PKS5_S9_S3_SB_S6_S9_S3_SB_S9_S3_PS5_21rocsparse_index_base_SD_SD_SD_bbb.has_recursion, 0
	.set _ZN9rocsparseL41csrgemm_numeric_fill_block_per_row_kernelILj256ELj32ELj512ELj137ELj32ElidEEvT5_PKS1_S3_NS_24const_host_device_scalarIT6_EEPKT4_S3_PKS5_S9_S3_SB_S6_S9_S3_SB_S9_S3_PS5_21rocsparse_index_base_SD_SD_SD_bbb.has_indirect_call, 0
	.section	.AMDGPU.csdata,"",@progbits
; Kernel info:
; codeLenInByte = 2844
; TotalNumSgprs: 46
; NumVgprs: 25
; ScratchSize: 0
; MemoryBound: 0
; FloatMode: 240
; IeeeMode: 1
; LDSByteSize: 0 bytes/workgroup (compile time only)
; SGPRBlocks: 0
; VGPRBlocks: 1
; NumSGPRsForWavesPerEU: 46
; NumVGPRsForWavesPerEU: 25
; NamedBarCnt: 0
; Occupancy: 16
; WaveLimiterHint : 1
; COMPUTE_PGM_RSRC2:SCRATCH_EN: 0
; COMPUTE_PGM_RSRC2:USER_SGPR: 2
; COMPUTE_PGM_RSRC2:TRAP_HANDLER: 0
; COMPUTE_PGM_RSRC2:TGID_X_EN: 1
; COMPUTE_PGM_RSRC2:TGID_Y_EN: 0
; COMPUTE_PGM_RSRC2:TGID_Z_EN: 0
; COMPUTE_PGM_RSRC2:TIDIG_COMP_CNT: 0
	.section	.text._ZN9rocsparseL41csrgemm_numeric_fill_block_per_row_kernelILj256ELj32ELj512ELj137ELj64ElidEEvT5_PKS1_S3_NS_24const_host_device_scalarIT6_EEPKT4_S3_PKS5_S9_S3_SB_S6_S9_S3_SB_S9_S3_PS5_21rocsparse_index_base_SD_SD_SD_bbb,"axG",@progbits,_ZN9rocsparseL41csrgemm_numeric_fill_block_per_row_kernelILj256ELj32ELj512ELj137ELj64ElidEEvT5_PKS1_S3_NS_24const_host_device_scalarIT6_EEPKT4_S3_PKS5_S9_S3_SB_S6_S9_S3_SB_S9_S3_PS5_21rocsparse_index_base_SD_SD_SD_bbb,comdat
	.globl	_ZN9rocsparseL41csrgemm_numeric_fill_block_per_row_kernelILj256ELj32ELj512ELj137ELj64ElidEEvT5_PKS1_S3_NS_24const_host_device_scalarIT6_EEPKT4_S3_PKS5_S9_S3_SB_S6_S9_S3_SB_S9_S3_PS5_21rocsparse_index_base_SD_SD_SD_bbb ; -- Begin function _ZN9rocsparseL41csrgemm_numeric_fill_block_per_row_kernelILj256ELj32ELj512ELj137ELj64ElidEEvT5_PKS1_S3_NS_24const_host_device_scalarIT6_EEPKT4_S3_PKS5_S9_S3_SB_S6_S9_S3_SB_S9_S3_PS5_21rocsparse_index_base_SD_SD_SD_bbb
	.p2align	8
	.type	_ZN9rocsparseL41csrgemm_numeric_fill_block_per_row_kernelILj256ELj32ELj512ELj137ELj64ElidEEvT5_PKS1_S3_NS_24const_host_device_scalarIT6_EEPKT4_S3_PKS5_S9_S3_SB_S6_S9_S3_SB_S9_S3_PS5_21rocsparse_index_base_SD_SD_SD_bbb,@function
_ZN9rocsparseL41csrgemm_numeric_fill_block_per_row_kernelILj256ELj32ELj512ELj137ELj64ElidEEvT5_PKS1_S3_NS_24const_host_device_scalarIT6_EEPKT4_S3_PKS5_S9_S3_SB_S6_S9_S3_SB_S9_S3_PS5_21rocsparse_index_base_SD_SD_SD_bbb: ; @_ZN9rocsparseL41csrgemm_numeric_fill_block_per_row_kernelILj256ELj32ELj512ELj137ELj64ElidEEvT5_PKS1_S3_NS_24const_host_device_scalarIT6_EEPKT4_S3_PKS5_S9_S3_SB_S6_S9_S3_SB_S9_S3_PS5_21rocsparse_index_base_SD_SD_SD_bbb
; %bb.0:
	s_clause 0x2
	s_load_b32 s6, s[0:1], 0x98
	s_load_b64 s[4:5], s[0:1], 0x18
	s_load_b64 s[2:3], s[0:1], 0x50
	s_wait_kmcnt 0x0
	s_bitcmp1_b32 s6, 0
	s_cselect_b32 s37, -1, 0
	s_bitcmp1_b32 s6, 16
	s_cselect_b32 s7, -1, 0
	s_xor_b32 s8, s37, -1
	s_delay_alu instid0(SALU_CYCLE_1)
	s_or_b32 s10, s7, s8
	s_and_b32 s8, s37, exec_lo
	s_cselect_b32 s9, s5, 0
	s_cselect_b32 s8, s4, 0
	s_and_b32 vcc_lo, exec_lo, s10
	v_mov_b64_e32 v[4:5], s[8:9]
	s_cbranch_vccnz .LBB185_2
; %bb.1:
	v_mov_b32_e32 v1, 0
	flat_load_b64 v[4:5], v1, s[4:5]
.LBB185_2:
	s_load_b128 s[20:23], s[0:1], 0x88
	s_bitcmp1_b32 s6, 8
	s_cselect_b32 s36, -1, 0
	s_delay_alu instid0(SALU_CYCLE_1) | instskip(NEXT) | instid1(SALU_CYCLE_1)
	s_xor_b32 s4, s36, -1
	s_or_b32 s6, s7, s4
	s_and_b32 s4, s36, exec_lo
	s_cselect_b32 s5, s3, 0
	s_cselect_b32 s4, s2, 0
	s_and_b32 vcc_lo, exec_lo, s6
	v_mov_b64_e32 v[2:3], s[4:5]
	s_cbranch_vccnz .LBB185_4
; %bb.3:
	v_mov_b32_e32 v1, 0
	flat_load_b64 v[2:3], v1, s[2:3]
.LBB185_4:
	s_clause 0x1
	s_load_b128 s[28:31], s[0:1], 0x8
	s_load_b32 s33, s[0:1], 0x0
	v_cmp_gt_u32_e64 s2, 0x200, v0
	v_lshlrev_b32_e32 v20, 3, v0
	v_or_b32_e32 v18, 0xffffff00, v0
	v_lshl_add_u32 v19, v0, 2, 0
	s_and_saveexec_b32 s3, s2
	s_cbranch_execz .LBB185_7
; %bb.5:
	v_mov_b64_e32 v[6:7], 0
	v_add3_u32 v1, v20, 0, 0x800
	v_or_b32_e32 v8, 0xffffff00, v0
	v_lshl_add_u32 v9, v0, 2, 0
	s_wait_kmcnt 0x0
	v_mov_b32_e32 v10, s33
	s_mov_b32 s4, 0
.LBB185_6:                              ; =>This Inner Loop Header: Depth=1
	v_add_co_u32 v8, s5, 0x100, v8
	s_xor_b32 s5, s5, -1
	ds_store_b32 v9, v10
	ds_store_b64 v1, v[6:7]
	v_add_nc_u32_e32 v1, 0x800, v1
	v_add_nc_u32_e32 v9, 0x400, v9
	s_and_b32 s5, exec_lo, s5
	s_delay_alu instid0(SALU_CYCLE_1) | instskip(NEXT) | instid1(SALU_CYCLE_1)
	s_or_b32 s4, s5, s4
	s_and_not1_b32 exec_lo, exec_lo, s4
	s_cbranch_execnz .LBB185_6
.LBB185_7:
	s_or_b32 exec_lo, exec_lo, s3
	s_clause 0x3
	s_load_b64 s[34:35], s[0:1], 0x80
	s_load_b256 s[4:11], s[0:1], 0x58
	s_load_b128 s[24:27], s[0:1], 0x40
	s_load_b256 s[12:19], s[0:1], 0x20
	s_wait_loadcnt_dscnt 0x0
	s_barrier_signal -1
	s_barrier_wait -1
	s_wait_kmcnt 0x0
	s_load_b32 s0, s[28:29], 0x0
	s_bfe_u32 s1, ttmp6, 0x4000c
	s_and_b32 s3, ttmp6, 15
	s_add_co_i32 s1, s1, 1
	s_wait_xcnt 0x0
	s_getreg_b32 s28, hwreg(HW_REG_IB_STS2, 6, 4)
	s_mul_i32 s1, ttmp9, s1
	s_delay_alu instid0(SALU_CYCLE_1)
	s_add_co_i32 s3, s3, s1
	s_cmp_eq_u32 s28, 0
	s_cselect_b32 s1, ttmp9, s3
	s_and_b32 vcc_lo, s37, exec_lo
	s_wait_kmcnt 0x0
	s_add_co_i32 s0, s0, s1
	s_mov_b32 s1, 0
	s_load_b32 s28, s[30:31], s0 offset:0x0 scale_offset
	s_cbranch_vccz .LBB185_25
; %bb.8:
	s_wait_kmcnt 0x0
	s_ashr_i32 s29, s28, 31
	v_dual_mov_b32 v9, 0 :: v_dual_lshrrev_b32 v8, 5, v0
	s_lshl_b64 s[30:31], s[28:29], 3
	s_mov_b32 s0, s20
	s_add_nc_u64 s[12:13], s[12:13], s[30:31]
	s_mov_b32 s3, exec_lo
	s_load_b128 s[40:43], s[12:13], 0x0
	v_sub_nc_u64_e64 v[6:7], v[8:9], s[0:1]
	s_wait_kmcnt 0x0
	s_delay_alu instid0(VALU_DEP_1)
	v_add_nc_u64_e32 v[6:7], s[40:41], v[6:7]
	s_sub_nc_u64 s[0:1], s[42:43], s[0:1]
	s_delay_alu instid0(VALU_DEP_1) | instid1(SALU_CYCLE_1)
	v_cmpx_gt_i64_e64 s[0:1], v[6:7]
	s_cbranch_execz .LBB185_24
; %bb.9:
	v_and_b32_e32 v8, 31, v0
	s_mov_b32 s13, 0
	s_mov_b32 s12, s21
	;; [unrolled: 1-line block ×3, first 2 shown]
	s_delay_alu instid0(VALU_DEP_1)
	v_sub_nc_u64_e64 v[8:9], v[8:9], s[12:13]
	s_branch .LBB185_11
.LBB185_10:                             ;   in Loop: Header=BB185_11 Depth=1
	s_or_b32 exec_lo, exec_lo, s30
	v_add_nc_u64_e32 v[6:7], 8, v[6:7]
	s_delay_alu instid0(VALU_DEP_1) | instskip(SKIP_1) | instid1(SALU_CYCLE_1)
	v_cmp_le_i64_e32 vcc_lo, s[0:1], v[6:7]
	s_or_b32 s29, vcc_lo, s29
	s_and_not1_b32 exec_lo, exec_lo, s29
	s_cbranch_execz .LBB185_24
.LBB185_11:                             ; =>This Loop Header: Depth=1
                                        ;     Child Loop BB185_15 Depth 2
                                        ;       Child Loop BB185_18 Depth 3
	v_lshl_add_u64 v[10:11], v[6:7], 2, s[14:15]
	s_mov_b32 s30, exec_lo
	global_load_b32 v1, v[10:11], off
	s_wait_loadcnt 0x0
	s_wait_xcnt 0x0
	v_subrev_nc_u32_e32 v10, s20, v1
	s_delay_alu instid0(VALU_DEP_1) | instskip(NEXT) | instid1(VALU_DEP_1)
	v_ashrrev_i32_e32 v11, 31, v10
	v_lshl_add_u64 v[10:11], v[10:11], 3, s[18:19]
	global_load_b128 v[12:15], v[10:11], off
	s_wait_loadcnt 0x0
	s_wait_xcnt 0x0
	v_sub_nc_u64_e64 v[10:11], v[14:15], s[12:13]
	v_add_nc_u64_e32 v[12:13], v[12:13], v[8:9]
	s_delay_alu instid0(VALU_DEP_1)
	v_cmpx_lt_i64_e64 v[12:13], v[10:11]
	s_cbranch_execz .LBB185_10
; %bb.12:                               ;   in Loop: Header=BB185_11 Depth=1
	v_lshl_add_u64 v[14:15], v[6:7], 3, s[16:17]
	s_mov_b32 s31, 0
	global_load_b64 v[14:15], v[14:15], off
	s_wait_loadcnt 0x0
	s_wait_xcnt 0x0
	v_mul_f64_e32 v[14:15], v[4:5], v[14:15]
	s_branch .LBB185_15
.LBB185_13:                             ;   in Loop: Header=BB185_15 Depth=2
	s_or_b32 exec_lo, exec_lo, s38
.LBB185_14:                             ;   in Loop: Header=BB185_15 Depth=2
	s_delay_alu instid0(SALU_CYCLE_1) | instskip(SKIP_4) | instid1(VALU_DEP_1)
	s_or_b32 exec_lo, exec_lo, s37
	s_wait_loadcnt 0x0
	v_mul_f64_e32 v[16:17], v[14:15], v[16:17]
	v_lshl_add_u32 v1, v1, 3, 0
	v_add_nc_u64_e32 v[12:13], 32, v[12:13]
	v_cmp_ge_i64_e32 vcc_lo, v[12:13], v[10:11]
	s_or_b32 s31, vcc_lo, s31
	ds_add_f64 v1, v[16:17] offset:2048
	s_and_not1_b32 exec_lo, exec_lo, s31
	s_cbranch_execz .LBB185_10
.LBB185_15:                             ;   Parent Loop BB185_11 Depth=1
                                        ; =>  This Loop Header: Depth=2
                                        ;       Child Loop BB185_18 Depth 3
	v_lshl_add_u64 v[16:17], v[12:13], 2, s[24:25]
	s_mov_b32 s37, exec_lo
	global_load_b32 v1, v[16:17], off
	s_wait_xcnt 0x0
	v_lshl_add_u64 v[16:17], v[12:13], 3, s[26:27]
	global_load_b64 v[16:17], v[16:17], off
	s_wait_loadcnt 0x1
	v_subrev_nc_u32_e32 v21, s21, v1
	s_delay_alu instid0(VALU_DEP_1) | instskip(NEXT) | instid1(VALU_DEP_1)
	v_mul_lo_u32 v1, 0x89, v21
	v_and_b32_e32 v1, 0x1ff, v1
	s_delay_alu instid0(VALU_DEP_1)
	v_lshl_add_u32 v22, v1, 2, 0
	ds_load_b32 v23, v22
	s_wait_dscnt 0x0
	s_wait_xcnt 0x0
	v_cmpx_ne_u32_e64 v23, v21
	s_cbranch_execz .LBB185_14
; %bb.16:                               ;   in Loop: Header=BB185_15 Depth=2
	s_mov_b32 s38, 0
	s_branch .LBB185_18
.LBB185_17:                             ;   in Loop: Header=BB185_18 Depth=3
	s_or_b32 exec_lo, exec_lo, s41
	s_delay_alu instid0(SALU_CYCLE_1) | instskip(NEXT) | instid1(SALU_CYCLE_1)
	s_and_b32 s39, exec_lo, s40
	s_or_b32 s38, s39, s38
	s_delay_alu instid0(SALU_CYCLE_1)
	s_and_not1_b32 exec_lo, exec_lo, s38
	s_cbranch_execz .LBB185_13
.LBB185_18:                             ;   Parent Loop BB185_11 Depth=1
                                        ;     Parent Loop BB185_15 Depth=2
                                        ; =>    This Inner Loop Header: Depth=3
	s_mov_b32 s39, 0
	s_mov_b32 s40, exec_lo
	v_cmpx_ne_u32_e64 s33, v23
	s_xor_b32 s40, exec_lo, s40
	s_cbranch_execz .LBB185_20
; %bb.19:                               ;   in Loop: Header=BB185_18 Depth=3
	v_add_nc_u32_e32 v1, 1, v1
	s_mov_b32 s39, exec_lo
                                        ; implicit-def: $vgpr22
	s_delay_alu instid0(VALU_DEP_1)
	v_and_b32_e32 v1, 0x1ff, v1
	s_and_not1_saveexec_b32 s40, s40
	s_cbranch_execz .LBB185_22
	s_branch .LBB185_21
.LBB185_20:                             ;   in Loop: Header=BB185_18 Depth=3
	s_and_not1_saveexec_b32 s40, s40
	s_cbranch_execz .LBB185_22
.LBB185_21:                             ;   in Loop: Header=BB185_18 Depth=3
	v_mov_b32_e32 v23, s33
	s_and_not1_b32 s39, s39, exec_lo
	ds_cmpstore_rtn_b32 v22, v22, v21, v23
	s_wait_dscnt 0x0
	v_cmp_ne_u32_e32 vcc_lo, s33, v22
	s_and_b32 s41, vcc_lo, exec_lo
	s_delay_alu instid0(SALU_CYCLE_1)
	s_or_b32 s39, s39, s41
.LBB185_22:                             ;   in Loop: Header=BB185_18 Depth=3
	s_or_b32 exec_lo, exec_lo, s40
	s_mov_b32 s40, -1
                                        ; implicit-def: $vgpr22
                                        ; implicit-def: $vgpr23
	s_and_saveexec_b32 s41, s39
	s_cbranch_execz .LBB185_17
; %bb.23:                               ;   in Loop: Header=BB185_18 Depth=3
	v_lshl_add_u32 v22, v1, 2, 0
	ds_load_b32 v23, v22
	s_wait_dscnt 0x0
	v_cmp_eq_u32_e32 vcc_lo, v23, v21
	s_or_not1_b32 s40, vcc_lo, exec_lo
	s_branch .LBB185_17
.LBB185_24:
	s_or_b32 exec_lo, exec_lo, s3
.LBB185_25:
	s_delay_alu instid0(SALU_CYCLE_1)
	s_and_not1_b32 vcc_lo, exec_lo, s36
	s_cbranch_vccnz .LBB185_28
; %bb.26:
	s_wait_kmcnt 0x0
	s_ashr_i32 s29, s28, 31
	v_mov_b32_e32 v1, 0
	s_lshl_b64 s[0:1], s[28:29], 3
	s_delay_alu instid0(SALU_CYCLE_1) | instskip(SKIP_4) | instid1(SALU_CYCLE_1)
	s_add_nc_u64 s[0:1], s[4:5], s[0:1]
	s_load_b128 s[12:15], s[0:1], 0x0
	s_wait_xcnt 0x0
	s_mov_b32 s1, 0
	s_mov_b32 s0, s23
	v_sub_nc_u64_e64 v[4:5], v[0:1], s[0:1]
	s_wait_kmcnt 0x0
	s_delay_alu instid0(VALU_DEP_1) | instskip(SKIP_2) | instid1(VALU_DEP_1)
	v_add_nc_u64_e32 v[4:5], s[12:13], v[4:5]
	s_sub_nc_u64 s[4:5], s[14:15], s[0:1]
	s_mov_b32 s0, exec_lo
	v_cmpx_gt_i64_e64 s[4:5], v[4:5]
	s_cbranch_execnz .LBB185_43
.LBB185_27:
	s_or_b32 exec_lo, exec_lo, s0
.LBB185_28:
	s_wait_dscnt 0x0
	s_barrier_signal -1
	s_barrier_wait -1
	s_and_saveexec_b32 s4, s2
	s_cbranch_execz .LBB185_52
; %bb.29:
	v_mbcnt_lo_u32_b32 v2, -1, 0
	v_dual_lshrrev_b32 v3, 4, v0 :: v_dual_mov_b32 v1, 0
	s_wait_xcnt 0x0
	v_cmp_lt_u32_e64 s0, 63, v0
	v_cmp_lt_u32_e64 s1, 0x7f, v0
	s_delay_alu instid0(VALU_DEP_3)
	v_dual_mov_b32 v7, 0 :: v_dual_bitop2_b32 v3, 12, v3 bitop3:0x40
	v_xor_b32_e32 v2, 31, v2
	v_cmp_lt_u32_e64 s2, 0xbf, v0
	v_add3_u32 v6, v20, 0, 0x800
	s_mov_b32 s5, 0
	v_add_nc_u32_e32 v3, 0, v3
	v_lshrrev_b32_e64 v2, v2, -1
	v_cmp_eq_u32_e32 vcc_lo, 0xff, v0
	s_branch .LBB185_31
.LBB185_30:                             ;   in Loop: Header=BB185_31 Depth=1
	s_or_b32 exec_lo, exec_lo, s3
	s_wait_dscnt 0x0
	s_barrier_signal -1
	s_barrier_wait -1
	ds_load_b32 v4, v1 offset:6156
	v_add_co_u32 v18, s3, 0x100, v18
	s_xor_b32 s3, s3, -1
	v_add_nc_u32_e32 v6, 0x800, v6
	v_add_nc_u32_e32 v19, 0x400, v19
	s_and_b32 s3, exec_lo, s3
	s_delay_alu instid0(SALU_CYCLE_1)
	s_or_b32 s5, s3, s5
	s_wait_dscnt 0x0
	v_add_nc_u32_e32 v7, v4, v7
	s_and_not1_b32 exec_lo, exec_lo, s5
	s_cbranch_execz .LBB185_52
.LBB185_31:                             ; =>This Inner Loop Header: Depth=1
	ds_load_b32 v8, v19
	ds_load_b64 v[4:5], v6
	s_wait_dscnt 0x0
	s_barrier_signal -1
	s_barrier_wait -1
	v_cmp_gt_i32_e64 s3, s33, v8
	s_bcnt1_i32_b32 s6, s3
	s_delay_alu instid0(SALU_CYCLE_1) | instskip(NEXT) | instid1(VALU_DEP_1)
	v_dual_mov_b32 v10, s6 :: v_dual_bitop2_b32 v9, s3, v2 bitop3:0x40
	v_bcnt_u32_b32 v9, v9, 0
	ds_store_b32 v3, v10 offset:6144
	s_wait_dscnt 0x0
	s_barrier_signal -1
	s_barrier_wait -1
	s_and_saveexec_b32 s6, s0
	s_cbranch_execz .LBB185_36
; %bb.32:                               ;   in Loop: Header=BB185_31 Depth=1
	ds_load_b32 v10, v1 offset:6144
	s_wait_dscnt 0x0
	v_add_nc_u32_e32 v9, v10, v9
	s_or_b32 exec_lo, exec_lo, s6
	s_and_saveexec_b32 s6, s1
	s_cbranch_execnz .LBB185_37
.LBB185_33:                             ;   in Loop: Header=BB185_31 Depth=1
	s_or_b32 exec_lo, exec_lo, s6
	s_and_saveexec_b32 s6, s2
	s_cbranch_execz .LBB185_38
.LBB185_34:                             ;   in Loop: Header=BB185_31 Depth=1
	ds_load_b32 v10, v1 offset:6152
	s_wait_dscnt 0x0
	v_add_nc_u32_e32 v9, v10, v9
	s_or_b32 exec_lo, exec_lo, s6
	s_and_saveexec_b32 s6, s3
	s_cbranch_execnz .LBB185_39
.LBB185_35:                             ;   in Loop: Header=BB185_31 Depth=1
	s_or_b32 exec_lo, exec_lo, s6
	s_and_saveexec_b32 s3, vcc_lo
	s_cbranch_execz .LBB185_30
	s_branch .LBB185_40
.LBB185_36:                             ;   in Loop: Header=BB185_31 Depth=1
	s_or_b32 exec_lo, exec_lo, s6
	s_and_saveexec_b32 s6, s1
	s_cbranch_execz .LBB185_33
.LBB185_37:                             ;   in Loop: Header=BB185_31 Depth=1
	ds_load_b32 v10, v1 offset:6148
	s_wait_dscnt 0x0
	v_add_nc_u32_e32 v9, v10, v9
	s_or_b32 exec_lo, exec_lo, s6
	s_and_saveexec_b32 s6, s2
	s_cbranch_execnz .LBB185_34
.LBB185_38:                             ;   in Loop: Header=BB185_31 Depth=1
	s_or_b32 exec_lo, exec_lo, s6
	s_and_saveexec_b32 s6, s3
	s_cbranch_execz .LBB185_35
.LBB185_39:                             ;   in Loop: Header=BB185_31 Depth=1
	s_delay_alu instid0(VALU_DEP_1) | instskip(SKIP_1) | instid1(VALU_DEP_2)
	v_add3_u32 v10, v7, -1, v9
	v_add_nc_u32_e32 v11, v7, v9
	v_lshl_add_u32 v10, v10, 2, 0
	s_delay_alu instid0(VALU_DEP_2)
	v_lshl_add_u32 v11, v11, 3, 0
	ds_store_b32 v10, v8
	ds_store_b64 v11, v[4:5] offset:2040
	s_or_b32 exec_lo, exec_lo, s6
	s_and_saveexec_b32 s3, vcc_lo
	s_cbranch_execz .LBB185_30
.LBB185_40:                             ;   in Loop: Header=BB185_31 Depth=1
	ds_store_b32 v1, v9 offset:6156
	s_branch .LBB185_30
.LBB185_41:                             ;   in Loop: Header=BB185_43 Depth=1
	s_or_b32 exec_lo, exec_lo, s12
.LBB185_42:                             ;   in Loop: Header=BB185_43 Depth=1
	s_delay_alu instid0(SALU_CYCLE_1) | instskip(SKIP_4) | instid1(VALU_DEP_1)
	s_or_b32 exec_lo, exec_lo, s3
	s_wait_loadcnt 0x0
	v_mul_f64_e32 v[6:7], v[2:3], v[6:7]
	v_lshl_add_u32 v1, v1, 3, 0
	v_add_nc_u64_e32 v[4:5], 0x100, v[4:5]
	v_cmp_le_i64_e32 vcc_lo, s[4:5], v[4:5]
	s_or_b32 s1, vcc_lo, s1
	ds_add_f64 v1, v[6:7] offset:2048
	s_and_not1_b32 exec_lo, exec_lo, s1
	s_cbranch_execz .LBB185_27
.LBB185_43:                             ; =>This Loop Header: Depth=1
                                        ;     Child Loop BB185_46 Depth 2
	v_lshl_add_u64 v[6:7], v[4:5], 2, s[6:7]
	s_mov_b32 s3, exec_lo
	global_load_b32 v1, v[6:7], off
	s_wait_xcnt 0x0
	v_lshl_add_u64 v[6:7], v[4:5], 3, s[8:9]
	global_load_b64 v[6:7], v[6:7], off
	s_wait_loadcnt 0x1
	v_subrev_nc_u32_e32 v8, s23, v1
	s_delay_alu instid0(VALU_DEP_1) | instskip(NEXT) | instid1(VALU_DEP_1)
	v_mul_lo_u32 v1, 0x89, v8
	v_and_b32_e32 v1, 0x1ff, v1
	s_delay_alu instid0(VALU_DEP_1)
	v_lshl_add_u32 v9, v1, 2, 0
	ds_load_b32 v10, v9
	s_wait_dscnt 0x0
	s_wait_xcnt 0x0
	v_cmpx_ne_u32_e64 v10, v8
	s_cbranch_execz .LBB185_42
; %bb.44:                               ;   in Loop: Header=BB185_43 Depth=1
	s_mov_b32 s12, 0
	s_branch .LBB185_46
.LBB185_45:                             ;   in Loop: Header=BB185_46 Depth=2
	s_or_b32 exec_lo, exec_lo, s15
	s_delay_alu instid0(SALU_CYCLE_1) | instskip(NEXT) | instid1(SALU_CYCLE_1)
	s_and_b32 s13, exec_lo, s14
	s_or_b32 s12, s13, s12
	s_delay_alu instid0(SALU_CYCLE_1)
	s_and_not1_b32 exec_lo, exec_lo, s12
	s_cbranch_execz .LBB185_41
.LBB185_46:                             ;   Parent Loop BB185_43 Depth=1
                                        ; =>  This Inner Loop Header: Depth=2
	s_mov_b32 s13, 0
	s_mov_b32 s14, exec_lo
	v_cmpx_ne_u32_e64 s33, v10
	s_xor_b32 s14, exec_lo, s14
	s_cbranch_execz .LBB185_48
; %bb.47:                               ;   in Loop: Header=BB185_46 Depth=2
	v_add_nc_u32_e32 v1, 1, v1
	s_mov_b32 s13, exec_lo
                                        ; implicit-def: $vgpr9
	s_delay_alu instid0(VALU_DEP_1)
	v_and_b32_e32 v1, 0x1ff, v1
	s_and_not1_saveexec_b32 s14, s14
	s_cbranch_execz .LBB185_50
	s_branch .LBB185_49
.LBB185_48:                             ;   in Loop: Header=BB185_46 Depth=2
	s_and_not1_saveexec_b32 s14, s14
	s_cbranch_execz .LBB185_50
.LBB185_49:                             ;   in Loop: Header=BB185_46 Depth=2
	v_mov_b32_e32 v10, s33
	s_and_not1_b32 s13, s13, exec_lo
	ds_cmpstore_rtn_b32 v9, v9, v8, v10
	s_wait_dscnt 0x0
	v_cmp_ne_u32_e32 vcc_lo, s33, v9
	s_and_b32 s15, vcc_lo, exec_lo
	s_delay_alu instid0(SALU_CYCLE_1)
	s_or_b32 s13, s13, s15
.LBB185_50:                             ;   in Loop: Header=BB185_46 Depth=2
	s_or_b32 exec_lo, exec_lo, s14
	s_mov_b32 s14, -1
                                        ; implicit-def: $vgpr9
                                        ; implicit-def: $vgpr10
	s_and_saveexec_b32 s15, s13
	s_cbranch_execz .LBB185_45
; %bb.51:                               ;   in Loop: Header=BB185_46 Depth=2
	v_lshl_add_u32 v9, v1, 2, 0
	ds_load_b32 v10, v9
	s_wait_dscnt 0x0
	v_cmp_eq_u32_e32 vcc_lo, v10, v8
	s_or_not1_b32 s14, vcc_lo, exec_lo
	s_branch .LBB185_45
.LBB185_52:
	s_or_b32 exec_lo, exec_lo, s4
	s_wait_kmcnt 0x0
	s_ashr_i32 s29, s28, 31
	s_delay_alu instid0(SALU_CYCLE_1) | instskip(NEXT) | instid1(SALU_CYCLE_1)
	s_lshl_b64 s[0:1], s[28:29], 3
	s_add_nc_u64 s[4:5], s[10:11], s[0:1]
	s_load_b128 s[0:3], s[4:5], 0x0
	s_wait_xcnt 0x0
	s_mov_b32 s4, exec_lo
	s_wait_kmcnt 0x0
	s_sub_co_i32 s3, s2, s0
	s_delay_alu instid0(SALU_CYCLE_1)
	v_cmpx_gt_i32_e64 s3, v0
	s_cbranch_execz .LBB185_62
; %bb.53:
	s_sub_co_i32 s4, s0, s2
	s_and_b32 s2, s3, 7
	s_cmp_lt_u32 s4, -7
	s_mov_b32 s23, 0
	s_cselect_b32 s4, -1, 0
	s_and_b32 s5, s3, -8
	s_cmp_lg_u32 s2, 0
	s_sub_nc_u64 s[0:1], s[0:1], s[22:23]
	s_cselect_b32 s6, -1, 0
	s_mov_b32 s7, 0
	s_branch .LBB185_55
.LBB185_54:                             ;   in Loop: Header=BB185_55 Depth=1
	v_add_nc_u32_e32 v0, 0x100, v0
	s_delay_alu instid0(VALU_DEP_2) | instskip(NEXT) | instid1(VALU_DEP_2)
	v_lshl_add_u64 v[4:5], v[4:5], 3, s[34:35]
	v_cmp_le_i32_e32 vcc_lo, s3, v0
	s_wait_dscnt 0x0
	global_store_b64 v[4:5], v[2:3], off
	s_or_b32 s7, vcc_lo, s7
	s_wait_xcnt 0x0
	s_and_not1_b32 exec_lo, exec_lo, s7
	s_cbranch_execz .LBB185_62
.LBB185_55:                             ; =>This Loop Header: Depth=1
                                        ;     Child Loop BB185_57 Depth 2
                                        ;     Child Loop BB185_61 Depth 2
	v_lshlrev_b32_e32 v1, 2, v0
	v_mov_b64_e32 v[4:5], s[0:1]
	s_and_not1_b32 vcc_lo, exec_lo, s4
	s_mov_b32 s8, 0
	s_delay_alu instid0(VALU_DEP_2) | instskip(NEXT) | instid1(VALU_DEP_1)
	v_add_nc_u32_e32 v2, 0, v1
	v_add_nc_u32_e32 v3, v2, v1
	ds_load_b32 v1, v2
	ds_load_b64 v[2:3], v3 offset:2048
	s_cbranch_vccnz .LBB185_59
; %bb.56:                               ;   in Loop: Header=BB185_55 Depth=1
	v_mov_b64_e32 v[4:5], s[0:1]
	s_mov_b32 s9, 0
.LBB185_57:                             ;   Parent Loop BB185_55 Depth=1
                                        ; =>  This Inner Loop Header: Depth=2
	s_delay_alu instid0(SALU_CYCLE_1)
	v_dual_mov_b32 v10, s9 :: v_dual_mov_b32 v11, s23
	v_mov_b32_e32 v17, s23
	s_add_co_i32 s8, s8, 8
	s_add_co_i32 s9, s9, 32
	ds_load_2addr_b32 v[6:7], v10 offset1:1
	ds_load_2addr_b32 v[8:9], v10 offset0:2 offset1:3
	ds_load_2addr_b32 v[12:13], v10 offset0:4 offset1:5
	;; [unrolled: 1-line block ×3, first 2 shown]
	s_cmp_eq_u32 s5, s8
	s_wait_dscnt 0x3
	v_cmp_gt_i32_e32 vcc_lo, v1, v6
	v_cndmask_b32_e64 v10, 0, 1, vcc_lo
	v_cmp_gt_i32_e32 vcc_lo, v1, v7
	v_mov_b32_e32 v7, s23
	s_delay_alu instid0(VALU_DEP_3) | instskip(SKIP_4) | instid1(VALU_DEP_3)
	v_add_nc_u64_e32 v[4:5], v[4:5], v[10:11]
	v_cndmask_b32_e64 v16, 0, 1, vcc_lo
	s_wait_dscnt 0x2
	v_cmp_gt_i32_e32 vcc_lo, v1, v8
	v_cndmask_b32_e64 v6, 0, 1, vcc_lo
	v_add_nc_u64_e32 v[4:5], v[4:5], v[16:17]
	v_cmp_gt_i32_e32 vcc_lo, v1, v9
	v_mov_b32_e32 v9, s23
	v_cndmask_b32_e64 v10, 0, 1, vcc_lo
	s_delay_alu instid0(VALU_DEP_4) | instskip(SKIP_3) | instid1(VALU_DEP_3)
	v_add_nc_u64_e32 v[4:5], v[4:5], v[6:7]
	s_wait_dscnt 0x1
	v_cmp_gt_i32_e32 vcc_lo, v1, v12
	v_cndmask_b32_e64 v6, 0, 1, vcc_lo
	v_add_nc_u64_e32 v[4:5], v[4:5], v[10:11]
	v_cmp_gt_i32_e32 vcc_lo, v1, v13
	v_cndmask_b32_e64 v8, 0, 1, vcc_lo
	s_delay_alu instid0(VALU_DEP_3) | instskip(SKIP_3) | instid1(VALU_DEP_3)
	v_add_nc_u64_e32 v[4:5], v[4:5], v[6:7]
	s_wait_dscnt 0x0
	v_cmp_gt_i32_e32 vcc_lo, v1, v14
	v_cndmask_b32_e64 v6, 0, 1, vcc_lo
	v_add_nc_u64_e32 v[4:5], v[4:5], v[8:9]
	v_cmp_gt_i32_e32 vcc_lo, v1, v15
	v_cndmask_b32_e64 v8, 0, 1, vcc_lo
	s_delay_alu instid0(VALU_DEP_3) | instskip(NEXT) | instid1(VALU_DEP_1)
	v_add_nc_u64_e32 v[4:5], v[4:5], v[6:7]
	v_add_nc_u64_e32 v[4:5], v[4:5], v[8:9]
	s_cbranch_scc0 .LBB185_57
; %bb.58:                               ;   in Loop: Header=BB185_55 Depth=1
	s_mov_b32 s8, s5
.LBB185_59:                             ;   in Loop: Header=BB185_55 Depth=1
	s_and_not1_b32 vcc_lo, exec_lo, s6
	s_cbranch_vccnz .LBB185_54
; %bb.60:                               ;   in Loop: Header=BB185_55 Depth=1
	s_lshl_b32 s8, s8, 2
	s_mov_b32 s9, s2
	s_add_co_i32 s8, s8, 0
.LBB185_61:                             ;   Parent Loop BB185_55 Depth=1
                                        ; =>  This Inner Loop Header: Depth=2
	s_delay_alu instid0(SALU_CYCLE_1)
	v_dual_mov_b32 v6, s8 :: v_dual_mov_b32 v7, s23
	s_add_co_i32 s9, s9, -1
	s_add_co_i32 s8, s8, 4
	s_cmp_lg_u32 s9, 0
	ds_load_b32 v6, v6
	s_wait_dscnt 0x0
	v_cmp_gt_i32_e32 vcc_lo, v1, v6
	v_cndmask_b32_e64 v6, 0, 1, vcc_lo
	s_delay_alu instid0(VALU_DEP_1)
	v_add_nc_u64_e32 v[4:5], v[4:5], v[6:7]
	s_cbranch_scc1 .LBB185_61
	s_branch .LBB185_54
.LBB185_62:
	s_endpgm
	.section	.rodata,"a",@progbits
	.p2align	6, 0x0
	.amdhsa_kernel _ZN9rocsparseL41csrgemm_numeric_fill_block_per_row_kernelILj256ELj32ELj512ELj137ELj64ElidEEvT5_PKS1_S3_NS_24const_host_device_scalarIT6_EEPKT4_S3_PKS5_S9_S3_SB_S6_S9_S3_SB_S9_S3_PS5_21rocsparse_index_base_SD_SD_SD_bbb
		.amdhsa_group_segment_fixed_size 0
		.amdhsa_private_segment_fixed_size 0
		.amdhsa_kernarg_size 156
		.amdhsa_user_sgpr_count 2
		.amdhsa_user_sgpr_dispatch_ptr 0
		.amdhsa_user_sgpr_queue_ptr 0
		.amdhsa_user_sgpr_kernarg_segment_ptr 1
		.amdhsa_user_sgpr_dispatch_id 0
		.amdhsa_user_sgpr_kernarg_preload_length 0
		.amdhsa_user_sgpr_kernarg_preload_offset 0
		.amdhsa_user_sgpr_private_segment_size 0
		.amdhsa_wavefront_size32 1
		.amdhsa_uses_dynamic_stack 0
		.amdhsa_enable_private_segment 0
		.amdhsa_system_sgpr_workgroup_id_x 1
		.amdhsa_system_sgpr_workgroup_id_y 0
		.amdhsa_system_sgpr_workgroup_id_z 0
		.amdhsa_system_sgpr_workgroup_info 0
		.amdhsa_system_vgpr_workitem_id 0
		.amdhsa_next_free_vgpr 24
		.amdhsa_next_free_sgpr 44
		.amdhsa_named_barrier_count 0
		.amdhsa_reserve_vcc 1
		.amdhsa_float_round_mode_32 0
		.amdhsa_float_round_mode_16_64 0
		.amdhsa_float_denorm_mode_32 3
		.amdhsa_float_denorm_mode_16_64 3
		.amdhsa_fp16_overflow 0
		.amdhsa_memory_ordered 1
		.amdhsa_forward_progress 1
		.amdhsa_inst_pref_size 21
		.amdhsa_round_robin_scheduling 0
		.amdhsa_exception_fp_ieee_invalid_op 0
		.amdhsa_exception_fp_denorm_src 0
		.amdhsa_exception_fp_ieee_div_zero 0
		.amdhsa_exception_fp_ieee_overflow 0
		.amdhsa_exception_fp_ieee_underflow 0
		.amdhsa_exception_fp_ieee_inexact 0
		.amdhsa_exception_int_div_zero 0
	.end_amdhsa_kernel
	.section	.text._ZN9rocsparseL41csrgemm_numeric_fill_block_per_row_kernelILj256ELj32ELj512ELj137ELj64ElidEEvT5_PKS1_S3_NS_24const_host_device_scalarIT6_EEPKT4_S3_PKS5_S9_S3_SB_S6_S9_S3_SB_S9_S3_PS5_21rocsparse_index_base_SD_SD_SD_bbb,"axG",@progbits,_ZN9rocsparseL41csrgemm_numeric_fill_block_per_row_kernelILj256ELj32ELj512ELj137ELj64ElidEEvT5_PKS1_S3_NS_24const_host_device_scalarIT6_EEPKT4_S3_PKS5_S9_S3_SB_S6_S9_S3_SB_S9_S3_PS5_21rocsparse_index_base_SD_SD_SD_bbb,comdat
.Lfunc_end185:
	.size	_ZN9rocsparseL41csrgemm_numeric_fill_block_per_row_kernelILj256ELj32ELj512ELj137ELj64ElidEEvT5_PKS1_S3_NS_24const_host_device_scalarIT6_EEPKT4_S3_PKS5_S9_S3_SB_S6_S9_S3_SB_S9_S3_PS5_21rocsparse_index_base_SD_SD_SD_bbb, .Lfunc_end185-_ZN9rocsparseL41csrgemm_numeric_fill_block_per_row_kernelILj256ELj32ELj512ELj137ELj64ElidEEvT5_PKS1_S3_NS_24const_host_device_scalarIT6_EEPKT4_S3_PKS5_S9_S3_SB_S6_S9_S3_SB_S9_S3_PS5_21rocsparse_index_base_SD_SD_SD_bbb
                                        ; -- End function
	.set _ZN9rocsparseL41csrgemm_numeric_fill_block_per_row_kernelILj256ELj32ELj512ELj137ELj64ElidEEvT5_PKS1_S3_NS_24const_host_device_scalarIT6_EEPKT4_S3_PKS5_S9_S3_SB_S6_S9_S3_SB_S9_S3_PS5_21rocsparse_index_base_SD_SD_SD_bbb.num_vgpr, 24
	.set _ZN9rocsparseL41csrgemm_numeric_fill_block_per_row_kernelILj256ELj32ELj512ELj137ELj64ElidEEvT5_PKS1_S3_NS_24const_host_device_scalarIT6_EEPKT4_S3_PKS5_S9_S3_SB_S6_S9_S3_SB_S9_S3_PS5_21rocsparse_index_base_SD_SD_SD_bbb.num_agpr, 0
	.set _ZN9rocsparseL41csrgemm_numeric_fill_block_per_row_kernelILj256ELj32ELj512ELj137ELj64ElidEEvT5_PKS1_S3_NS_24const_host_device_scalarIT6_EEPKT4_S3_PKS5_S9_S3_SB_S6_S9_S3_SB_S9_S3_PS5_21rocsparse_index_base_SD_SD_SD_bbb.numbered_sgpr, 44
	.set _ZN9rocsparseL41csrgemm_numeric_fill_block_per_row_kernelILj256ELj32ELj512ELj137ELj64ElidEEvT5_PKS1_S3_NS_24const_host_device_scalarIT6_EEPKT4_S3_PKS5_S9_S3_SB_S6_S9_S3_SB_S9_S3_PS5_21rocsparse_index_base_SD_SD_SD_bbb.num_named_barrier, 0
	.set _ZN9rocsparseL41csrgemm_numeric_fill_block_per_row_kernelILj256ELj32ELj512ELj137ELj64ElidEEvT5_PKS1_S3_NS_24const_host_device_scalarIT6_EEPKT4_S3_PKS5_S9_S3_SB_S6_S9_S3_SB_S9_S3_PS5_21rocsparse_index_base_SD_SD_SD_bbb.private_seg_size, 0
	.set _ZN9rocsparseL41csrgemm_numeric_fill_block_per_row_kernelILj256ELj32ELj512ELj137ELj64ElidEEvT5_PKS1_S3_NS_24const_host_device_scalarIT6_EEPKT4_S3_PKS5_S9_S3_SB_S6_S9_S3_SB_S9_S3_PS5_21rocsparse_index_base_SD_SD_SD_bbb.uses_vcc, 1
	.set _ZN9rocsparseL41csrgemm_numeric_fill_block_per_row_kernelILj256ELj32ELj512ELj137ELj64ElidEEvT5_PKS1_S3_NS_24const_host_device_scalarIT6_EEPKT4_S3_PKS5_S9_S3_SB_S6_S9_S3_SB_S9_S3_PS5_21rocsparse_index_base_SD_SD_SD_bbb.uses_flat_scratch, 0
	.set _ZN9rocsparseL41csrgemm_numeric_fill_block_per_row_kernelILj256ELj32ELj512ELj137ELj64ElidEEvT5_PKS1_S3_NS_24const_host_device_scalarIT6_EEPKT4_S3_PKS5_S9_S3_SB_S6_S9_S3_SB_S9_S3_PS5_21rocsparse_index_base_SD_SD_SD_bbb.has_dyn_sized_stack, 0
	.set _ZN9rocsparseL41csrgemm_numeric_fill_block_per_row_kernelILj256ELj32ELj512ELj137ELj64ElidEEvT5_PKS1_S3_NS_24const_host_device_scalarIT6_EEPKT4_S3_PKS5_S9_S3_SB_S6_S9_S3_SB_S9_S3_PS5_21rocsparse_index_base_SD_SD_SD_bbb.has_recursion, 0
	.set _ZN9rocsparseL41csrgemm_numeric_fill_block_per_row_kernelILj256ELj32ELj512ELj137ELj64ElidEEvT5_PKS1_S3_NS_24const_host_device_scalarIT6_EEPKT4_S3_PKS5_S9_S3_SB_S6_S9_S3_SB_S9_S3_PS5_21rocsparse_index_base_SD_SD_SD_bbb.has_indirect_call, 0
	.section	.AMDGPU.csdata,"",@progbits
; Kernel info:
; codeLenInByte = 2652
; TotalNumSgprs: 46
; NumVgprs: 24
; ScratchSize: 0
; MemoryBound: 0
; FloatMode: 240
; IeeeMode: 1
; LDSByteSize: 0 bytes/workgroup (compile time only)
; SGPRBlocks: 0
; VGPRBlocks: 1
; NumSGPRsForWavesPerEU: 46
; NumVGPRsForWavesPerEU: 24
; NamedBarCnt: 0
; Occupancy: 16
; WaveLimiterHint : 1
; COMPUTE_PGM_RSRC2:SCRATCH_EN: 0
; COMPUTE_PGM_RSRC2:USER_SGPR: 2
; COMPUTE_PGM_RSRC2:TRAP_HANDLER: 0
; COMPUTE_PGM_RSRC2:TGID_X_EN: 1
; COMPUTE_PGM_RSRC2:TGID_Y_EN: 0
; COMPUTE_PGM_RSRC2:TGID_Z_EN: 0
; COMPUTE_PGM_RSRC2:TIDIG_COMP_CNT: 0
	.section	.text._ZN9rocsparseL41csrgemm_numeric_fill_block_per_row_kernelILj512ELj32ELj1024ELj137ELj32ElidEEvT5_PKS1_S3_NS_24const_host_device_scalarIT6_EEPKT4_S3_PKS5_S9_S3_SB_S6_S9_S3_SB_S9_S3_PS5_21rocsparse_index_base_SD_SD_SD_bbb,"axG",@progbits,_ZN9rocsparseL41csrgemm_numeric_fill_block_per_row_kernelILj512ELj32ELj1024ELj137ELj32ElidEEvT5_PKS1_S3_NS_24const_host_device_scalarIT6_EEPKT4_S3_PKS5_S9_S3_SB_S6_S9_S3_SB_S9_S3_PS5_21rocsparse_index_base_SD_SD_SD_bbb,comdat
	.globl	_ZN9rocsparseL41csrgemm_numeric_fill_block_per_row_kernelILj512ELj32ELj1024ELj137ELj32ElidEEvT5_PKS1_S3_NS_24const_host_device_scalarIT6_EEPKT4_S3_PKS5_S9_S3_SB_S6_S9_S3_SB_S9_S3_PS5_21rocsparse_index_base_SD_SD_SD_bbb ; -- Begin function _ZN9rocsparseL41csrgemm_numeric_fill_block_per_row_kernelILj512ELj32ELj1024ELj137ELj32ElidEEvT5_PKS1_S3_NS_24const_host_device_scalarIT6_EEPKT4_S3_PKS5_S9_S3_SB_S6_S9_S3_SB_S9_S3_PS5_21rocsparse_index_base_SD_SD_SD_bbb
	.p2align	8
	.type	_ZN9rocsparseL41csrgemm_numeric_fill_block_per_row_kernelILj512ELj32ELj1024ELj137ELj32ElidEEvT5_PKS1_S3_NS_24const_host_device_scalarIT6_EEPKT4_S3_PKS5_S9_S3_SB_S6_S9_S3_SB_S9_S3_PS5_21rocsparse_index_base_SD_SD_SD_bbb,@function
_ZN9rocsparseL41csrgemm_numeric_fill_block_per_row_kernelILj512ELj32ELj1024ELj137ELj32ElidEEvT5_PKS1_S3_NS_24const_host_device_scalarIT6_EEPKT4_S3_PKS5_S9_S3_SB_S6_S9_S3_SB_S9_S3_PS5_21rocsparse_index_base_SD_SD_SD_bbb: ; @_ZN9rocsparseL41csrgemm_numeric_fill_block_per_row_kernelILj512ELj32ELj1024ELj137ELj32ElidEEvT5_PKS1_S3_NS_24const_host_device_scalarIT6_EEPKT4_S3_PKS5_S9_S3_SB_S6_S9_S3_SB_S9_S3_PS5_21rocsparse_index_base_SD_SD_SD_bbb
; %bb.0:
	s_clause 0x3
	s_load_b32 s6, s[0:1], 0x98
	s_load_b64 s[4:5], s[0:1], 0x18
	s_load_b128 s[20:23], s[0:1], 0x88
	s_load_b64 s[2:3], s[0:1], 0x50
	s_wait_kmcnt 0x0
	s_bitcmp1_b32 s6, 0
	s_cselect_b32 s37, -1, 0
	s_bitcmp1_b32 s6, 16
	s_cselect_b32 s7, -1, 0
	s_xor_b32 s8, s37, -1
	s_delay_alu instid0(SALU_CYCLE_1)
	s_or_b32 s10, s7, s8
	s_and_b32 s8, s37, exec_lo
	s_cselect_b32 s9, s5, 0
	s_cselect_b32 s8, s4, 0
	s_and_b32 vcc_lo, exec_lo, s10
	v_mov_b64_e32 v[6:7], s[8:9]
	s_cbranch_vccnz .LBB186_2
; %bb.1:
	v_mov_b32_e32 v1, 0
	flat_load_b64 v[6:7], v1, s[4:5]
.LBB186_2:
	s_load_b128 s[28:31], s[0:1], 0x8
	s_bitcmp1_b32 s6, 8
	s_cselect_b32 s36, -1, 0
	s_delay_alu instid0(SALU_CYCLE_1) | instskip(NEXT) | instid1(SALU_CYCLE_1)
	s_xor_b32 s4, s36, -1
	s_or_b32 s6, s7, s4
	s_and_b32 s4, s36, exec_lo
	s_cselect_b32 s5, s3, 0
	s_cselect_b32 s4, s2, 0
	s_and_b32 vcc_lo, exec_lo, s6
	v_mov_b64_e32 v[2:3], s[4:5]
	s_cbranch_vccnz .LBB186_4
; %bb.3:
	v_mov_b32_e32 v1, 0
	flat_load_b64 v[2:3], v1, s[2:3]
.LBB186_4:
	s_clause 0x4
	s_load_b32 s33, s[0:1], 0x0
	s_load_b64 s[34:35], s[0:1], 0x80
	s_load_b256 s[12:19], s[0:1], 0x58
	s_load_b128 s[24:27], s[0:1], 0x40
	s_load_b256 s[4:11], s[0:1], 0x20
	v_or_b32_e32 v21, 0xfffffe00, v0
	v_lshlrev_b32_e32 v1, 3, v0
	v_lshl_add_u32 v20, v0, 2, 0
	v_mov_b64_e32 v[4:5], 0
	s_wait_xcnt 0x0
	s_mov_b32 s0, 0
	v_mov_b32_e32 v8, v21
	v_add3_u32 v22, v1, 0, 0x1000
	s_delay_alu instid0(VALU_DEP_1)
	v_dual_mov_b32 v1, v20 :: v_dual_mov_b32 v10, v22
	s_wait_kmcnt 0x0
	v_mov_b32_e32 v9, s33
.LBB186_5:                              ; =>This Inner Loop Header: Depth=1
	v_add_co_u32 v8, s1, 0x200, v8
	s_xor_b32 s1, s1, -1
	ds_store_b32 v1, v9
	ds_store_b64 v10, v[4:5]
	v_add_nc_u32_e32 v10, 0x1000, v10
	v_add_nc_u32_e32 v1, 0x800, v1
	s_and_b32 s1, exec_lo, s1
	s_delay_alu instid0(SALU_CYCLE_1) | instskip(NEXT) | instid1(SALU_CYCLE_1)
	s_or_b32 s0, s1, s0
	s_and_not1_b32 exec_lo, exec_lo, s0
	s_cbranch_execnz .LBB186_5
; %bb.6:
	s_or_b32 exec_lo, exec_lo, s0
	s_wait_loadcnt_dscnt 0x0
	s_barrier_signal -1
	s_barrier_wait -1
	s_load_b32 s0, s[28:29], 0x0
	s_bfe_u32 s1, ttmp6, 0x4000c
	s_and_b32 s2, ttmp6, 15
	s_add_co_i32 s1, s1, 1
	s_getreg_b32 s3, hwreg(HW_REG_IB_STS2, 6, 4)
	s_mul_i32 s1, ttmp9, s1
	v_lshrrev_b32_e32 v4, 5, v0
	s_add_co_i32 s2, s2, s1
	s_cmp_eq_u32 s3, 0
	s_cselect_b32 s1, ttmp9, s2
	s_and_b32 vcc_lo, s37, exec_lo
	s_wait_kmcnt 0x0
	s_add_co_i32 s0, s0, s1
	s_mov_b32 s1, 0
	s_load_b32 s28, s[30:31], s0 offset:0x0 scale_offset
	s_cbranch_vccz .LBB186_24
; %bb.7:
	s_wait_kmcnt 0x0
	s_ashr_i32 s29, s28, 31
	v_mov_b32_e32 v5, 0
	s_lshl_b64 s[2:3], s[28:29], 3
	s_mov_b32 s0, s20
	s_add_nc_u64 s[2:3], s[4:5], s[2:3]
	s_mov_b32 s4, exec_lo
	s_load_b128 s[40:43], s[2:3], 0x0
	v_sub_nc_u64_e64 v[8:9], v[4:5], s[0:1]
	s_wait_kmcnt 0x0
	s_delay_alu instid0(VALU_DEP_1)
	v_add_nc_u64_e32 v[8:9], s[40:41], v[8:9]
	s_sub_nc_u64 s[0:1], s[42:43], s[0:1]
	s_delay_alu instid0(VALU_DEP_1) | instid1(SALU_CYCLE_1)
	v_cmpx_gt_i64_e64 s[0:1], v[8:9]
	s_cbranch_execz .LBB186_23
; %bb.8:
	v_dual_mov_b32 v11, v5 :: v_dual_bitop2_b32 v10, 31, v0 bitop3:0x40
	s_mov_b32 s3, 0
	s_mov_b32 s2, s21
	;; [unrolled: 1-line block ×3, first 2 shown]
	s_delay_alu instid0(VALU_DEP_1)
	v_sub_nc_u64_e64 v[10:11], v[10:11], s[2:3]
	s_branch .LBB186_10
.LBB186_9:                              ;   in Loop: Header=BB186_10 Depth=1
	s_or_b32 exec_lo, exec_lo, s29
	v_add_nc_u64_e32 v[8:9], 16, v[8:9]
	s_delay_alu instid0(VALU_DEP_1) | instskip(SKIP_1) | instid1(SALU_CYCLE_1)
	v_cmp_le_i64_e32 vcc_lo, s[0:1], v[8:9]
	s_or_b32 s5, vcc_lo, s5
	s_and_not1_b32 exec_lo, exec_lo, s5
	s_cbranch_execz .LBB186_23
.LBB186_10:                             ; =>This Loop Header: Depth=1
                                        ;     Child Loop BB186_14 Depth 2
                                        ;       Child Loop BB186_17 Depth 3
	v_lshl_add_u64 v[12:13], v[8:9], 2, s[6:7]
	s_mov_b32 s29, exec_lo
	global_load_b32 v1, v[12:13], off
	s_wait_loadcnt 0x0
	s_wait_xcnt 0x0
	v_subrev_nc_u32_e32 v12, s20, v1
	s_delay_alu instid0(VALU_DEP_1) | instskip(NEXT) | instid1(VALU_DEP_1)
	v_ashrrev_i32_e32 v13, 31, v12
	v_lshl_add_u64 v[12:13], v[12:13], 3, s[10:11]
	global_load_b128 v[14:17], v[12:13], off
	s_wait_loadcnt 0x0
	s_wait_xcnt 0x0
	v_sub_nc_u64_e64 v[12:13], v[16:17], s[2:3]
	v_add_nc_u64_e32 v[14:15], v[14:15], v[10:11]
	s_delay_alu instid0(VALU_DEP_1)
	v_cmpx_lt_i64_e64 v[14:15], v[12:13]
	s_cbranch_execz .LBB186_9
; %bb.11:                               ;   in Loop: Header=BB186_10 Depth=1
	v_lshl_add_u64 v[16:17], v[8:9], 3, s[8:9]
	s_mov_b32 s30, 0
	global_load_b64 v[16:17], v[16:17], off
	s_wait_loadcnt 0x0
	s_wait_xcnt 0x0
	v_mul_f64_e32 v[16:17], v[6:7], v[16:17]
	s_branch .LBB186_14
.LBB186_12:                             ;   in Loop: Header=BB186_14 Depth=2
	s_or_b32 exec_lo, exec_lo, s37
.LBB186_13:                             ;   in Loop: Header=BB186_14 Depth=2
	s_delay_alu instid0(SALU_CYCLE_1) | instskip(SKIP_4) | instid1(VALU_DEP_1)
	s_or_b32 exec_lo, exec_lo, s31
	s_wait_loadcnt 0x0
	v_mul_f64_e32 v[18:19], v[16:17], v[18:19]
	v_lshl_add_u32 v1, v1, 3, 0
	v_add_nc_u64_e32 v[14:15], 32, v[14:15]
	v_cmp_ge_i64_e32 vcc_lo, v[14:15], v[12:13]
	s_or_b32 s30, vcc_lo, s30
	ds_add_f64 v1, v[18:19] offset:4096
	s_and_not1_b32 exec_lo, exec_lo, s30
	s_cbranch_execz .LBB186_9
.LBB186_14:                             ;   Parent Loop BB186_10 Depth=1
                                        ; =>  This Loop Header: Depth=2
                                        ;       Child Loop BB186_17 Depth 3
	v_lshl_add_u64 v[18:19], v[14:15], 2, s[24:25]
	s_mov_b32 s31, exec_lo
	global_load_b32 v1, v[18:19], off
	s_wait_xcnt 0x0
	v_lshl_add_u64 v[18:19], v[14:15], 3, s[26:27]
	global_load_b64 v[18:19], v[18:19], off
	s_wait_loadcnt 0x1
	v_subrev_nc_u32_e32 v5, s21, v1
	s_delay_alu instid0(VALU_DEP_1) | instskip(NEXT) | instid1(VALU_DEP_1)
	v_mul_lo_u32 v1, 0x89, v5
	v_and_b32_e32 v1, 0x3ff, v1
	s_delay_alu instid0(VALU_DEP_1)
	v_lshl_add_u32 v23, v1, 2, 0
	ds_load_b32 v24, v23
	s_wait_dscnt 0x0
	s_wait_xcnt 0x0
	v_cmpx_ne_u32_e64 v24, v5
	s_cbranch_execz .LBB186_13
; %bb.15:                               ;   in Loop: Header=BB186_14 Depth=2
	s_mov_b32 s37, 0
	s_branch .LBB186_17
.LBB186_16:                             ;   in Loop: Header=BB186_17 Depth=3
	s_or_b32 exec_lo, exec_lo, s40
	s_delay_alu instid0(SALU_CYCLE_1) | instskip(NEXT) | instid1(SALU_CYCLE_1)
	s_and_b32 s38, exec_lo, s39
	s_or_b32 s37, s38, s37
	s_delay_alu instid0(SALU_CYCLE_1)
	s_and_not1_b32 exec_lo, exec_lo, s37
	s_cbranch_execz .LBB186_12
.LBB186_17:                             ;   Parent Loop BB186_10 Depth=1
                                        ;     Parent Loop BB186_14 Depth=2
                                        ; =>    This Inner Loop Header: Depth=3
	s_mov_b32 s38, 0
	s_mov_b32 s39, exec_lo
	v_cmpx_ne_u32_e64 s33, v24
	s_xor_b32 s39, exec_lo, s39
	s_cbranch_execz .LBB186_19
; %bb.18:                               ;   in Loop: Header=BB186_17 Depth=3
	v_add_nc_u32_e32 v1, 1, v1
	s_mov_b32 s38, exec_lo
                                        ; implicit-def: $vgpr23
	s_delay_alu instid0(VALU_DEP_1)
	v_and_b32_e32 v1, 0x3ff, v1
	s_and_not1_saveexec_b32 s39, s39
	s_cbranch_execz .LBB186_21
	s_branch .LBB186_20
.LBB186_19:                             ;   in Loop: Header=BB186_17 Depth=3
	s_and_not1_saveexec_b32 s39, s39
	s_cbranch_execz .LBB186_21
.LBB186_20:                             ;   in Loop: Header=BB186_17 Depth=3
	v_mov_b32_e32 v24, s33
	s_and_not1_b32 s38, s38, exec_lo
	ds_cmpstore_rtn_b32 v23, v23, v5, v24
	s_wait_dscnt 0x0
	v_cmp_ne_u32_e32 vcc_lo, s33, v23
	s_and_b32 s40, vcc_lo, exec_lo
	s_delay_alu instid0(SALU_CYCLE_1)
	s_or_b32 s38, s38, s40
.LBB186_21:                             ;   in Loop: Header=BB186_17 Depth=3
	s_or_b32 exec_lo, exec_lo, s39
	s_mov_b32 s39, -1
                                        ; implicit-def: $vgpr23
                                        ; implicit-def: $vgpr24
	s_and_saveexec_b32 s40, s38
	s_cbranch_execz .LBB186_16
; %bb.22:                               ;   in Loop: Header=BB186_17 Depth=3
	v_lshl_add_u32 v23, v1, 2, 0
	ds_load_b32 v24, v23
	s_wait_dscnt 0x0
	v_cmp_eq_u32_e32 vcc_lo, v24, v5
	s_or_not1_b32 s39, vcc_lo, exec_lo
	s_branch .LBB186_16
.LBB186_23:
	s_or_b32 exec_lo, exec_lo, s4
.LBB186_24:
	s_delay_alu instid0(SALU_CYCLE_1)
	s_and_not1_b32 vcc_lo, exec_lo, s36
	s_cbranch_vccnz .LBB186_27
; %bb.25:
	s_wait_kmcnt 0x0
	s_ashr_i32 s29, s28, 31
	v_mov_b32_e32 v1, 0
	s_lshl_b64 s[0:1], s[28:29], 3
	s_delay_alu instid0(SALU_CYCLE_1) | instskip(SKIP_4) | instid1(SALU_CYCLE_1)
	s_add_nc_u64 s[0:1], s[12:13], s[0:1]
	s_load_b128 s[4:7], s[0:1], 0x0
	s_wait_xcnt 0x0
	s_mov_b32 s1, 0
	s_mov_b32 s0, s23
	v_sub_nc_u64_e64 v[6:7], v[0:1], s[0:1]
	s_wait_kmcnt 0x0
	s_delay_alu instid0(VALU_DEP_1) | instskip(SKIP_2) | instid1(VALU_DEP_1)
	v_add_nc_u64_e32 v[6:7], s[4:5], v[6:7]
	s_sub_nc_u64 s[2:3], s[6:7], s[0:1]
	s_mov_b32 s0, exec_lo
	v_cmpx_gt_i64_e64 s[2:3], v[6:7]
	s_cbranch_execnz .LBB186_65
.LBB186_26:
	s_or_b32 exec_lo, exec_lo, s0
.LBB186_27:
	v_mbcnt_lo_u32_b32 v2, -1, 0
	v_mov_b32_e32 v1, 0
	v_lshl_add_u32 v3, v4, 2, 0
	s_wait_xcnt 0x0
	v_cmp_lt_u32_e64 s0, 31, v0
	v_cmp_lt_u32_e64 s1, 63, v0
	v_xor_b32_e32 v2, 31, v2
	v_cmp_lt_u32_e64 s2, 0x5f, v0
	v_cmp_lt_u32_e64 s3, 0x7f, v0
	;; [unrolled: 1-line block ×4, first 2 shown]
	v_lshrrev_b32_e64 v2, v2, -1
	v_cmp_lt_u32_e64 s6, 0xdf, v0
	v_cmp_lt_u32_e64 s7, 0xff, v0
	;; [unrolled: 1-line block ×9, first 2 shown]
	v_mov_b32_e32 v6, 0
	s_mov_b32 s16, 0
	s_wait_dscnt 0x0
	v_cmp_eq_u32_e32 vcc_lo, 0x1ff, v0
	s_barrier_signal -1
	s_barrier_wait -1
	s_branch .LBB186_29
.LBB186_28:                             ;   in Loop: Header=BB186_29 Depth=1
	s_or_b32 exec_lo, exec_lo, s15
	s_wait_dscnt 0x0
	s_barrier_signal -1
	s_barrier_wait -1
	ds_load_b32 v4, v1 offset:12348
	v_add_co_u32 v21, s15, 0x200, v21
	s_xor_b32 s15, s15, -1
	v_add_nc_u32_e32 v22, 0x1000, v22
	v_add_nc_u32_e32 v20, 0x800, v20
	s_and_b32 s15, exec_lo, s15
	s_delay_alu instid0(SALU_CYCLE_1)
	s_or_b32 s16, s15, s16
	s_wait_dscnt 0x0
	v_add_nc_u32_e32 v6, v4, v6
	s_and_not1_b32 exec_lo, exec_lo, s16
	s_cbranch_execz .LBB186_74
.LBB186_29:                             ; =>This Inner Loop Header: Depth=1
	ds_load_b32 v7, v20
	ds_load_b64 v[4:5], v22
	s_wait_dscnt 0x0
	s_barrier_signal -1
	s_barrier_wait -1
	v_cmp_gt_i32_e64 s15, s33, v7
	s_bcnt1_i32_b32 s17, s15
	s_delay_alu instid0(SALU_CYCLE_1) | instskip(NEXT) | instid1(VALU_DEP_1)
	v_dual_mov_b32 v9, s17 :: v_dual_bitop2_b32 v8, s15, v2 bitop3:0x40
	v_bcnt_u32_b32 v8, v8, 0
	ds_store_b32 v3, v9 offset:12288
	s_wait_dscnt 0x0
	s_barrier_signal -1
	s_barrier_wait -1
	s_and_saveexec_b32 s17, s0
	s_cbranch_execz .LBB186_46
; %bb.30:                               ;   in Loop: Header=BB186_29 Depth=1
	ds_load_b32 v9, v1 offset:12288
	s_wait_dscnt 0x0
	v_add_nc_u32_e32 v8, v9, v8
	s_or_b32 exec_lo, exec_lo, s17
	s_and_saveexec_b32 s17, s1
	s_cbranch_execnz .LBB186_47
.LBB186_31:                             ;   in Loop: Header=BB186_29 Depth=1
	s_or_b32 exec_lo, exec_lo, s17
	s_and_saveexec_b32 s17, s2
	s_cbranch_execz .LBB186_48
.LBB186_32:                             ;   in Loop: Header=BB186_29 Depth=1
	ds_load_b32 v9, v1 offset:12296
	s_wait_dscnt 0x0
	v_add_nc_u32_e32 v8, v9, v8
	s_or_b32 exec_lo, exec_lo, s17
	s_and_saveexec_b32 s17, s3
	s_cbranch_execnz .LBB186_49
.LBB186_33:                             ;   in Loop: Header=BB186_29 Depth=1
	s_or_b32 exec_lo, exec_lo, s17
	s_and_saveexec_b32 s17, s4
	s_cbranch_execz .LBB186_50
.LBB186_34:                             ;   in Loop: Header=BB186_29 Depth=1
	ds_load_b32 v9, v1 offset:12304
	s_wait_dscnt 0x0
	v_add_nc_u32_e32 v8, v9, v8
	s_or_b32 exec_lo, exec_lo, s17
	s_and_saveexec_b32 s17, s5
	s_cbranch_execnz .LBB186_51
.LBB186_35:                             ;   in Loop: Header=BB186_29 Depth=1
	s_or_b32 exec_lo, exec_lo, s17
	s_and_saveexec_b32 s17, s6
	s_cbranch_execz .LBB186_52
.LBB186_36:                             ;   in Loop: Header=BB186_29 Depth=1
	ds_load_b32 v9, v1 offset:12312
	s_wait_dscnt 0x0
	v_add_nc_u32_e32 v8, v9, v8
	s_or_b32 exec_lo, exec_lo, s17
	s_and_saveexec_b32 s17, s7
	s_cbranch_execnz .LBB186_53
.LBB186_37:                             ;   in Loop: Header=BB186_29 Depth=1
	s_or_b32 exec_lo, exec_lo, s17
	s_and_saveexec_b32 s17, s8
	s_cbranch_execz .LBB186_54
.LBB186_38:                             ;   in Loop: Header=BB186_29 Depth=1
	ds_load_b32 v9, v1 offset:12320
	s_wait_dscnt 0x0
	v_add_nc_u32_e32 v8, v9, v8
	s_or_b32 exec_lo, exec_lo, s17
	s_and_saveexec_b32 s17, s9
	s_cbranch_execnz .LBB186_55
.LBB186_39:                             ;   in Loop: Header=BB186_29 Depth=1
	s_or_b32 exec_lo, exec_lo, s17
	s_and_saveexec_b32 s17, s10
	s_cbranch_execz .LBB186_56
.LBB186_40:                             ;   in Loop: Header=BB186_29 Depth=1
	ds_load_b32 v9, v1 offset:12328
	s_wait_dscnt 0x0
	v_add_nc_u32_e32 v8, v9, v8
	s_or_b32 exec_lo, exec_lo, s17
	s_and_saveexec_b32 s17, s11
	s_cbranch_execnz .LBB186_57
.LBB186_41:                             ;   in Loop: Header=BB186_29 Depth=1
	s_or_b32 exec_lo, exec_lo, s17
	s_and_saveexec_b32 s17, s12
	s_cbranch_execz .LBB186_58
.LBB186_42:                             ;   in Loop: Header=BB186_29 Depth=1
	ds_load_b32 v9, v1 offset:12336
	s_wait_dscnt 0x0
	v_add_nc_u32_e32 v8, v9, v8
	s_or_b32 exec_lo, exec_lo, s17
	s_and_saveexec_b32 s17, s13
	s_cbranch_execnz .LBB186_59
.LBB186_43:                             ;   in Loop: Header=BB186_29 Depth=1
	s_or_b32 exec_lo, exec_lo, s17
	s_and_saveexec_b32 s17, s14
	s_cbranch_execz .LBB186_60
.LBB186_44:                             ;   in Loop: Header=BB186_29 Depth=1
	ds_load_b32 v9, v1 offset:12344
	s_wait_dscnt 0x0
	v_add_nc_u32_e32 v8, v9, v8
	s_or_b32 exec_lo, exec_lo, s17
	s_and_saveexec_b32 s17, s15
	s_cbranch_execnz .LBB186_61
.LBB186_45:                             ;   in Loop: Header=BB186_29 Depth=1
	s_or_b32 exec_lo, exec_lo, s17
	s_and_saveexec_b32 s15, vcc_lo
	s_cbranch_execz .LBB186_28
	s_branch .LBB186_62
.LBB186_46:                             ;   in Loop: Header=BB186_29 Depth=1
	s_or_b32 exec_lo, exec_lo, s17
	s_and_saveexec_b32 s17, s1
	s_cbranch_execz .LBB186_31
.LBB186_47:                             ;   in Loop: Header=BB186_29 Depth=1
	ds_load_b32 v9, v1 offset:12292
	s_wait_dscnt 0x0
	v_add_nc_u32_e32 v8, v9, v8
	s_or_b32 exec_lo, exec_lo, s17
	s_and_saveexec_b32 s17, s2
	s_cbranch_execnz .LBB186_32
.LBB186_48:                             ;   in Loop: Header=BB186_29 Depth=1
	s_or_b32 exec_lo, exec_lo, s17
	s_and_saveexec_b32 s17, s3
	s_cbranch_execz .LBB186_33
.LBB186_49:                             ;   in Loop: Header=BB186_29 Depth=1
	ds_load_b32 v9, v1 offset:12300
	s_wait_dscnt 0x0
	v_add_nc_u32_e32 v8, v9, v8
	s_or_b32 exec_lo, exec_lo, s17
	s_and_saveexec_b32 s17, s4
	s_cbranch_execnz .LBB186_34
.LBB186_50:                             ;   in Loop: Header=BB186_29 Depth=1
	s_or_b32 exec_lo, exec_lo, s17
	s_and_saveexec_b32 s17, s5
	s_cbranch_execz .LBB186_35
.LBB186_51:                             ;   in Loop: Header=BB186_29 Depth=1
	ds_load_b32 v9, v1 offset:12308
	s_wait_dscnt 0x0
	v_add_nc_u32_e32 v8, v9, v8
	s_or_b32 exec_lo, exec_lo, s17
	s_and_saveexec_b32 s17, s6
	s_cbranch_execnz .LBB186_36
.LBB186_52:                             ;   in Loop: Header=BB186_29 Depth=1
	s_or_b32 exec_lo, exec_lo, s17
	s_and_saveexec_b32 s17, s7
	s_cbranch_execz .LBB186_37
.LBB186_53:                             ;   in Loop: Header=BB186_29 Depth=1
	ds_load_b32 v9, v1 offset:12316
	s_wait_dscnt 0x0
	v_add_nc_u32_e32 v8, v9, v8
	s_or_b32 exec_lo, exec_lo, s17
	s_and_saveexec_b32 s17, s8
	s_cbranch_execnz .LBB186_38
.LBB186_54:                             ;   in Loop: Header=BB186_29 Depth=1
	s_or_b32 exec_lo, exec_lo, s17
	s_and_saveexec_b32 s17, s9
	s_cbranch_execz .LBB186_39
.LBB186_55:                             ;   in Loop: Header=BB186_29 Depth=1
	ds_load_b32 v9, v1 offset:12324
	s_wait_dscnt 0x0
	v_add_nc_u32_e32 v8, v9, v8
	s_or_b32 exec_lo, exec_lo, s17
	s_and_saveexec_b32 s17, s10
	s_cbranch_execnz .LBB186_40
.LBB186_56:                             ;   in Loop: Header=BB186_29 Depth=1
	s_or_b32 exec_lo, exec_lo, s17
	s_and_saveexec_b32 s17, s11
	s_cbranch_execz .LBB186_41
.LBB186_57:                             ;   in Loop: Header=BB186_29 Depth=1
	ds_load_b32 v9, v1 offset:12332
	s_wait_dscnt 0x0
	v_add_nc_u32_e32 v8, v9, v8
	s_or_b32 exec_lo, exec_lo, s17
	s_and_saveexec_b32 s17, s12
	s_cbranch_execnz .LBB186_42
.LBB186_58:                             ;   in Loop: Header=BB186_29 Depth=1
	s_or_b32 exec_lo, exec_lo, s17
	s_and_saveexec_b32 s17, s13
	s_cbranch_execz .LBB186_43
.LBB186_59:                             ;   in Loop: Header=BB186_29 Depth=1
	ds_load_b32 v9, v1 offset:12340
	s_wait_dscnt 0x0
	v_add_nc_u32_e32 v8, v9, v8
	s_or_b32 exec_lo, exec_lo, s17
	s_and_saveexec_b32 s17, s14
	s_cbranch_execnz .LBB186_44
.LBB186_60:                             ;   in Loop: Header=BB186_29 Depth=1
	s_or_b32 exec_lo, exec_lo, s17
	s_and_saveexec_b32 s17, s15
	s_cbranch_execz .LBB186_45
.LBB186_61:                             ;   in Loop: Header=BB186_29 Depth=1
	s_delay_alu instid0(VALU_DEP_1) | instskip(SKIP_1) | instid1(VALU_DEP_2)
	v_add3_u32 v9, v6, -1, v8
	v_add_nc_u32_e32 v10, v6, v8
	v_lshl_add_u32 v9, v9, 2, 0
	s_delay_alu instid0(VALU_DEP_2)
	v_lshl_add_u32 v10, v10, 3, 0
	ds_store_b32 v9, v7
	ds_store_b64 v10, v[4:5] offset:4088
	s_or_b32 exec_lo, exec_lo, s17
	s_and_saveexec_b32 s15, vcc_lo
	s_cbranch_execz .LBB186_28
.LBB186_62:                             ;   in Loop: Header=BB186_29 Depth=1
	ds_store_b32 v1, v8 offset:12348
	s_branch .LBB186_28
.LBB186_63:                             ;   in Loop: Header=BB186_65 Depth=1
	s_or_b32 exec_lo, exec_lo, s5
.LBB186_64:                             ;   in Loop: Header=BB186_65 Depth=1
	s_delay_alu instid0(SALU_CYCLE_1) | instskip(SKIP_4) | instid1(VALU_DEP_1)
	s_or_b32 exec_lo, exec_lo, s4
	s_wait_loadcnt 0x0
	v_mul_f64_e32 v[8:9], v[2:3], v[8:9]
	v_lshl_add_u32 v1, v1, 3, 0
	v_add_nc_u64_e32 v[6:7], 0x200, v[6:7]
	v_cmp_le_i64_e32 vcc_lo, s[2:3], v[6:7]
	s_or_b32 s1, vcc_lo, s1
	ds_add_f64 v1, v[8:9] offset:4096
	s_and_not1_b32 exec_lo, exec_lo, s1
	s_cbranch_execz .LBB186_26
.LBB186_65:                             ; =>This Loop Header: Depth=1
                                        ;     Child Loop BB186_68 Depth 2
	v_lshl_add_u64 v[8:9], v[6:7], 2, s[14:15]
	s_mov_b32 s4, exec_lo
	global_load_b32 v1, v[8:9], off
	s_wait_xcnt 0x0
	v_lshl_add_u64 v[8:9], v[6:7], 3, s[16:17]
	global_load_b64 v[8:9], v[8:9], off
	s_wait_loadcnt 0x1
	v_subrev_nc_u32_e32 v5, s23, v1
	s_delay_alu instid0(VALU_DEP_1) | instskip(NEXT) | instid1(VALU_DEP_1)
	v_mul_lo_u32 v1, 0x89, v5
	v_and_b32_e32 v1, 0x3ff, v1
	s_delay_alu instid0(VALU_DEP_1)
	v_lshl_add_u32 v10, v1, 2, 0
	ds_load_b32 v11, v10
	s_wait_dscnt 0x0
	s_wait_xcnt 0x0
	v_cmpx_ne_u32_e64 v11, v5
	s_cbranch_execz .LBB186_64
; %bb.66:                               ;   in Loop: Header=BB186_65 Depth=1
	s_mov_b32 s5, 0
	s_branch .LBB186_68
.LBB186_67:                             ;   in Loop: Header=BB186_68 Depth=2
	s_or_b32 exec_lo, exec_lo, s8
	s_delay_alu instid0(SALU_CYCLE_1) | instskip(NEXT) | instid1(SALU_CYCLE_1)
	s_and_b32 s6, exec_lo, s7
	s_or_b32 s5, s6, s5
	s_delay_alu instid0(SALU_CYCLE_1)
	s_and_not1_b32 exec_lo, exec_lo, s5
	s_cbranch_execz .LBB186_63
.LBB186_68:                             ;   Parent Loop BB186_65 Depth=1
                                        ; =>  This Inner Loop Header: Depth=2
	s_mov_b32 s6, 0
	s_mov_b32 s7, exec_lo
	v_cmpx_ne_u32_e64 s33, v11
	s_xor_b32 s7, exec_lo, s7
	s_cbranch_execz .LBB186_70
; %bb.69:                               ;   in Loop: Header=BB186_68 Depth=2
	v_add_nc_u32_e32 v1, 1, v1
	s_mov_b32 s6, exec_lo
                                        ; implicit-def: $vgpr10
	s_delay_alu instid0(VALU_DEP_1)
	v_and_b32_e32 v1, 0x3ff, v1
	s_and_not1_saveexec_b32 s7, s7
	s_cbranch_execz .LBB186_72
	s_branch .LBB186_71
.LBB186_70:                             ;   in Loop: Header=BB186_68 Depth=2
	s_and_not1_saveexec_b32 s7, s7
	s_cbranch_execz .LBB186_72
.LBB186_71:                             ;   in Loop: Header=BB186_68 Depth=2
	v_mov_b32_e32 v11, s33
	s_and_not1_b32 s6, s6, exec_lo
	ds_cmpstore_rtn_b32 v10, v10, v5, v11
	s_wait_dscnt 0x0
	v_cmp_ne_u32_e32 vcc_lo, s33, v10
	s_and_b32 s8, vcc_lo, exec_lo
	s_delay_alu instid0(SALU_CYCLE_1)
	s_or_b32 s6, s6, s8
.LBB186_72:                             ;   in Loop: Header=BB186_68 Depth=2
	s_or_b32 exec_lo, exec_lo, s7
	s_mov_b32 s7, -1
                                        ; implicit-def: $vgpr10
                                        ; implicit-def: $vgpr11
	s_and_saveexec_b32 s8, s6
	s_cbranch_execz .LBB186_67
; %bb.73:                               ;   in Loop: Header=BB186_68 Depth=2
	v_lshl_add_u32 v10, v1, 2, 0
	ds_load_b32 v11, v10
	s_wait_dscnt 0x0
	v_cmp_eq_u32_e32 vcc_lo, v11, v5
	s_or_not1_b32 s7, vcc_lo, exec_lo
	s_branch .LBB186_67
.LBB186_74:
	s_or_b32 exec_lo, exec_lo, s16
	s_wait_kmcnt 0x0
	s_ashr_i32 s29, s28, 31
	s_delay_alu instid0(SALU_CYCLE_1) | instskip(NEXT) | instid1(SALU_CYCLE_1)
	s_lshl_b64 s[0:1], s[28:29], 3
	s_add_nc_u64 s[4:5], s[18:19], s[0:1]
	s_load_b128 s[0:3], s[4:5], 0x0
	s_wait_xcnt 0x0
	s_mov_b32 s4, exec_lo
	s_wait_kmcnt 0x0
	s_sub_co_i32 s3, s2, s0
	s_delay_alu instid0(SALU_CYCLE_1)
	v_cmpx_gt_i32_e64 s3, v0
	s_cbranch_execz .LBB186_84
; %bb.75:
	s_sub_co_i32 s4, s0, s2
	s_and_b32 s2, s3, 7
	s_cmp_lt_u32 s4, -7
	s_mov_b32 s23, 0
	s_cselect_b32 s4, -1, 0
	s_and_b32 s5, s3, -8
	s_cmp_lg_u32 s2, 0
	s_sub_nc_u64 s[0:1], s[0:1], s[22:23]
	s_cselect_b32 s6, -1, 0
	s_mov_b32 s7, 0
	s_branch .LBB186_77
.LBB186_76:                             ;   in Loop: Header=BB186_77 Depth=1
	v_add_nc_u32_e32 v0, 0x200, v0
	s_delay_alu instid0(VALU_DEP_2) | instskip(NEXT) | instid1(VALU_DEP_2)
	v_lshl_add_u64 v[4:5], v[4:5], 3, s[34:35]
	v_cmp_le_i32_e32 vcc_lo, s3, v0
	s_wait_dscnt 0x0
	global_store_b64 v[4:5], v[2:3], off
	s_or_b32 s7, vcc_lo, s7
	s_wait_xcnt 0x0
	s_and_not1_b32 exec_lo, exec_lo, s7
	s_cbranch_execz .LBB186_84
.LBB186_77:                             ; =>This Loop Header: Depth=1
                                        ;     Child Loop BB186_79 Depth 2
                                        ;     Child Loop BB186_83 Depth 2
	v_lshlrev_b32_e32 v1, 2, v0
	v_mov_b64_e32 v[4:5], s[0:1]
	s_and_not1_b32 vcc_lo, exec_lo, s4
	s_mov_b32 s8, 0
	s_delay_alu instid0(VALU_DEP_2) | instskip(NEXT) | instid1(VALU_DEP_1)
	v_add_nc_u32_e32 v2, 0, v1
	v_add_nc_u32_e32 v3, v2, v1
	ds_load_b32 v1, v2
	ds_load_b64 v[2:3], v3 offset:4096
	s_cbranch_vccnz .LBB186_81
; %bb.78:                               ;   in Loop: Header=BB186_77 Depth=1
	v_mov_b64_e32 v[4:5], s[0:1]
	s_mov_b32 s9, 0
.LBB186_79:                             ;   Parent Loop BB186_77 Depth=1
                                        ; =>  This Inner Loop Header: Depth=2
	s_delay_alu instid0(SALU_CYCLE_1)
	v_dual_mov_b32 v10, s9 :: v_dual_mov_b32 v11, s23
	v_mov_b32_e32 v17, s23
	s_add_co_i32 s8, s8, 8
	s_add_co_i32 s9, s9, 32
	ds_load_2addr_b32 v[6:7], v10 offset1:1
	ds_load_2addr_b32 v[8:9], v10 offset0:2 offset1:3
	ds_load_2addr_b32 v[12:13], v10 offset0:4 offset1:5
	;; [unrolled: 1-line block ×3, first 2 shown]
	s_cmp_eq_u32 s5, s8
	s_wait_dscnt 0x3
	v_cmp_gt_i32_e32 vcc_lo, v1, v6
	v_cndmask_b32_e64 v10, 0, 1, vcc_lo
	v_cmp_gt_i32_e32 vcc_lo, v1, v7
	v_mov_b32_e32 v7, s23
	s_delay_alu instid0(VALU_DEP_3) | instskip(SKIP_4) | instid1(VALU_DEP_3)
	v_add_nc_u64_e32 v[4:5], v[4:5], v[10:11]
	v_cndmask_b32_e64 v16, 0, 1, vcc_lo
	s_wait_dscnt 0x2
	v_cmp_gt_i32_e32 vcc_lo, v1, v8
	v_cndmask_b32_e64 v6, 0, 1, vcc_lo
	v_add_nc_u64_e32 v[4:5], v[4:5], v[16:17]
	v_cmp_gt_i32_e32 vcc_lo, v1, v9
	v_mov_b32_e32 v9, s23
	v_cndmask_b32_e64 v10, 0, 1, vcc_lo
	s_delay_alu instid0(VALU_DEP_4) | instskip(SKIP_3) | instid1(VALU_DEP_3)
	v_add_nc_u64_e32 v[4:5], v[4:5], v[6:7]
	s_wait_dscnt 0x1
	v_cmp_gt_i32_e32 vcc_lo, v1, v12
	v_cndmask_b32_e64 v6, 0, 1, vcc_lo
	v_add_nc_u64_e32 v[4:5], v[4:5], v[10:11]
	v_cmp_gt_i32_e32 vcc_lo, v1, v13
	v_cndmask_b32_e64 v8, 0, 1, vcc_lo
	s_delay_alu instid0(VALU_DEP_3) | instskip(SKIP_3) | instid1(VALU_DEP_3)
	v_add_nc_u64_e32 v[4:5], v[4:5], v[6:7]
	s_wait_dscnt 0x0
	v_cmp_gt_i32_e32 vcc_lo, v1, v14
	v_cndmask_b32_e64 v6, 0, 1, vcc_lo
	v_add_nc_u64_e32 v[4:5], v[4:5], v[8:9]
	v_cmp_gt_i32_e32 vcc_lo, v1, v15
	v_cndmask_b32_e64 v8, 0, 1, vcc_lo
	s_delay_alu instid0(VALU_DEP_3) | instskip(NEXT) | instid1(VALU_DEP_1)
	v_add_nc_u64_e32 v[4:5], v[4:5], v[6:7]
	v_add_nc_u64_e32 v[4:5], v[4:5], v[8:9]
	s_cbranch_scc0 .LBB186_79
; %bb.80:                               ;   in Loop: Header=BB186_77 Depth=1
	s_mov_b32 s8, s5
.LBB186_81:                             ;   in Loop: Header=BB186_77 Depth=1
	s_and_not1_b32 vcc_lo, exec_lo, s6
	s_cbranch_vccnz .LBB186_76
; %bb.82:                               ;   in Loop: Header=BB186_77 Depth=1
	s_lshl_b32 s8, s8, 2
	s_mov_b32 s9, s2
	s_add_co_i32 s8, s8, 0
.LBB186_83:                             ;   Parent Loop BB186_77 Depth=1
                                        ; =>  This Inner Loop Header: Depth=2
	s_delay_alu instid0(SALU_CYCLE_1)
	v_dual_mov_b32 v6, s8 :: v_dual_mov_b32 v7, s23
	s_add_co_i32 s9, s9, -1
	s_add_co_i32 s8, s8, 4
	s_cmp_lg_u32 s9, 0
	ds_load_b32 v6, v6
	s_wait_dscnt 0x0
	v_cmp_gt_i32_e32 vcc_lo, v1, v6
	v_cndmask_b32_e64 v6, 0, 1, vcc_lo
	s_delay_alu instid0(VALU_DEP_1)
	v_add_nc_u64_e32 v[4:5], v[4:5], v[6:7]
	s_cbranch_scc1 .LBB186_83
	s_branch .LBB186_76
.LBB186_84:
	s_endpgm
	.section	.rodata,"a",@progbits
	.p2align	6, 0x0
	.amdhsa_kernel _ZN9rocsparseL41csrgemm_numeric_fill_block_per_row_kernelILj512ELj32ELj1024ELj137ELj32ElidEEvT5_PKS1_S3_NS_24const_host_device_scalarIT6_EEPKT4_S3_PKS5_S9_S3_SB_S6_S9_S3_SB_S9_S3_PS5_21rocsparse_index_base_SD_SD_SD_bbb
		.amdhsa_group_segment_fixed_size 0
		.amdhsa_private_segment_fixed_size 0
		.amdhsa_kernarg_size 156
		.amdhsa_user_sgpr_count 2
		.amdhsa_user_sgpr_dispatch_ptr 0
		.amdhsa_user_sgpr_queue_ptr 0
		.amdhsa_user_sgpr_kernarg_segment_ptr 1
		.amdhsa_user_sgpr_dispatch_id 0
		.amdhsa_user_sgpr_kernarg_preload_length 0
		.amdhsa_user_sgpr_kernarg_preload_offset 0
		.amdhsa_user_sgpr_private_segment_size 0
		.amdhsa_wavefront_size32 1
		.amdhsa_uses_dynamic_stack 0
		.amdhsa_enable_private_segment 0
		.amdhsa_system_sgpr_workgroup_id_x 1
		.amdhsa_system_sgpr_workgroup_id_y 0
		.amdhsa_system_sgpr_workgroup_id_z 0
		.amdhsa_system_sgpr_workgroup_info 0
		.amdhsa_system_vgpr_workitem_id 0
		.amdhsa_next_free_vgpr 25
		.amdhsa_next_free_sgpr 44
		.amdhsa_named_barrier_count 0
		.amdhsa_reserve_vcc 1
		.amdhsa_float_round_mode_32 0
		.amdhsa_float_round_mode_16_64 0
		.amdhsa_float_denorm_mode_32 3
		.amdhsa_float_denorm_mode_16_64 3
		.amdhsa_fp16_overflow 0
		.amdhsa_memory_ordered 1
		.amdhsa_forward_progress 1
		.amdhsa_inst_pref_size 26
		.amdhsa_round_robin_scheduling 0
		.amdhsa_exception_fp_ieee_invalid_op 0
		.amdhsa_exception_fp_denorm_src 0
		.amdhsa_exception_fp_ieee_div_zero 0
		.amdhsa_exception_fp_ieee_overflow 0
		.amdhsa_exception_fp_ieee_underflow 0
		.amdhsa_exception_fp_ieee_inexact 0
		.amdhsa_exception_int_div_zero 0
	.end_amdhsa_kernel
	.section	.text._ZN9rocsparseL41csrgemm_numeric_fill_block_per_row_kernelILj512ELj32ELj1024ELj137ELj32ElidEEvT5_PKS1_S3_NS_24const_host_device_scalarIT6_EEPKT4_S3_PKS5_S9_S3_SB_S6_S9_S3_SB_S9_S3_PS5_21rocsparse_index_base_SD_SD_SD_bbb,"axG",@progbits,_ZN9rocsparseL41csrgemm_numeric_fill_block_per_row_kernelILj512ELj32ELj1024ELj137ELj32ElidEEvT5_PKS1_S3_NS_24const_host_device_scalarIT6_EEPKT4_S3_PKS5_S9_S3_SB_S6_S9_S3_SB_S9_S3_PS5_21rocsparse_index_base_SD_SD_SD_bbb,comdat
.Lfunc_end186:
	.size	_ZN9rocsparseL41csrgemm_numeric_fill_block_per_row_kernelILj512ELj32ELj1024ELj137ELj32ElidEEvT5_PKS1_S3_NS_24const_host_device_scalarIT6_EEPKT4_S3_PKS5_S9_S3_SB_S6_S9_S3_SB_S9_S3_PS5_21rocsparse_index_base_SD_SD_SD_bbb, .Lfunc_end186-_ZN9rocsparseL41csrgemm_numeric_fill_block_per_row_kernelILj512ELj32ELj1024ELj137ELj32ElidEEvT5_PKS1_S3_NS_24const_host_device_scalarIT6_EEPKT4_S3_PKS5_S9_S3_SB_S6_S9_S3_SB_S9_S3_PS5_21rocsparse_index_base_SD_SD_SD_bbb
                                        ; -- End function
	.set _ZN9rocsparseL41csrgemm_numeric_fill_block_per_row_kernelILj512ELj32ELj1024ELj137ELj32ElidEEvT5_PKS1_S3_NS_24const_host_device_scalarIT6_EEPKT4_S3_PKS5_S9_S3_SB_S6_S9_S3_SB_S9_S3_PS5_21rocsparse_index_base_SD_SD_SD_bbb.num_vgpr, 25
	.set _ZN9rocsparseL41csrgemm_numeric_fill_block_per_row_kernelILj512ELj32ELj1024ELj137ELj32ElidEEvT5_PKS1_S3_NS_24const_host_device_scalarIT6_EEPKT4_S3_PKS5_S9_S3_SB_S6_S9_S3_SB_S9_S3_PS5_21rocsparse_index_base_SD_SD_SD_bbb.num_agpr, 0
	.set _ZN9rocsparseL41csrgemm_numeric_fill_block_per_row_kernelILj512ELj32ELj1024ELj137ELj32ElidEEvT5_PKS1_S3_NS_24const_host_device_scalarIT6_EEPKT4_S3_PKS5_S9_S3_SB_S6_S9_S3_SB_S9_S3_PS5_21rocsparse_index_base_SD_SD_SD_bbb.numbered_sgpr, 44
	.set _ZN9rocsparseL41csrgemm_numeric_fill_block_per_row_kernelILj512ELj32ELj1024ELj137ELj32ElidEEvT5_PKS1_S3_NS_24const_host_device_scalarIT6_EEPKT4_S3_PKS5_S9_S3_SB_S6_S9_S3_SB_S9_S3_PS5_21rocsparse_index_base_SD_SD_SD_bbb.num_named_barrier, 0
	.set _ZN9rocsparseL41csrgemm_numeric_fill_block_per_row_kernelILj512ELj32ELj1024ELj137ELj32ElidEEvT5_PKS1_S3_NS_24const_host_device_scalarIT6_EEPKT4_S3_PKS5_S9_S3_SB_S6_S9_S3_SB_S9_S3_PS5_21rocsparse_index_base_SD_SD_SD_bbb.private_seg_size, 0
	.set _ZN9rocsparseL41csrgemm_numeric_fill_block_per_row_kernelILj512ELj32ELj1024ELj137ELj32ElidEEvT5_PKS1_S3_NS_24const_host_device_scalarIT6_EEPKT4_S3_PKS5_S9_S3_SB_S6_S9_S3_SB_S9_S3_PS5_21rocsparse_index_base_SD_SD_SD_bbb.uses_vcc, 1
	.set _ZN9rocsparseL41csrgemm_numeric_fill_block_per_row_kernelILj512ELj32ELj1024ELj137ELj32ElidEEvT5_PKS1_S3_NS_24const_host_device_scalarIT6_EEPKT4_S3_PKS5_S9_S3_SB_S6_S9_S3_SB_S9_S3_PS5_21rocsparse_index_base_SD_SD_SD_bbb.uses_flat_scratch, 0
	.set _ZN9rocsparseL41csrgemm_numeric_fill_block_per_row_kernelILj512ELj32ELj1024ELj137ELj32ElidEEvT5_PKS1_S3_NS_24const_host_device_scalarIT6_EEPKT4_S3_PKS5_S9_S3_SB_S6_S9_S3_SB_S9_S3_PS5_21rocsparse_index_base_SD_SD_SD_bbb.has_dyn_sized_stack, 0
	.set _ZN9rocsparseL41csrgemm_numeric_fill_block_per_row_kernelILj512ELj32ELj1024ELj137ELj32ElidEEvT5_PKS1_S3_NS_24const_host_device_scalarIT6_EEPKT4_S3_PKS5_S9_S3_SB_S6_S9_S3_SB_S9_S3_PS5_21rocsparse_index_base_SD_SD_SD_bbb.has_recursion, 0
	.set _ZN9rocsparseL41csrgemm_numeric_fill_block_per_row_kernelILj512ELj32ELj1024ELj137ELj32ElidEEvT5_PKS1_S3_NS_24const_host_device_scalarIT6_EEPKT4_S3_PKS5_S9_S3_SB_S6_S9_S3_SB_S9_S3_PS5_21rocsparse_index_base_SD_SD_SD_bbb.has_indirect_call, 0
	.section	.AMDGPU.csdata,"",@progbits
; Kernel info:
; codeLenInByte = 3212
; TotalNumSgprs: 46
; NumVgprs: 25
; ScratchSize: 0
; MemoryBound: 0
; FloatMode: 240
; IeeeMode: 1
; LDSByteSize: 0 bytes/workgroup (compile time only)
; SGPRBlocks: 0
; VGPRBlocks: 1
; NumSGPRsForWavesPerEU: 46
; NumVGPRsForWavesPerEU: 25
; NamedBarCnt: 0
; Occupancy: 16
; WaveLimiterHint : 1
; COMPUTE_PGM_RSRC2:SCRATCH_EN: 0
; COMPUTE_PGM_RSRC2:USER_SGPR: 2
; COMPUTE_PGM_RSRC2:TRAP_HANDLER: 0
; COMPUTE_PGM_RSRC2:TGID_X_EN: 1
; COMPUTE_PGM_RSRC2:TGID_Y_EN: 0
; COMPUTE_PGM_RSRC2:TGID_Z_EN: 0
; COMPUTE_PGM_RSRC2:TIDIG_COMP_CNT: 0
	.section	.text._ZN9rocsparseL41csrgemm_numeric_fill_block_per_row_kernelILj512ELj32ELj1024ELj137ELj64ElidEEvT5_PKS1_S3_NS_24const_host_device_scalarIT6_EEPKT4_S3_PKS5_S9_S3_SB_S6_S9_S3_SB_S9_S3_PS5_21rocsparse_index_base_SD_SD_SD_bbb,"axG",@progbits,_ZN9rocsparseL41csrgemm_numeric_fill_block_per_row_kernelILj512ELj32ELj1024ELj137ELj64ElidEEvT5_PKS1_S3_NS_24const_host_device_scalarIT6_EEPKT4_S3_PKS5_S9_S3_SB_S6_S9_S3_SB_S9_S3_PS5_21rocsparse_index_base_SD_SD_SD_bbb,comdat
	.globl	_ZN9rocsparseL41csrgemm_numeric_fill_block_per_row_kernelILj512ELj32ELj1024ELj137ELj64ElidEEvT5_PKS1_S3_NS_24const_host_device_scalarIT6_EEPKT4_S3_PKS5_S9_S3_SB_S6_S9_S3_SB_S9_S3_PS5_21rocsparse_index_base_SD_SD_SD_bbb ; -- Begin function _ZN9rocsparseL41csrgemm_numeric_fill_block_per_row_kernelILj512ELj32ELj1024ELj137ELj64ElidEEvT5_PKS1_S3_NS_24const_host_device_scalarIT6_EEPKT4_S3_PKS5_S9_S3_SB_S6_S9_S3_SB_S9_S3_PS5_21rocsparse_index_base_SD_SD_SD_bbb
	.p2align	8
	.type	_ZN9rocsparseL41csrgemm_numeric_fill_block_per_row_kernelILj512ELj32ELj1024ELj137ELj64ElidEEvT5_PKS1_S3_NS_24const_host_device_scalarIT6_EEPKT4_S3_PKS5_S9_S3_SB_S6_S9_S3_SB_S9_S3_PS5_21rocsparse_index_base_SD_SD_SD_bbb,@function
_ZN9rocsparseL41csrgemm_numeric_fill_block_per_row_kernelILj512ELj32ELj1024ELj137ELj64ElidEEvT5_PKS1_S3_NS_24const_host_device_scalarIT6_EEPKT4_S3_PKS5_S9_S3_SB_S6_S9_S3_SB_S9_S3_PS5_21rocsparse_index_base_SD_SD_SD_bbb: ; @_ZN9rocsparseL41csrgemm_numeric_fill_block_per_row_kernelILj512ELj32ELj1024ELj137ELj64ElidEEvT5_PKS1_S3_NS_24const_host_device_scalarIT6_EEPKT4_S3_PKS5_S9_S3_SB_S6_S9_S3_SB_S9_S3_PS5_21rocsparse_index_base_SD_SD_SD_bbb
; %bb.0:
	s_clause 0x3
	s_load_b32 s6, s[0:1], 0x98
	s_load_b64 s[4:5], s[0:1], 0x18
	s_load_b128 s[20:23], s[0:1], 0x88
	s_load_b64 s[2:3], s[0:1], 0x50
	s_wait_kmcnt 0x0
	s_bitcmp1_b32 s6, 0
	s_cselect_b32 s37, -1, 0
	s_bitcmp1_b32 s6, 16
	s_cselect_b32 s7, -1, 0
	s_xor_b32 s8, s37, -1
	s_delay_alu instid0(SALU_CYCLE_1)
	s_or_b32 s10, s7, s8
	s_and_b32 s8, s37, exec_lo
	s_cselect_b32 s9, s5, 0
	s_cselect_b32 s8, s4, 0
	s_and_b32 vcc_lo, exec_lo, s10
	v_mov_b64_e32 v[4:5], s[8:9]
	s_cbranch_vccnz .LBB187_2
; %bb.1:
	v_mov_b32_e32 v1, 0
	flat_load_b64 v[4:5], v1, s[4:5]
.LBB187_2:
	s_load_b128 s[28:31], s[0:1], 0x8
	s_bitcmp1_b32 s6, 8
	s_cselect_b32 s36, -1, 0
	s_delay_alu instid0(SALU_CYCLE_1) | instskip(NEXT) | instid1(SALU_CYCLE_1)
	s_xor_b32 s4, s36, -1
	s_or_b32 s6, s7, s4
	s_and_b32 s4, s36, exec_lo
	s_cselect_b32 s5, s3, 0
	s_cselect_b32 s4, s2, 0
	s_and_b32 vcc_lo, exec_lo, s6
	v_mov_b64_e32 v[2:3], s[4:5]
	s_cbranch_vccnz .LBB187_4
; %bb.3:
	v_mov_b32_e32 v1, 0
	flat_load_b64 v[2:3], v1, s[2:3]
.LBB187_4:
	s_clause 0x4
	s_load_b32 s33, s[0:1], 0x0
	s_load_b64 s[34:35], s[0:1], 0x80
	s_load_b256 s[4:11], s[0:1], 0x58
	s_load_b128 s[24:27], s[0:1], 0x40
	s_load_b256 s[12:19], s[0:1], 0x20
	v_or_b32_e32 v19, 0xfffffe00, v0
	v_lshlrev_b32_e32 v1, 3, v0
	v_lshl_add_u32 v18, v0, 2, 0
	v_mov_b64_e32 v[6:7], 0
	s_wait_xcnt 0x0
	s_mov_b32 s0, 0
	v_mov_b32_e32 v8, v19
	v_add3_u32 v20, v1, 0, 0x1000
	s_delay_alu instid0(VALU_DEP_1)
	v_dual_mov_b32 v1, v18 :: v_dual_mov_b32 v10, v20
	s_wait_kmcnt 0x0
	v_mov_b32_e32 v9, s33
.LBB187_5:                              ; =>This Inner Loop Header: Depth=1
	v_add_co_u32 v8, s1, 0x200, v8
	s_xor_b32 s1, s1, -1
	ds_store_b32 v1, v9
	ds_store_b64 v10, v[6:7]
	v_add_nc_u32_e32 v10, 0x1000, v10
	v_add_nc_u32_e32 v1, 0x800, v1
	s_and_b32 s1, exec_lo, s1
	s_delay_alu instid0(SALU_CYCLE_1) | instskip(NEXT) | instid1(SALU_CYCLE_1)
	s_or_b32 s0, s1, s0
	s_and_not1_b32 exec_lo, exec_lo, s0
	s_cbranch_execnz .LBB187_5
; %bb.6:
	s_or_b32 exec_lo, exec_lo, s0
	s_wait_loadcnt_dscnt 0x0
	s_barrier_signal -1
	s_barrier_wait -1
	s_load_b32 s0, s[28:29], 0x0
	s_bfe_u32 s1, ttmp6, 0x4000c
	s_and_b32 s2, ttmp6, 15
	s_add_co_i32 s1, s1, 1
	s_getreg_b32 s3, hwreg(HW_REG_IB_STS2, 6, 4)
	s_mul_i32 s1, ttmp9, s1
	s_delay_alu instid0(SALU_CYCLE_1)
	s_add_co_i32 s2, s2, s1
	s_cmp_eq_u32 s3, 0
	s_cselect_b32 s1, ttmp9, s2
	s_and_b32 vcc_lo, s37, exec_lo
	s_wait_kmcnt 0x0
	s_add_co_i32 s0, s0, s1
	s_mov_b32 s1, 0
	s_load_b32 s28, s[30:31], s0 offset:0x0 scale_offset
	s_cbranch_vccz .LBB187_24
; %bb.7:
	s_wait_kmcnt 0x0
	s_ashr_i32 s29, s28, 31
	v_dual_mov_b32 v9, 0 :: v_dual_lshrrev_b32 v8, 5, v0
	s_lshl_b64 s[2:3], s[28:29], 3
	s_mov_b32 s0, s20
	s_add_nc_u64 s[2:3], s[12:13], s[2:3]
	s_mov_b32 s12, exec_lo
	s_load_b128 s[40:43], s[2:3], 0x0
	v_sub_nc_u64_e64 v[6:7], v[8:9], s[0:1]
	s_wait_kmcnt 0x0
	s_delay_alu instid0(VALU_DEP_1)
	v_add_nc_u64_e32 v[6:7], s[40:41], v[6:7]
	s_sub_nc_u64 s[0:1], s[42:43], s[0:1]
	s_delay_alu instid0(VALU_DEP_1) | instid1(SALU_CYCLE_1)
	v_cmpx_gt_i64_e64 s[0:1], v[6:7]
	s_cbranch_execz .LBB187_23
; %bb.8:
	v_and_b32_e32 v8, 31, v0
	s_mov_b32 s3, 0
	s_mov_b32 s2, s21
	;; [unrolled: 1-line block ×3, first 2 shown]
	s_delay_alu instid0(VALU_DEP_1)
	v_sub_nc_u64_e64 v[8:9], v[8:9], s[2:3]
	s_branch .LBB187_10
.LBB187_9:                              ;   in Loop: Header=BB187_10 Depth=1
	s_or_b32 exec_lo, exec_lo, s29
	v_add_nc_u64_e32 v[6:7], 16, v[6:7]
	s_delay_alu instid0(VALU_DEP_1) | instskip(SKIP_1) | instid1(SALU_CYCLE_1)
	v_cmp_le_i64_e32 vcc_lo, s[0:1], v[6:7]
	s_or_b32 s13, vcc_lo, s13
	s_and_not1_b32 exec_lo, exec_lo, s13
	s_cbranch_execz .LBB187_23
.LBB187_10:                             ; =>This Loop Header: Depth=1
                                        ;     Child Loop BB187_14 Depth 2
                                        ;       Child Loop BB187_17 Depth 3
	v_lshl_add_u64 v[10:11], v[6:7], 2, s[14:15]
	s_mov_b32 s29, exec_lo
	global_load_b32 v1, v[10:11], off
	s_wait_loadcnt 0x0
	s_wait_xcnt 0x0
	v_subrev_nc_u32_e32 v10, s20, v1
	s_delay_alu instid0(VALU_DEP_1) | instskip(NEXT) | instid1(VALU_DEP_1)
	v_ashrrev_i32_e32 v11, 31, v10
	v_lshl_add_u64 v[10:11], v[10:11], 3, s[18:19]
	global_load_b128 v[12:15], v[10:11], off
	s_wait_loadcnt 0x0
	s_wait_xcnt 0x0
	v_sub_nc_u64_e64 v[10:11], v[14:15], s[2:3]
	v_add_nc_u64_e32 v[12:13], v[12:13], v[8:9]
	s_delay_alu instid0(VALU_DEP_1)
	v_cmpx_lt_i64_e64 v[12:13], v[10:11]
	s_cbranch_execz .LBB187_9
; %bb.11:                               ;   in Loop: Header=BB187_10 Depth=1
	v_lshl_add_u64 v[14:15], v[6:7], 3, s[16:17]
	s_mov_b32 s30, 0
	global_load_b64 v[14:15], v[14:15], off
	s_wait_loadcnt 0x0
	s_wait_xcnt 0x0
	v_mul_f64_e32 v[14:15], v[4:5], v[14:15]
	s_branch .LBB187_14
.LBB187_12:                             ;   in Loop: Header=BB187_14 Depth=2
	s_or_b32 exec_lo, exec_lo, s37
.LBB187_13:                             ;   in Loop: Header=BB187_14 Depth=2
	s_delay_alu instid0(SALU_CYCLE_1) | instskip(SKIP_4) | instid1(VALU_DEP_1)
	s_or_b32 exec_lo, exec_lo, s31
	s_wait_loadcnt 0x0
	v_mul_f64_e32 v[16:17], v[14:15], v[16:17]
	v_lshl_add_u32 v1, v1, 3, 0
	v_add_nc_u64_e32 v[12:13], 32, v[12:13]
	v_cmp_ge_i64_e32 vcc_lo, v[12:13], v[10:11]
	s_or_b32 s30, vcc_lo, s30
	ds_add_f64 v1, v[16:17] offset:4096
	s_and_not1_b32 exec_lo, exec_lo, s30
	s_cbranch_execz .LBB187_9
.LBB187_14:                             ;   Parent Loop BB187_10 Depth=1
                                        ; =>  This Loop Header: Depth=2
                                        ;       Child Loop BB187_17 Depth 3
	v_lshl_add_u64 v[16:17], v[12:13], 2, s[24:25]
	s_mov_b32 s31, exec_lo
	global_load_b32 v1, v[16:17], off
	s_wait_xcnt 0x0
	v_lshl_add_u64 v[16:17], v[12:13], 3, s[26:27]
	global_load_b64 v[16:17], v[16:17], off
	s_wait_loadcnt 0x1
	v_subrev_nc_u32_e32 v21, s21, v1
	s_delay_alu instid0(VALU_DEP_1) | instskip(NEXT) | instid1(VALU_DEP_1)
	v_mul_lo_u32 v1, 0x89, v21
	v_and_b32_e32 v1, 0x3ff, v1
	s_delay_alu instid0(VALU_DEP_1)
	v_lshl_add_u32 v22, v1, 2, 0
	ds_load_b32 v23, v22
	s_wait_dscnt 0x0
	s_wait_xcnt 0x0
	v_cmpx_ne_u32_e64 v23, v21
	s_cbranch_execz .LBB187_13
; %bb.15:                               ;   in Loop: Header=BB187_14 Depth=2
	s_mov_b32 s37, 0
	s_branch .LBB187_17
.LBB187_16:                             ;   in Loop: Header=BB187_17 Depth=3
	s_or_b32 exec_lo, exec_lo, s40
	s_delay_alu instid0(SALU_CYCLE_1) | instskip(NEXT) | instid1(SALU_CYCLE_1)
	s_and_b32 s38, exec_lo, s39
	s_or_b32 s37, s38, s37
	s_delay_alu instid0(SALU_CYCLE_1)
	s_and_not1_b32 exec_lo, exec_lo, s37
	s_cbranch_execz .LBB187_12
.LBB187_17:                             ;   Parent Loop BB187_10 Depth=1
                                        ;     Parent Loop BB187_14 Depth=2
                                        ; =>    This Inner Loop Header: Depth=3
	s_mov_b32 s38, 0
	s_mov_b32 s39, exec_lo
	v_cmpx_ne_u32_e64 s33, v23
	s_xor_b32 s39, exec_lo, s39
	s_cbranch_execz .LBB187_19
; %bb.18:                               ;   in Loop: Header=BB187_17 Depth=3
	v_add_nc_u32_e32 v1, 1, v1
	s_mov_b32 s38, exec_lo
                                        ; implicit-def: $vgpr22
	s_delay_alu instid0(VALU_DEP_1)
	v_and_b32_e32 v1, 0x3ff, v1
	s_and_not1_saveexec_b32 s39, s39
	s_cbranch_execz .LBB187_21
	s_branch .LBB187_20
.LBB187_19:                             ;   in Loop: Header=BB187_17 Depth=3
	s_and_not1_saveexec_b32 s39, s39
	s_cbranch_execz .LBB187_21
.LBB187_20:                             ;   in Loop: Header=BB187_17 Depth=3
	v_mov_b32_e32 v23, s33
	s_and_not1_b32 s38, s38, exec_lo
	ds_cmpstore_rtn_b32 v22, v22, v21, v23
	s_wait_dscnt 0x0
	v_cmp_ne_u32_e32 vcc_lo, s33, v22
	s_and_b32 s40, vcc_lo, exec_lo
	s_delay_alu instid0(SALU_CYCLE_1)
	s_or_b32 s38, s38, s40
.LBB187_21:                             ;   in Loop: Header=BB187_17 Depth=3
	s_or_b32 exec_lo, exec_lo, s39
	s_mov_b32 s39, -1
                                        ; implicit-def: $vgpr22
                                        ; implicit-def: $vgpr23
	s_and_saveexec_b32 s40, s38
	s_cbranch_execz .LBB187_16
; %bb.22:                               ;   in Loop: Header=BB187_17 Depth=3
	v_lshl_add_u32 v22, v1, 2, 0
	ds_load_b32 v23, v22
	s_wait_dscnt 0x0
	v_cmp_eq_u32_e32 vcc_lo, v23, v21
	s_or_not1_b32 s39, vcc_lo, exec_lo
	s_branch .LBB187_16
.LBB187_23:
	s_or_b32 exec_lo, exec_lo, s12
.LBB187_24:
	s_delay_alu instid0(SALU_CYCLE_1)
	s_and_not1_b32 vcc_lo, exec_lo, s36
	s_cbranch_vccnz .LBB187_27
; %bb.25:
	s_wait_kmcnt 0x0
	s_ashr_i32 s29, s28, 31
	v_mov_b32_e32 v1, 0
	s_lshl_b64 s[0:1], s[28:29], 3
	s_delay_alu instid0(SALU_CYCLE_1) | instskip(SKIP_4) | instid1(SALU_CYCLE_1)
	s_add_nc_u64 s[0:1], s[4:5], s[0:1]
	s_load_b128 s[12:15], s[0:1], 0x0
	s_wait_xcnt 0x0
	s_mov_b32 s1, 0
	s_mov_b32 s0, s23
	v_sub_nc_u64_e64 v[4:5], v[0:1], s[0:1]
	s_wait_kmcnt 0x0
	s_delay_alu instid0(VALU_DEP_1) | instskip(SKIP_2) | instid1(VALU_DEP_1)
	v_add_nc_u64_e32 v[4:5], s[12:13], v[4:5]
	s_sub_nc_u64 s[2:3], s[14:15], s[0:1]
	s_mov_b32 s0, exec_lo
	v_cmpx_gt_i64_e64 s[2:3], v[4:5]
	s_cbranch_execnz .LBB187_49
.LBB187_26:
	s_or_b32 exec_lo, exec_lo, s0
.LBB187_27:
	v_mbcnt_lo_u32_b32 v2, -1, 0
	v_dual_lshrrev_b32 v3, 4, v0 :: v_dual_mov_b32 v1, 0
	s_wait_xcnt 0x0
	v_cmp_lt_u32_e64 s0, 63, v0
	v_cmp_lt_u32_e64 s1, 0x7f, v0
	s_delay_alu instid0(VALU_DEP_3)
	v_dual_mov_b32 v6, 0 :: v_dual_bitop2_b32 v3, 28, v3 bitop3:0x40
	v_xor_b32_e32 v2, 31, v2
	v_cmp_lt_u32_e64 s2, 0xbf, v0
	v_cmp_lt_u32_e64 s3, 0xff, v0
	;; [unrolled: 1-line block ×3, first 2 shown]
	v_add_nc_u32_e32 v3, 0, v3
	v_lshrrev_b32_e64 v2, v2, -1
	v_cmp_lt_u32_e64 s5, 0x17f, v0
	v_cmp_lt_u32_e64 s6, 0x1bf, v0
	s_mov_b32 s8, 0
	s_wait_dscnt 0x0
	v_cmp_eq_u32_e32 vcc_lo, 0x1ff, v0
	s_barrier_signal -1
	s_barrier_wait -1
	s_branch .LBB187_29
.LBB187_28:                             ;   in Loop: Header=BB187_29 Depth=1
	s_or_b32 exec_lo, exec_lo, s7
	s_wait_dscnt 0x0
	s_barrier_signal -1
	s_barrier_wait -1
	ds_load_b32 v4, v1 offset:12316
	v_add_co_u32 v19, s7, 0x200, v19
	s_xor_b32 s7, s7, -1
	v_add_nc_u32_e32 v20, 0x1000, v20
	v_add_nc_u32_e32 v18, 0x800, v18
	s_and_b32 s7, exec_lo, s7
	s_delay_alu instid0(SALU_CYCLE_1)
	s_or_b32 s8, s7, s8
	s_wait_dscnt 0x0
	v_add_nc_u32_e32 v6, v4, v6
	s_and_not1_b32 exec_lo, exec_lo, s8
	s_cbranch_execz .LBB187_58
.LBB187_29:                             ; =>This Inner Loop Header: Depth=1
	ds_load_b32 v7, v18
	ds_load_b64 v[4:5], v20
	s_wait_dscnt 0x0
	s_barrier_signal -1
	s_barrier_wait -1
	v_cmp_gt_i32_e64 s7, s33, v7
	s_bcnt1_i32_b32 s9, s7
	s_delay_alu instid0(SALU_CYCLE_1) | instskip(NEXT) | instid1(VALU_DEP_1)
	v_dual_mov_b32 v9, s9 :: v_dual_bitop2_b32 v8, s7, v2 bitop3:0x40
	v_bcnt_u32_b32 v8, v8, 0
	ds_store_b32 v3, v9 offset:12288
	s_wait_dscnt 0x0
	s_barrier_signal -1
	s_barrier_wait -1
	s_and_saveexec_b32 s9, s0
	s_cbranch_execz .LBB187_38
; %bb.30:                               ;   in Loop: Header=BB187_29 Depth=1
	ds_load_b32 v9, v1 offset:12288
	s_wait_dscnt 0x0
	v_add_nc_u32_e32 v8, v9, v8
	s_or_b32 exec_lo, exec_lo, s9
	s_and_saveexec_b32 s9, s1
	s_cbranch_execnz .LBB187_39
.LBB187_31:                             ;   in Loop: Header=BB187_29 Depth=1
	s_or_b32 exec_lo, exec_lo, s9
	s_and_saveexec_b32 s9, s2
	s_cbranch_execz .LBB187_40
.LBB187_32:                             ;   in Loop: Header=BB187_29 Depth=1
	ds_load_b32 v9, v1 offset:12296
	s_wait_dscnt 0x0
	v_add_nc_u32_e32 v8, v9, v8
	s_or_b32 exec_lo, exec_lo, s9
	s_and_saveexec_b32 s9, s3
	s_cbranch_execnz .LBB187_41
.LBB187_33:                             ;   in Loop: Header=BB187_29 Depth=1
	s_or_b32 exec_lo, exec_lo, s9
	s_and_saveexec_b32 s9, s4
	s_cbranch_execz .LBB187_42
.LBB187_34:                             ;   in Loop: Header=BB187_29 Depth=1
	ds_load_b32 v9, v1 offset:12304
	s_wait_dscnt 0x0
	v_add_nc_u32_e32 v8, v9, v8
	s_or_b32 exec_lo, exec_lo, s9
	s_and_saveexec_b32 s9, s5
	s_cbranch_execnz .LBB187_43
.LBB187_35:                             ;   in Loop: Header=BB187_29 Depth=1
	s_or_b32 exec_lo, exec_lo, s9
	s_and_saveexec_b32 s9, s6
	s_cbranch_execz .LBB187_44
.LBB187_36:                             ;   in Loop: Header=BB187_29 Depth=1
	ds_load_b32 v9, v1 offset:12312
	s_wait_dscnt 0x0
	v_add_nc_u32_e32 v8, v9, v8
	s_or_b32 exec_lo, exec_lo, s9
	s_and_saveexec_b32 s9, s7
	s_cbranch_execnz .LBB187_45
.LBB187_37:                             ;   in Loop: Header=BB187_29 Depth=1
	s_or_b32 exec_lo, exec_lo, s9
	s_and_saveexec_b32 s7, vcc_lo
	s_cbranch_execz .LBB187_28
	s_branch .LBB187_46
.LBB187_38:                             ;   in Loop: Header=BB187_29 Depth=1
	s_or_b32 exec_lo, exec_lo, s9
	s_and_saveexec_b32 s9, s1
	s_cbranch_execz .LBB187_31
.LBB187_39:                             ;   in Loop: Header=BB187_29 Depth=1
	ds_load_b32 v9, v1 offset:12292
	s_wait_dscnt 0x0
	v_add_nc_u32_e32 v8, v9, v8
	s_or_b32 exec_lo, exec_lo, s9
	s_and_saveexec_b32 s9, s2
	s_cbranch_execnz .LBB187_32
.LBB187_40:                             ;   in Loop: Header=BB187_29 Depth=1
	s_or_b32 exec_lo, exec_lo, s9
	s_and_saveexec_b32 s9, s3
	s_cbranch_execz .LBB187_33
.LBB187_41:                             ;   in Loop: Header=BB187_29 Depth=1
	ds_load_b32 v9, v1 offset:12300
	s_wait_dscnt 0x0
	v_add_nc_u32_e32 v8, v9, v8
	s_or_b32 exec_lo, exec_lo, s9
	s_and_saveexec_b32 s9, s4
	s_cbranch_execnz .LBB187_34
.LBB187_42:                             ;   in Loop: Header=BB187_29 Depth=1
	s_or_b32 exec_lo, exec_lo, s9
	s_and_saveexec_b32 s9, s5
	s_cbranch_execz .LBB187_35
.LBB187_43:                             ;   in Loop: Header=BB187_29 Depth=1
	ds_load_b32 v9, v1 offset:12308
	s_wait_dscnt 0x0
	v_add_nc_u32_e32 v8, v9, v8
	s_or_b32 exec_lo, exec_lo, s9
	s_and_saveexec_b32 s9, s6
	s_cbranch_execnz .LBB187_36
.LBB187_44:                             ;   in Loop: Header=BB187_29 Depth=1
	s_or_b32 exec_lo, exec_lo, s9
	s_and_saveexec_b32 s9, s7
	s_cbranch_execz .LBB187_37
.LBB187_45:                             ;   in Loop: Header=BB187_29 Depth=1
	s_delay_alu instid0(VALU_DEP_1) | instskip(SKIP_1) | instid1(VALU_DEP_2)
	v_add3_u32 v9, v6, -1, v8
	v_add_nc_u32_e32 v10, v6, v8
	v_lshl_add_u32 v9, v9, 2, 0
	s_delay_alu instid0(VALU_DEP_2)
	v_lshl_add_u32 v10, v10, 3, 0
	ds_store_b32 v9, v7
	ds_store_b64 v10, v[4:5] offset:4088
	s_or_b32 exec_lo, exec_lo, s9
	s_and_saveexec_b32 s7, vcc_lo
	s_cbranch_execz .LBB187_28
.LBB187_46:                             ;   in Loop: Header=BB187_29 Depth=1
	ds_store_b32 v1, v8 offset:12316
	s_branch .LBB187_28
.LBB187_47:                             ;   in Loop: Header=BB187_49 Depth=1
	s_or_b32 exec_lo, exec_lo, s5
.LBB187_48:                             ;   in Loop: Header=BB187_49 Depth=1
	s_delay_alu instid0(SALU_CYCLE_1) | instskip(SKIP_4) | instid1(VALU_DEP_1)
	s_or_b32 exec_lo, exec_lo, s4
	s_wait_loadcnt 0x0
	v_mul_f64_e32 v[6:7], v[2:3], v[6:7]
	v_lshl_add_u32 v1, v1, 3, 0
	v_add_nc_u64_e32 v[4:5], 0x200, v[4:5]
	v_cmp_le_i64_e32 vcc_lo, s[2:3], v[4:5]
	s_or_b32 s1, vcc_lo, s1
	ds_add_f64 v1, v[6:7] offset:4096
	s_and_not1_b32 exec_lo, exec_lo, s1
	s_cbranch_execz .LBB187_26
.LBB187_49:                             ; =>This Loop Header: Depth=1
                                        ;     Child Loop BB187_52 Depth 2
	v_lshl_add_u64 v[6:7], v[4:5], 2, s[6:7]
	s_mov_b32 s4, exec_lo
	global_load_b32 v1, v[6:7], off
	s_wait_xcnt 0x0
	v_lshl_add_u64 v[6:7], v[4:5], 3, s[8:9]
	global_load_b64 v[6:7], v[6:7], off
	s_wait_loadcnt 0x1
	v_subrev_nc_u32_e32 v8, s23, v1
	s_delay_alu instid0(VALU_DEP_1) | instskip(NEXT) | instid1(VALU_DEP_1)
	v_mul_lo_u32 v1, 0x89, v8
	v_and_b32_e32 v1, 0x3ff, v1
	s_delay_alu instid0(VALU_DEP_1)
	v_lshl_add_u32 v9, v1, 2, 0
	ds_load_b32 v10, v9
	s_wait_dscnt 0x0
	s_wait_xcnt 0x0
	v_cmpx_ne_u32_e64 v10, v8
	s_cbranch_execz .LBB187_48
; %bb.50:                               ;   in Loop: Header=BB187_49 Depth=1
	s_mov_b32 s5, 0
	s_branch .LBB187_52
.LBB187_51:                             ;   in Loop: Header=BB187_52 Depth=2
	s_or_b32 exec_lo, exec_lo, s14
	s_delay_alu instid0(SALU_CYCLE_1) | instskip(NEXT) | instid1(SALU_CYCLE_1)
	s_and_b32 s12, exec_lo, s13
	s_or_b32 s5, s12, s5
	s_delay_alu instid0(SALU_CYCLE_1)
	s_and_not1_b32 exec_lo, exec_lo, s5
	s_cbranch_execz .LBB187_47
.LBB187_52:                             ;   Parent Loop BB187_49 Depth=1
                                        ; =>  This Inner Loop Header: Depth=2
	s_mov_b32 s12, 0
	s_mov_b32 s13, exec_lo
	v_cmpx_ne_u32_e64 s33, v10
	s_xor_b32 s13, exec_lo, s13
	s_cbranch_execz .LBB187_54
; %bb.53:                               ;   in Loop: Header=BB187_52 Depth=2
	v_add_nc_u32_e32 v1, 1, v1
	s_mov_b32 s12, exec_lo
                                        ; implicit-def: $vgpr9
	s_delay_alu instid0(VALU_DEP_1)
	v_and_b32_e32 v1, 0x3ff, v1
	s_and_not1_saveexec_b32 s13, s13
	s_cbranch_execz .LBB187_56
	s_branch .LBB187_55
.LBB187_54:                             ;   in Loop: Header=BB187_52 Depth=2
	s_and_not1_saveexec_b32 s13, s13
	s_cbranch_execz .LBB187_56
.LBB187_55:                             ;   in Loop: Header=BB187_52 Depth=2
	v_mov_b32_e32 v10, s33
	s_and_not1_b32 s12, s12, exec_lo
	ds_cmpstore_rtn_b32 v9, v9, v8, v10
	s_wait_dscnt 0x0
	v_cmp_ne_u32_e32 vcc_lo, s33, v9
	s_and_b32 s14, vcc_lo, exec_lo
	s_delay_alu instid0(SALU_CYCLE_1)
	s_or_b32 s12, s12, s14
.LBB187_56:                             ;   in Loop: Header=BB187_52 Depth=2
	s_or_b32 exec_lo, exec_lo, s13
	s_mov_b32 s13, -1
                                        ; implicit-def: $vgpr9
                                        ; implicit-def: $vgpr10
	s_and_saveexec_b32 s14, s12
	s_cbranch_execz .LBB187_51
; %bb.57:                               ;   in Loop: Header=BB187_52 Depth=2
	v_lshl_add_u32 v9, v1, 2, 0
	ds_load_b32 v10, v9
	s_wait_dscnt 0x0
	v_cmp_eq_u32_e32 vcc_lo, v10, v8
	s_or_not1_b32 s13, vcc_lo, exec_lo
	s_branch .LBB187_51
.LBB187_58:
	s_or_b32 exec_lo, exec_lo, s8
	s_wait_kmcnt 0x0
	s_ashr_i32 s29, s28, 31
	s_delay_alu instid0(SALU_CYCLE_1) | instskip(NEXT) | instid1(SALU_CYCLE_1)
	s_lshl_b64 s[0:1], s[28:29], 3
	s_add_nc_u64 s[4:5], s[10:11], s[0:1]
	s_load_b128 s[0:3], s[4:5], 0x0
	s_wait_xcnt 0x0
	s_mov_b32 s4, exec_lo
	s_wait_kmcnt 0x0
	s_sub_co_i32 s3, s2, s0
	s_delay_alu instid0(SALU_CYCLE_1)
	v_cmpx_gt_i32_e64 s3, v0
	s_cbranch_execz .LBB187_68
; %bb.59:
	s_sub_co_i32 s4, s0, s2
	s_and_b32 s2, s3, 7
	s_cmp_lt_u32 s4, -7
	s_mov_b32 s23, 0
	s_cselect_b32 s4, -1, 0
	s_and_b32 s5, s3, -8
	s_cmp_lg_u32 s2, 0
	s_sub_nc_u64 s[0:1], s[0:1], s[22:23]
	s_cselect_b32 s6, -1, 0
	s_mov_b32 s7, 0
	s_branch .LBB187_61
.LBB187_60:                             ;   in Loop: Header=BB187_61 Depth=1
	v_add_nc_u32_e32 v0, 0x200, v0
	s_delay_alu instid0(VALU_DEP_2) | instskip(NEXT) | instid1(VALU_DEP_2)
	v_lshl_add_u64 v[4:5], v[4:5], 3, s[34:35]
	v_cmp_le_i32_e32 vcc_lo, s3, v0
	s_wait_dscnt 0x0
	global_store_b64 v[4:5], v[2:3], off
	s_or_b32 s7, vcc_lo, s7
	s_wait_xcnt 0x0
	s_and_not1_b32 exec_lo, exec_lo, s7
	s_cbranch_execz .LBB187_68
.LBB187_61:                             ; =>This Loop Header: Depth=1
                                        ;     Child Loop BB187_63 Depth 2
                                        ;     Child Loop BB187_67 Depth 2
	v_lshlrev_b32_e32 v1, 2, v0
	v_mov_b64_e32 v[4:5], s[0:1]
	s_and_not1_b32 vcc_lo, exec_lo, s4
	s_mov_b32 s8, 0
	s_delay_alu instid0(VALU_DEP_2) | instskip(NEXT) | instid1(VALU_DEP_1)
	v_add_nc_u32_e32 v2, 0, v1
	v_add_nc_u32_e32 v3, v2, v1
	ds_load_b32 v1, v2
	ds_load_b64 v[2:3], v3 offset:4096
	s_cbranch_vccnz .LBB187_65
; %bb.62:                               ;   in Loop: Header=BB187_61 Depth=1
	v_mov_b64_e32 v[4:5], s[0:1]
	s_mov_b32 s9, 0
.LBB187_63:                             ;   Parent Loop BB187_61 Depth=1
                                        ; =>  This Inner Loop Header: Depth=2
	s_delay_alu instid0(SALU_CYCLE_1)
	v_dual_mov_b32 v10, s9 :: v_dual_mov_b32 v11, s23
	v_mov_b32_e32 v17, s23
	s_add_co_i32 s8, s8, 8
	s_add_co_i32 s9, s9, 32
	ds_load_2addr_b32 v[6:7], v10 offset1:1
	ds_load_2addr_b32 v[8:9], v10 offset0:2 offset1:3
	ds_load_2addr_b32 v[12:13], v10 offset0:4 offset1:5
	;; [unrolled: 1-line block ×3, first 2 shown]
	s_cmp_eq_u32 s5, s8
	s_wait_dscnt 0x3
	v_cmp_gt_i32_e32 vcc_lo, v1, v6
	v_cndmask_b32_e64 v10, 0, 1, vcc_lo
	v_cmp_gt_i32_e32 vcc_lo, v1, v7
	v_mov_b32_e32 v7, s23
	s_delay_alu instid0(VALU_DEP_3) | instskip(SKIP_4) | instid1(VALU_DEP_3)
	v_add_nc_u64_e32 v[4:5], v[4:5], v[10:11]
	v_cndmask_b32_e64 v16, 0, 1, vcc_lo
	s_wait_dscnt 0x2
	v_cmp_gt_i32_e32 vcc_lo, v1, v8
	v_cndmask_b32_e64 v6, 0, 1, vcc_lo
	v_add_nc_u64_e32 v[4:5], v[4:5], v[16:17]
	v_cmp_gt_i32_e32 vcc_lo, v1, v9
	v_mov_b32_e32 v9, s23
	v_cndmask_b32_e64 v10, 0, 1, vcc_lo
	s_delay_alu instid0(VALU_DEP_4) | instskip(SKIP_3) | instid1(VALU_DEP_3)
	v_add_nc_u64_e32 v[4:5], v[4:5], v[6:7]
	s_wait_dscnt 0x1
	v_cmp_gt_i32_e32 vcc_lo, v1, v12
	v_cndmask_b32_e64 v6, 0, 1, vcc_lo
	v_add_nc_u64_e32 v[4:5], v[4:5], v[10:11]
	v_cmp_gt_i32_e32 vcc_lo, v1, v13
	v_cndmask_b32_e64 v8, 0, 1, vcc_lo
	s_delay_alu instid0(VALU_DEP_3) | instskip(SKIP_3) | instid1(VALU_DEP_3)
	v_add_nc_u64_e32 v[4:5], v[4:5], v[6:7]
	s_wait_dscnt 0x0
	v_cmp_gt_i32_e32 vcc_lo, v1, v14
	v_cndmask_b32_e64 v6, 0, 1, vcc_lo
	v_add_nc_u64_e32 v[4:5], v[4:5], v[8:9]
	v_cmp_gt_i32_e32 vcc_lo, v1, v15
	v_cndmask_b32_e64 v8, 0, 1, vcc_lo
	s_delay_alu instid0(VALU_DEP_3) | instskip(NEXT) | instid1(VALU_DEP_1)
	v_add_nc_u64_e32 v[4:5], v[4:5], v[6:7]
	v_add_nc_u64_e32 v[4:5], v[4:5], v[8:9]
	s_cbranch_scc0 .LBB187_63
; %bb.64:                               ;   in Loop: Header=BB187_61 Depth=1
	s_mov_b32 s8, s5
.LBB187_65:                             ;   in Loop: Header=BB187_61 Depth=1
	s_and_not1_b32 vcc_lo, exec_lo, s6
	s_cbranch_vccnz .LBB187_60
; %bb.66:                               ;   in Loop: Header=BB187_61 Depth=1
	s_lshl_b32 s8, s8, 2
	s_mov_b32 s9, s2
	s_add_co_i32 s8, s8, 0
.LBB187_67:                             ;   Parent Loop BB187_61 Depth=1
                                        ; =>  This Inner Loop Header: Depth=2
	s_delay_alu instid0(SALU_CYCLE_1)
	v_dual_mov_b32 v6, s8 :: v_dual_mov_b32 v7, s23
	s_add_co_i32 s9, s9, -1
	s_add_co_i32 s8, s8, 4
	s_cmp_lg_u32 s9, 0
	ds_load_b32 v6, v6
	s_wait_dscnt 0x0
	v_cmp_gt_i32_e32 vcc_lo, v1, v6
	v_cndmask_b32_e64 v6, 0, 1, vcc_lo
	s_delay_alu instid0(VALU_DEP_1)
	v_add_nc_u64_e32 v[4:5], v[4:5], v[6:7]
	s_cbranch_scc1 .LBB187_67
	s_branch .LBB187_60
.LBB187_68:
	s_endpgm
	.section	.rodata,"a",@progbits
	.p2align	6, 0x0
	.amdhsa_kernel _ZN9rocsparseL41csrgemm_numeric_fill_block_per_row_kernelILj512ELj32ELj1024ELj137ELj64ElidEEvT5_PKS1_S3_NS_24const_host_device_scalarIT6_EEPKT4_S3_PKS5_S9_S3_SB_S6_S9_S3_SB_S9_S3_PS5_21rocsparse_index_base_SD_SD_SD_bbb
		.amdhsa_group_segment_fixed_size 0
		.amdhsa_private_segment_fixed_size 0
		.amdhsa_kernarg_size 156
		.amdhsa_user_sgpr_count 2
		.amdhsa_user_sgpr_dispatch_ptr 0
		.amdhsa_user_sgpr_queue_ptr 0
		.amdhsa_user_sgpr_kernarg_segment_ptr 1
		.amdhsa_user_sgpr_dispatch_id 0
		.amdhsa_user_sgpr_kernarg_preload_length 0
		.amdhsa_user_sgpr_kernarg_preload_offset 0
		.amdhsa_user_sgpr_private_segment_size 0
		.amdhsa_wavefront_size32 1
		.amdhsa_uses_dynamic_stack 0
		.amdhsa_enable_private_segment 0
		.amdhsa_system_sgpr_workgroup_id_x 1
		.amdhsa_system_sgpr_workgroup_id_y 0
		.amdhsa_system_sgpr_workgroup_id_z 0
		.amdhsa_system_sgpr_workgroup_info 0
		.amdhsa_system_vgpr_workitem_id 0
		.amdhsa_next_free_vgpr 24
		.amdhsa_next_free_sgpr 44
		.amdhsa_named_barrier_count 0
		.amdhsa_reserve_vcc 1
		.amdhsa_float_round_mode_32 0
		.amdhsa_float_round_mode_16_64 0
		.amdhsa_float_denorm_mode_32 3
		.amdhsa_float_denorm_mode_16_64 3
		.amdhsa_fp16_overflow 0
		.amdhsa_memory_ordered 1
		.amdhsa_forward_progress 1
		.amdhsa_inst_pref_size 22
		.amdhsa_round_robin_scheduling 0
		.amdhsa_exception_fp_ieee_invalid_op 0
		.amdhsa_exception_fp_denorm_src 0
		.amdhsa_exception_fp_ieee_div_zero 0
		.amdhsa_exception_fp_ieee_overflow 0
		.amdhsa_exception_fp_ieee_underflow 0
		.amdhsa_exception_fp_ieee_inexact 0
		.amdhsa_exception_int_div_zero 0
	.end_amdhsa_kernel
	.section	.text._ZN9rocsparseL41csrgemm_numeric_fill_block_per_row_kernelILj512ELj32ELj1024ELj137ELj64ElidEEvT5_PKS1_S3_NS_24const_host_device_scalarIT6_EEPKT4_S3_PKS5_S9_S3_SB_S6_S9_S3_SB_S9_S3_PS5_21rocsparse_index_base_SD_SD_SD_bbb,"axG",@progbits,_ZN9rocsparseL41csrgemm_numeric_fill_block_per_row_kernelILj512ELj32ELj1024ELj137ELj64ElidEEvT5_PKS1_S3_NS_24const_host_device_scalarIT6_EEPKT4_S3_PKS5_S9_S3_SB_S6_S9_S3_SB_S9_S3_PS5_21rocsparse_index_base_SD_SD_SD_bbb,comdat
.Lfunc_end187:
	.size	_ZN9rocsparseL41csrgemm_numeric_fill_block_per_row_kernelILj512ELj32ELj1024ELj137ELj64ElidEEvT5_PKS1_S3_NS_24const_host_device_scalarIT6_EEPKT4_S3_PKS5_S9_S3_SB_S6_S9_S3_SB_S9_S3_PS5_21rocsparse_index_base_SD_SD_SD_bbb, .Lfunc_end187-_ZN9rocsparseL41csrgemm_numeric_fill_block_per_row_kernelILj512ELj32ELj1024ELj137ELj64ElidEEvT5_PKS1_S3_NS_24const_host_device_scalarIT6_EEPKT4_S3_PKS5_S9_S3_SB_S6_S9_S3_SB_S9_S3_PS5_21rocsparse_index_base_SD_SD_SD_bbb
                                        ; -- End function
	.set _ZN9rocsparseL41csrgemm_numeric_fill_block_per_row_kernelILj512ELj32ELj1024ELj137ELj64ElidEEvT5_PKS1_S3_NS_24const_host_device_scalarIT6_EEPKT4_S3_PKS5_S9_S3_SB_S6_S9_S3_SB_S9_S3_PS5_21rocsparse_index_base_SD_SD_SD_bbb.num_vgpr, 24
	.set _ZN9rocsparseL41csrgemm_numeric_fill_block_per_row_kernelILj512ELj32ELj1024ELj137ELj64ElidEEvT5_PKS1_S3_NS_24const_host_device_scalarIT6_EEPKT4_S3_PKS5_S9_S3_SB_S6_S9_S3_SB_S9_S3_PS5_21rocsparse_index_base_SD_SD_SD_bbb.num_agpr, 0
	.set _ZN9rocsparseL41csrgemm_numeric_fill_block_per_row_kernelILj512ELj32ELj1024ELj137ELj64ElidEEvT5_PKS1_S3_NS_24const_host_device_scalarIT6_EEPKT4_S3_PKS5_S9_S3_SB_S6_S9_S3_SB_S9_S3_PS5_21rocsparse_index_base_SD_SD_SD_bbb.numbered_sgpr, 44
	.set _ZN9rocsparseL41csrgemm_numeric_fill_block_per_row_kernelILj512ELj32ELj1024ELj137ELj64ElidEEvT5_PKS1_S3_NS_24const_host_device_scalarIT6_EEPKT4_S3_PKS5_S9_S3_SB_S6_S9_S3_SB_S9_S3_PS5_21rocsparse_index_base_SD_SD_SD_bbb.num_named_barrier, 0
	.set _ZN9rocsparseL41csrgemm_numeric_fill_block_per_row_kernelILj512ELj32ELj1024ELj137ELj64ElidEEvT5_PKS1_S3_NS_24const_host_device_scalarIT6_EEPKT4_S3_PKS5_S9_S3_SB_S6_S9_S3_SB_S9_S3_PS5_21rocsparse_index_base_SD_SD_SD_bbb.private_seg_size, 0
	.set _ZN9rocsparseL41csrgemm_numeric_fill_block_per_row_kernelILj512ELj32ELj1024ELj137ELj64ElidEEvT5_PKS1_S3_NS_24const_host_device_scalarIT6_EEPKT4_S3_PKS5_S9_S3_SB_S6_S9_S3_SB_S9_S3_PS5_21rocsparse_index_base_SD_SD_SD_bbb.uses_vcc, 1
	.set _ZN9rocsparseL41csrgemm_numeric_fill_block_per_row_kernelILj512ELj32ELj1024ELj137ELj64ElidEEvT5_PKS1_S3_NS_24const_host_device_scalarIT6_EEPKT4_S3_PKS5_S9_S3_SB_S6_S9_S3_SB_S9_S3_PS5_21rocsparse_index_base_SD_SD_SD_bbb.uses_flat_scratch, 0
	.set _ZN9rocsparseL41csrgemm_numeric_fill_block_per_row_kernelILj512ELj32ELj1024ELj137ELj64ElidEEvT5_PKS1_S3_NS_24const_host_device_scalarIT6_EEPKT4_S3_PKS5_S9_S3_SB_S6_S9_S3_SB_S9_S3_PS5_21rocsparse_index_base_SD_SD_SD_bbb.has_dyn_sized_stack, 0
	.set _ZN9rocsparseL41csrgemm_numeric_fill_block_per_row_kernelILj512ELj32ELj1024ELj137ELj64ElidEEvT5_PKS1_S3_NS_24const_host_device_scalarIT6_EEPKT4_S3_PKS5_S9_S3_SB_S6_S9_S3_SB_S9_S3_PS5_21rocsparse_index_base_SD_SD_SD_bbb.has_recursion, 0
	.set _ZN9rocsparseL41csrgemm_numeric_fill_block_per_row_kernelILj512ELj32ELj1024ELj137ELj64ElidEEvT5_PKS1_S3_NS_24const_host_device_scalarIT6_EEPKT4_S3_PKS5_S9_S3_SB_S6_S9_S3_SB_S9_S3_PS5_21rocsparse_index_base_SD_SD_SD_bbb.has_indirect_call, 0
	.section	.AMDGPU.csdata,"",@progbits
; Kernel info:
; codeLenInByte = 2812
; TotalNumSgprs: 46
; NumVgprs: 24
; ScratchSize: 0
; MemoryBound: 0
; FloatMode: 240
; IeeeMode: 1
; LDSByteSize: 0 bytes/workgroup (compile time only)
; SGPRBlocks: 0
; VGPRBlocks: 1
; NumSGPRsForWavesPerEU: 46
; NumVGPRsForWavesPerEU: 24
; NamedBarCnt: 0
; Occupancy: 16
; WaveLimiterHint : 1
; COMPUTE_PGM_RSRC2:SCRATCH_EN: 0
; COMPUTE_PGM_RSRC2:USER_SGPR: 2
; COMPUTE_PGM_RSRC2:TRAP_HANDLER: 0
; COMPUTE_PGM_RSRC2:TGID_X_EN: 1
; COMPUTE_PGM_RSRC2:TGID_Y_EN: 0
; COMPUTE_PGM_RSRC2:TGID_Z_EN: 0
; COMPUTE_PGM_RSRC2:TIDIG_COMP_CNT: 0
	.section	.text._ZN9rocsparseL41csrgemm_numeric_fill_block_per_row_kernelILj1024ELj32ELj2048ELj137ELj32ElidEEvT5_PKS1_S3_NS_24const_host_device_scalarIT6_EEPKT4_S3_PKS5_S9_S3_SB_S6_S9_S3_SB_S9_S3_PS5_21rocsparse_index_base_SD_SD_SD_bbb,"axG",@progbits,_ZN9rocsparseL41csrgemm_numeric_fill_block_per_row_kernelILj1024ELj32ELj2048ELj137ELj32ElidEEvT5_PKS1_S3_NS_24const_host_device_scalarIT6_EEPKT4_S3_PKS5_S9_S3_SB_S6_S9_S3_SB_S9_S3_PS5_21rocsparse_index_base_SD_SD_SD_bbb,comdat
	.globl	_ZN9rocsparseL41csrgemm_numeric_fill_block_per_row_kernelILj1024ELj32ELj2048ELj137ELj32ElidEEvT5_PKS1_S3_NS_24const_host_device_scalarIT6_EEPKT4_S3_PKS5_S9_S3_SB_S6_S9_S3_SB_S9_S3_PS5_21rocsparse_index_base_SD_SD_SD_bbb ; -- Begin function _ZN9rocsparseL41csrgemm_numeric_fill_block_per_row_kernelILj1024ELj32ELj2048ELj137ELj32ElidEEvT5_PKS1_S3_NS_24const_host_device_scalarIT6_EEPKT4_S3_PKS5_S9_S3_SB_S6_S9_S3_SB_S9_S3_PS5_21rocsparse_index_base_SD_SD_SD_bbb
	.p2align	8
	.type	_ZN9rocsparseL41csrgemm_numeric_fill_block_per_row_kernelILj1024ELj32ELj2048ELj137ELj32ElidEEvT5_PKS1_S3_NS_24const_host_device_scalarIT6_EEPKT4_S3_PKS5_S9_S3_SB_S6_S9_S3_SB_S9_S3_PS5_21rocsparse_index_base_SD_SD_SD_bbb,@function
_ZN9rocsparseL41csrgemm_numeric_fill_block_per_row_kernelILj1024ELj32ELj2048ELj137ELj32ElidEEvT5_PKS1_S3_NS_24const_host_device_scalarIT6_EEPKT4_S3_PKS5_S9_S3_SB_S6_S9_S3_SB_S9_S3_PS5_21rocsparse_index_base_SD_SD_SD_bbb: ; @_ZN9rocsparseL41csrgemm_numeric_fill_block_per_row_kernelILj1024ELj32ELj2048ELj137ELj32ElidEEvT5_PKS1_S3_NS_24const_host_device_scalarIT6_EEPKT4_S3_PKS5_S9_S3_SB_S6_S9_S3_SB_S9_S3_PS5_21rocsparse_index_base_SD_SD_SD_bbb
; %bb.0:
	s_clause 0x3
	s_load_b32 s6, s[0:1], 0x98
	s_load_b64 s[4:5], s[0:1], 0x18
	s_load_b128 s[44:47], s[0:1], 0x88
	s_load_b64 s[2:3], s[0:1], 0x50
	s_wait_kmcnt 0x0
	s_bitcmp1_b32 s6, 0
	s_cselect_b32 s21, -1, 0
	s_bitcmp1_b32 s6, 16
	s_cselect_b32 s7, -1, 0
	s_xor_b32 s8, s21, -1
	s_delay_alu instid0(SALU_CYCLE_1)
	s_or_b32 s10, s7, s8
	s_and_b32 s8, s21, exec_lo
	s_cselect_b32 s9, s5, 0
	s_cselect_b32 s8, s4, 0
	s_and_b32 vcc_lo, exec_lo, s10
	v_mov_b64_e32 v[6:7], s[8:9]
	s_cbranch_vccnz .LBB188_2
; %bb.1:
	v_mov_b32_e32 v1, 0
	flat_load_b64 v[6:7], v1, s[4:5]
.LBB188_2:
	s_load_b128 s[16:19], s[0:1], 0x8
	s_bitcmp1_b32 s6, 8
	s_cselect_b32 s20, -1, 0
	s_delay_alu instid0(SALU_CYCLE_1) | instskip(NEXT) | instid1(SALU_CYCLE_1)
	s_xor_b32 s4, s20, -1
	s_or_b32 s6, s7, s4
	s_and_b32 s4, s20, exec_lo
	s_cselect_b32 s5, s3, 0
	s_cselect_b32 s4, s2, 0
	s_and_b32 vcc_lo, exec_lo, s6
	v_mov_b64_e32 v[2:3], s[4:5]
	s_cbranch_vccnz .LBB188_4
; %bb.3:
	v_mov_b32_e32 v1, 0
	flat_load_b64 v[2:3], v1, s[2:3]
.LBB188_4:
	s_clause 0x4
	s_load_b32 s33, s[0:1], 0x0
	s_load_b64 s[34:35], s[0:1], 0x80
	s_load_b256 s[36:43], s[0:1], 0x58
	s_load_b128 s[12:15], s[0:1], 0x40
	s_load_b256 s[4:11], s[0:1], 0x20
	v_or_b32_e32 v21, 0xfffffc00, v0
	v_lshlrev_b32_e32 v1, 3, v0
	v_lshl_add_u32 v20, v0, 2, 0
	v_mov_b64_e32 v[4:5], 0
	s_wait_xcnt 0x0
	s_mov_b32 s0, 0
	v_mov_b32_e32 v8, v21
	v_add3_u32 v22, v1, 0, 0x2000
	s_delay_alu instid0(VALU_DEP_1)
	v_dual_mov_b32 v1, v20 :: v_dual_mov_b32 v10, v22
	s_wait_kmcnt 0x0
	v_mov_b32_e32 v9, s33
.LBB188_5:                              ; =>This Inner Loop Header: Depth=1
	v_add_co_u32 v8, s1, 0x400, v8
	s_xor_b32 s1, s1, -1
	ds_store_b32 v1, v9
	ds_store_b64 v10, v[4:5]
	v_add_nc_u32_e32 v10, 0x2000, v10
	v_add_nc_u32_e32 v1, 0x1000, v1
	s_and_b32 s1, exec_lo, s1
	s_delay_alu instid0(SALU_CYCLE_1) | instskip(NEXT) | instid1(SALU_CYCLE_1)
	s_or_b32 s0, s1, s0
	s_and_not1_b32 exec_lo, exec_lo, s0
	s_cbranch_execnz .LBB188_5
; %bb.6:
	s_or_b32 exec_lo, exec_lo, s0
	s_wait_loadcnt_dscnt 0x0
	s_barrier_signal -1
	s_barrier_wait -1
	s_load_b32 s0, s[16:17], 0x0
	s_bfe_u32 s1, ttmp6, 0x4000c
	s_and_b32 s2, ttmp6, 15
	s_add_co_i32 s1, s1, 1
	s_getreg_b32 s3, hwreg(HW_REG_IB_STS2, 6, 4)
	s_mul_i32 s1, ttmp9, s1
	v_lshrrev_b32_e32 v4, 5, v0
	s_add_co_i32 s2, s2, s1
	s_cmp_eq_u32 s3, 0
	s_cselect_b32 s1, ttmp9, s2
	s_and_b32 vcc_lo, s21, exec_lo
	s_wait_kmcnt 0x0
	s_add_co_i32 s0, s0, s1
	s_mov_b32 s1, 0
	s_load_b32 s48, s[18:19], s0 offset:0x0 scale_offset
	s_cbranch_vccz .LBB188_24
; %bb.7:
	s_wait_kmcnt 0x0
	s_ashr_i32 s49, s48, 31
	v_mov_b32_e32 v5, 0
	s_lshl_b64 s[2:3], s[48:49], 3
	s_mov_b32 s0, s44
	s_add_nc_u64 s[2:3], s[4:5], s[2:3]
	s_mov_b32 s4, exec_lo
	s_load_b128 s[16:19], s[2:3], 0x0
	v_sub_nc_u64_e64 v[8:9], v[4:5], s[0:1]
	s_wait_kmcnt 0x0
	s_delay_alu instid0(VALU_DEP_1)
	v_add_nc_u64_e32 v[8:9], s[16:17], v[8:9]
	s_sub_nc_u64 s[0:1], s[18:19], s[0:1]
	s_delay_alu instid0(VALU_DEP_1) | instid1(SALU_CYCLE_1)
	v_cmpx_gt_i64_e64 s[0:1], v[8:9]
	s_cbranch_execz .LBB188_23
; %bb.8:
	v_dual_mov_b32 v11, v5 :: v_dual_bitop2_b32 v10, 31, v0 bitop3:0x40
	s_mov_b32 s3, 0
	s_mov_b32 s2, s45
	;; [unrolled: 1-line block ×3, first 2 shown]
	s_delay_alu instid0(VALU_DEP_1)
	v_sub_nc_u64_e64 v[10:11], v[10:11], s[2:3]
	s_branch .LBB188_10
.LBB188_9:                              ;   in Loop: Header=BB188_10 Depth=1
	s_or_b32 exec_lo, exec_lo, s16
	v_add_nc_u64_e32 v[8:9], 32, v[8:9]
	s_delay_alu instid0(VALU_DEP_1) | instskip(SKIP_1) | instid1(SALU_CYCLE_1)
	v_cmp_le_i64_e32 vcc_lo, s[0:1], v[8:9]
	s_or_b32 s5, vcc_lo, s5
	s_and_not1_b32 exec_lo, exec_lo, s5
	s_cbranch_execz .LBB188_23
.LBB188_10:                             ; =>This Loop Header: Depth=1
                                        ;     Child Loop BB188_14 Depth 2
                                        ;       Child Loop BB188_17 Depth 3
	v_lshl_add_u64 v[12:13], v[8:9], 2, s[6:7]
	s_mov_b32 s16, exec_lo
	global_load_b32 v1, v[12:13], off
	s_wait_loadcnt 0x0
	s_wait_xcnt 0x0
	v_subrev_nc_u32_e32 v12, s44, v1
	s_delay_alu instid0(VALU_DEP_1) | instskip(NEXT) | instid1(VALU_DEP_1)
	v_ashrrev_i32_e32 v13, 31, v12
	v_lshl_add_u64 v[12:13], v[12:13], 3, s[10:11]
	global_load_b128 v[14:17], v[12:13], off
	s_wait_loadcnt 0x0
	s_wait_xcnt 0x0
	v_sub_nc_u64_e64 v[12:13], v[16:17], s[2:3]
	v_add_nc_u64_e32 v[14:15], v[14:15], v[10:11]
	s_delay_alu instid0(VALU_DEP_1)
	v_cmpx_lt_i64_e64 v[14:15], v[12:13]
	s_cbranch_execz .LBB188_9
; %bb.11:                               ;   in Loop: Header=BB188_10 Depth=1
	v_lshl_add_u64 v[16:17], v[8:9], 3, s[8:9]
	s_mov_b32 s17, 0
	global_load_b64 v[16:17], v[16:17], off
	s_wait_loadcnt 0x0
	s_wait_xcnt 0x0
	v_mul_f64_e32 v[16:17], v[6:7], v[16:17]
	s_branch .LBB188_14
.LBB188_12:                             ;   in Loop: Header=BB188_14 Depth=2
	s_or_b32 exec_lo, exec_lo, s19
.LBB188_13:                             ;   in Loop: Header=BB188_14 Depth=2
	s_delay_alu instid0(SALU_CYCLE_1) | instskip(SKIP_4) | instid1(VALU_DEP_1)
	s_or_b32 exec_lo, exec_lo, s18
	s_wait_loadcnt 0x0
	v_mul_f64_e32 v[18:19], v[16:17], v[18:19]
	v_lshl_add_u32 v1, v1, 3, 0
	v_add_nc_u64_e32 v[14:15], 32, v[14:15]
	v_cmp_ge_i64_e32 vcc_lo, v[14:15], v[12:13]
	s_or_b32 s17, vcc_lo, s17
	ds_add_f64 v1, v[18:19] offset:8192
	s_and_not1_b32 exec_lo, exec_lo, s17
	s_cbranch_execz .LBB188_9
.LBB188_14:                             ;   Parent Loop BB188_10 Depth=1
                                        ; =>  This Loop Header: Depth=2
                                        ;       Child Loop BB188_17 Depth 3
	v_lshl_add_u64 v[18:19], v[14:15], 2, s[12:13]
	s_mov_b32 s18, exec_lo
	global_load_b32 v1, v[18:19], off
	s_wait_xcnt 0x0
	v_lshl_add_u64 v[18:19], v[14:15], 3, s[14:15]
	global_load_b64 v[18:19], v[18:19], off
	s_wait_loadcnt 0x1
	v_subrev_nc_u32_e32 v5, s45, v1
	s_delay_alu instid0(VALU_DEP_1) | instskip(NEXT) | instid1(VALU_DEP_1)
	v_mul_lo_u32 v1, 0x89, v5
	v_and_b32_e32 v1, 0x7ff, v1
	s_delay_alu instid0(VALU_DEP_1)
	v_lshl_add_u32 v23, v1, 2, 0
	ds_load_b32 v24, v23
	s_wait_dscnt 0x0
	s_wait_xcnt 0x0
	v_cmpx_ne_u32_e64 v24, v5
	s_cbranch_execz .LBB188_13
; %bb.15:                               ;   in Loop: Header=BB188_14 Depth=2
	s_mov_b32 s19, 0
	s_branch .LBB188_17
.LBB188_16:                             ;   in Loop: Header=BB188_17 Depth=3
	s_or_b32 exec_lo, exec_lo, s23
	s_delay_alu instid0(SALU_CYCLE_1) | instskip(NEXT) | instid1(SALU_CYCLE_1)
	s_and_b32 s21, exec_lo, s22
	s_or_b32 s19, s21, s19
	s_delay_alu instid0(SALU_CYCLE_1)
	s_and_not1_b32 exec_lo, exec_lo, s19
	s_cbranch_execz .LBB188_12
.LBB188_17:                             ;   Parent Loop BB188_10 Depth=1
                                        ;     Parent Loop BB188_14 Depth=2
                                        ; =>    This Inner Loop Header: Depth=3
	s_mov_b32 s21, 0
	s_mov_b32 s22, exec_lo
	v_cmpx_ne_u32_e64 s33, v24
	s_xor_b32 s22, exec_lo, s22
	s_cbranch_execz .LBB188_19
; %bb.18:                               ;   in Loop: Header=BB188_17 Depth=3
	v_add_nc_u32_e32 v1, 1, v1
	s_mov_b32 s21, exec_lo
                                        ; implicit-def: $vgpr23
	s_delay_alu instid0(VALU_DEP_1)
	v_and_b32_e32 v1, 0x7ff, v1
	s_and_not1_saveexec_b32 s22, s22
	s_cbranch_execz .LBB188_21
	s_branch .LBB188_20
.LBB188_19:                             ;   in Loop: Header=BB188_17 Depth=3
	s_and_not1_saveexec_b32 s22, s22
	s_cbranch_execz .LBB188_21
.LBB188_20:                             ;   in Loop: Header=BB188_17 Depth=3
	v_mov_b32_e32 v24, s33
	s_and_not1_b32 s21, s21, exec_lo
	ds_cmpstore_rtn_b32 v23, v23, v5, v24
	s_wait_dscnt 0x0
	v_cmp_ne_u32_e32 vcc_lo, s33, v23
	s_and_b32 s23, vcc_lo, exec_lo
	s_delay_alu instid0(SALU_CYCLE_1)
	s_or_b32 s21, s21, s23
.LBB188_21:                             ;   in Loop: Header=BB188_17 Depth=3
	s_or_b32 exec_lo, exec_lo, s22
	s_mov_b32 s22, -1
                                        ; implicit-def: $vgpr23
                                        ; implicit-def: $vgpr24
	s_and_saveexec_b32 s23, s21
	s_cbranch_execz .LBB188_16
; %bb.22:                               ;   in Loop: Header=BB188_17 Depth=3
	v_lshl_add_u32 v23, v1, 2, 0
	ds_load_b32 v24, v23
	s_wait_dscnt 0x0
	v_cmp_eq_u32_e32 vcc_lo, v24, v5
	s_or_not1_b32 s22, vcc_lo, exec_lo
	s_branch .LBB188_16
.LBB188_23:
	s_or_b32 exec_lo, exec_lo, s4
.LBB188_24:
	s_delay_alu instid0(SALU_CYCLE_1)
	s_and_not1_b32 vcc_lo, exec_lo, s20
	s_cbranch_vccnz .LBB188_27
; %bb.25:
	s_wait_kmcnt 0x0
	s_ashr_i32 s49, s48, 31
	v_mov_b32_e32 v1, 0
	s_lshl_b64 s[0:1], s[48:49], 3
	s_delay_alu instid0(SALU_CYCLE_1) | instskip(SKIP_4) | instid1(SALU_CYCLE_1)
	s_add_nc_u64 s[0:1], s[36:37], s[0:1]
	s_load_b128 s[4:7], s[0:1], 0x0
	s_wait_xcnt 0x0
	s_mov_b32 s1, 0
	s_mov_b32 s0, s47
	v_sub_nc_u64_e64 v[6:7], v[0:1], s[0:1]
	s_wait_kmcnt 0x0
	s_delay_alu instid0(VALU_DEP_1) | instskip(SKIP_2) | instid1(VALU_DEP_1)
	v_add_nc_u64_e32 v[6:7], s[4:5], v[6:7]
	s_sub_nc_u64 s[2:3], s[6:7], s[0:1]
	s_mov_b32 s0, exec_lo
	v_cmpx_gt_i64_e64 s[2:3], v[6:7]
	s_cbranch_execnz .LBB188_97
.LBB188_26:
	s_or_b32 exec_lo, exec_lo, s0
.LBB188_27:
	v_mbcnt_lo_u32_b32 v2, -1, 0
	v_mov_b32_e32 v1, 0
	v_lshl_add_u32 v3, v4, 2, 0
	s_wait_xcnt 0x0
	v_cmp_lt_u32_e64 s0, 31, v0
	v_cmp_lt_u32_e64 s1, 63, v0
	v_xor_b32_e32 v2, 31, v2
	v_cmp_lt_u32_e64 s2, 0x5f, v0
	v_cmp_lt_u32_e64 s3, 0x7f, v0
	;; [unrolled: 1-line block ×4, first 2 shown]
	v_lshrrev_b32_e64 v2, v2, -1
	v_cmp_lt_u32_e64 s6, 0xdf, v0
	v_cmp_lt_u32_e64 s7, 0xff, v0
	;; [unrolled: 1-line block ×25, first 2 shown]
	v_mov_b32_e32 v6, 0
	s_mov_b32 s36, 0
	s_wait_dscnt 0x0
	v_cmp_eq_u32_e32 vcc_lo, 0x3ff, v0
	s_barrier_signal -1
	s_barrier_wait -1
	s_branch .LBB188_29
.LBB188_28:                             ;   in Loop: Header=BB188_29 Depth=1
	s_or_b32 exec_lo, exec_lo, s31
	s_wait_dscnt 0x0
	s_barrier_signal -1
	s_barrier_wait -1
	ds_load_b32 v4, v1 offset:24700
	v_add_co_u32 v21, s31, 0x400, v21
	s_xor_b32 s31, s31, -1
	v_add_nc_u32_e32 v22, 0x2000, v22
	v_add_nc_u32_e32 v20, 0x1000, v20
	s_and_b32 s31, exec_lo, s31
	s_delay_alu instid0(SALU_CYCLE_1)
	s_or_b32 s36, s31, s36
	s_wait_dscnt 0x0
	v_add_nc_u32_e32 v6, v4, v6
	s_and_not1_b32 exec_lo, exec_lo, s36
	s_cbranch_execz .LBB188_106
.LBB188_29:                             ; =>This Inner Loop Header: Depth=1
	ds_load_b32 v7, v20
	ds_load_b64 v[4:5], v22
	s_wait_dscnt 0x0
	s_barrier_signal -1
	s_barrier_wait -1
	v_cmp_gt_i32_e64 s31, s33, v7
	s_bcnt1_i32_b32 s37, s31
	s_delay_alu instid0(SALU_CYCLE_1) | instskip(NEXT) | instid1(VALU_DEP_1)
	v_dual_mov_b32 v9, s37 :: v_dual_bitop2_b32 v8, s31, v2 bitop3:0x40
	v_bcnt_u32_b32 v8, v8, 0
	ds_store_b32 v3, v9 offset:24576
	s_wait_dscnt 0x0
	s_barrier_signal -1
	s_barrier_wait -1
	s_and_saveexec_b32 s37, s0
	s_cbranch_execz .LBB188_62
; %bb.30:                               ;   in Loop: Header=BB188_29 Depth=1
	ds_load_b32 v9, v1 offset:24576
	s_wait_dscnt 0x0
	v_add_nc_u32_e32 v8, v9, v8
	s_or_b32 exec_lo, exec_lo, s37
	s_and_saveexec_b32 s37, s1
	s_cbranch_execnz .LBB188_63
.LBB188_31:                             ;   in Loop: Header=BB188_29 Depth=1
	s_or_b32 exec_lo, exec_lo, s37
	s_and_saveexec_b32 s37, s2
	s_cbranch_execz .LBB188_64
.LBB188_32:                             ;   in Loop: Header=BB188_29 Depth=1
	ds_load_b32 v9, v1 offset:24584
	s_wait_dscnt 0x0
	v_add_nc_u32_e32 v8, v9, v8
	s_or_b32 exec_lo, exec_lo, s37
	s_and_saveexec_b32 s37, s3
	s_cbranch_execnz .LBB188_65
.LBB188_33:                             ;   in Loop: Header=BB188_29 Depth=1
	s_or_b32 exec_lo, exec_lo, s37
	s_and_saveexec_b32 s37, s4
	s_cbranch_execz .LBB188_66
.LBB188_34:                             ;   in Loop: Header=BB188_29 Depth=1
	ds_load_b32 v9, v1 offset:24592
	s_wait_dscnt 0x0
	v_add_nc_u32_e32 v8, v9, v8
	s_or_b32 exec_lo, exec_lo, s37
	s_and_saveexec_b32 s37, s5
	s_cbranch_execnz .LBB188_67
.LBB188_35:                             ;   in Loop: Header=BB188_29 Depth=1
	s_or_b32 exec_lo, exec_lo, s37
	s_and_saveexec_b32 s37, s6
	s_cbranch_execz .LBB188_68
.LBB188_36:                             ;   in Loop: Header=BB188_29 Depth=1
	ds_load_b32 v9, v1 offset:24600
	s_wait_dscnt 0x0
	v_add_nc_u32_e32 v8, v9, v8
	s_or_b32 exec_lo, exec_lo, s37
	s_and_saveexec_b32 s37, s7
	s_cbranch_execnz .LBB188_69
.LBB188_37:                             ;   in Loop: Header=BB188_29 Depth=1
	s_or_b32 exec_lo, exec_lo, s37
	s_and_saveexec_b32 s37, s8
	s_cbranch_execz .LBB188_70
.LBB188_38:                             ;   in Loop: Header=BB188_29 Depth=1
	ds_load_b32 v9, v1 offset:24608
	s_wait_dscnt 0x0
	v_add_nc_u32_e32 v8, v9, v8
	s_or_b32 exec_lo, exec_lo, s37
	s_and_saveexec_b32 s37, s9
	s_cbranch_execnz .LBB188_71
.LBB188_39:                             ;   in Loop: Header=BB188_29 Depth=1
	s_or_b32 exec_lo, exec_lo, s37
	s_and_saveexec_b32 s37, s10
	s_cbranch_execz .LBB188_72
.LBB188_40:                             ;   in Loop: Header=BB188_29 Depth=1
	ds_load_b32 v9, v1 offset:24616
	s_wait_dscnt 0x0
	v_add_nc_u32_e32 v8, v9, v8
	s_or_b32 exec_lo, exec_lo, s37
	s_and_saveexec_b32 s37, s11
	s_cbranch_execnz .LBB188_73
.LBB188_41:                             ;   in Loop: Header=BB188_29 Depth=1
	s_or_b32 exec_lo, exec_lo, s37
	s_and_saveexec_b32 s37, s12
	s_cbranch_execz .LBB188_74
.LBB188_42:                             ;   in Loop: Header=BB188_29 Depth=1
	ds_load_b32 v9, v1 offset:24624
	s_wait_dscnt 0x0
	v_add_nc_u32_e32 v8, v9, v8
	s_or_b32 exec_lo, exec_lo, s37
	s_and_saveexec_b32 s37, s13
	s_cbranch_execnz .LBB188_75
.LBB188_43:                             ;   in Loop: Header=BB188_29 Depth=1
	s_or_b32 exec_lo, exec_lo, s37
	s_and_saveexec_b32 s37, s14
	s_cbranch_execz .LBB188_76
.LBB188_44:                             ;   in Loop: Header=BB188_29 Depth=1
	ds_load_b32 v9, v1 offset:24632
	s_wait_dscnt 0x0
	v_add_nc_u32_e32 v8, v9, v8
	s_or_b32 exec_lo, exec_lo, s37
	s_and_saveexec_b32 s37, s15
	s_cbranch_execnz .LBB188_77
.LBB188_45:                             ;   in Loop: Header=BB188_29 Depth=1
	s_or_b32 exec_lo, exec_lo, s37
	s_and_saveexec_b32 s37, s16
	s_cbranch_execz .LBB188_78
.LBB188_46:                             ;   in Loop: Header=BB188_29 Depth=1
	ds_load_b32 v9, v1 offset:24640
	s_wait_dscnt 0x0
	v_add_nc_u32_e32 v8, v9, v8
	s_or_b32 exec_lo, exec_lo, s37
	s_and_saveexec_b32 s37, s17
	s_cbranch_execnz .LBB188_79
.LBB188_47:                             ;   in Loop: Header=BB188_29 Depth=1
	s_or_b32 exec_lo, exec_lo, s37
	s_and_saveexec_b32 s37, s18
	s_cbranch_execz .LBB188_80
.LBB188_48:                             ;   in Loop: Header=BB188_29 Depth=1
	ds_load_b32 v9, v1 offset:24648
	s_wait_dscnt 0x0
	v_add_nc_u32_e32 v8, v9, v8
	s_or_b32 exec_lo, exec_lo, s37
	s_and_saveexec_b32 s37, s19
	s_cbranch_execnz .LBB188_81
.LBB188_49:                             ;   in Loop: Header=BB188_29 Depth=1
	s_or_b32 exec_lo, exec_lo, s37
	s_and_saveexec_b32 s37, s20
	s_cbranch_execz .LBB188_82
.LBB188_50:                             ;   in Loop: Header=BB188_29 Depth=1
	ds_load_b32 v9, v1 offset:24656
	s_wait_dscnt 0x0
	v_add_nc_u32_e32 v8, v9, v8
	s_or_b32 exec_lo, exec_lo, s37
	s_and_saveexec_b32 s37, s21
	s_cbranch_execnz .LBB188_83
.LBB188_51:                             ;   in Loop: Header=BB188_29 Depth=1
	s_or_b32 exec_lo, exec_lo, s37
	s_and_saveexec_b32 s37, s22
	s_cbranch_execz .LBB188_84
.LBB188_52:                             ;   in Loop: Header=BB188_29 Depth=1
	ds_load_b32 v9, v1 offset:24664
	s_wait_dscnt 0x0
	v_add_nc_u32_e32 v8, v9, v8
	s_or_b32 exec_lo, exec_lo, s37
	s_and_saveexec_b32 s37, s23
	s_cbranch_execnz .LBB188_85
.LBB188_53:                             ;   in Loop: Header=BB188_29 Depth=1
	s_or_b32 exec_lo, exec_lo, s37
	s_and_saveexec_b32 s37, s24
	s_cbranch_execz .LBB188_86
.LBB188_54:                             ;   in Loop: Header=BB188_29 Depth=1
	ds_load_b32 v9, v1 offset:24672
	s_wait_dscnt 0x0
	v_add_nc_u32_e32 v8, v9, v8
	s_or_b32 exec_lo, exec_lo, s37
	s_and_saveexec_b32 s37, s25
	s_cbranch_execnz .LBB188_87
.LBB188_55:                             ;   in Loop: Header=BB188_29 Depth=1
	s_or_b32 exec_lo, exec_lo, s37
	s_and_saveexec_b32 s37, s26
	s_cbranch_execz .LBB188_88
.LBB188_56:                             ;   in Loop: Header=BB188_29 Depth=1
	ds_load_b32 v9, v1 offset:24680
	s_wait_dscnt 0x0
	v_add_nc_u32_e32 v8, v9, v8
	s_or_b32 exec_lo, exec_lo, s37
	s_and_saveexec_b32 s37, s27
	s_cbranch_execnz .LBB188_89
.LBB188_57:                             ;   in Loop: Header=BB188_29 Depth=1
	s_or_b32 exec_lo, exec_lo, s37
	s_and_saveexec_b32 s37, s28
	s_cbranch_execz .LBB188_90
.LBB188_58:                             ;   in Loop: Header=BB188_29 Depth=1
	ds_load_b32 v9, v1 offset:24688
	s_wait_dscnt 0x0
	v_add_nc_u32_e32 v8, v9, v8
	s_or_b32 exec_lo, exec_lo, s37
	s_and_saveexec_b32 s37, s29
	s_cbranch_execnz .LBB188_91
.LBB188_59:                             ;   in Loop: Header=BB188_29 Depth=1
	s_or_b32 exec_lo, exec_lo, s37
	s_and_saveexec_b32 s37, s30
	s_cbranch_execz .LBB188_92
.LBB188_60:                             ;   in Loop: Header=BB188_29 Depth=1
	ds_load_b32 v9, v1 offset:24696
	s_wait_dscnt 0x0
	v_add_nc_u32_e32 v8, v9, v8
	s_or_b32 exec_lo, exec_lo, s37
	s_and_saveexec_b32 s37, s31
	s_cbranch_execnz .LBB188_93
.LBB188_61:                             ;   in Loop: Header=BB188_29 Depth=1
	s_or_b32 exec_lo, exec_lo, s37
	s_and_saveexec_b32 s31, vcc_lo
	s_cbranch_execz .LBB188_28
	s_branch .LBB188_94
.LBB188_62:                             ;   in Loop: Header=BB188_29 Depth=1
	s_or_b32 exec_lo, exec_lo, s37
	s_and_saveexec_b32 s37, s1
	s_cbranch_execz .LBB188_31
.LBB188_63:                             ;   in Loop: Header=BB188_29 Depth=1
	ds_load_b32 v9, v1 offset:24580
	s_wait_dscnt 0x0
	v_add_nc_u32_e32 v8, v9, v8
	s_or_b32 exec_lo, exec_lo, s37
	s_and_saveexec_b32 s37, s2
	s_cbranch_execnz .LBB188_32
.LBB188_64:                             ;   in Loop: Header=BB188_29 Depth=1
	s_or_b32 exec_lo, exec_lo, s37
	s_and_saveexec_b32 s37, s3
	s_cbranch_execz .LBB188_33
.LBB188_65:                             ;   in Loop: Header=BB188_29 Depth=1
	ds_load_b32 v9, v1 offset:24588
	s_wait_dscnt 0x0
	v_add_nc_u32_e32 v8, v9, v8
	s_or_b32 exec_lo, exec_lo, s37
	s_and_saveexec_b32 s37, s4
	s_cbranch_execnz .LBB188_34
.LBB188_66:                             ;   in Loop: Header=BB188_29 Depth=1
	s_or_b32 exec_lo, exec_lo, s37
	s_and_saveexec_b32 s37, s5
	s_cbranch_execz .LBB188_35
.LBB188_67:                             ;   in Loop: Header=BB188_29 Depth=1
	ds_load_b32 v9, v1 offset:24596
	s_wait_dscnt 0x0
	v_add_nc_u32_e32 v8, v9, v8
	s_or_b32 exec_lo, exec_lo, s37
	s_and_saveexec_b32 s37, s6
	s_cbranch_execnz .LBB188_36
.LBB188_68:                             ;   in Loop: Header=BB188_29 Depth=1
	s_or_b32 exec_lo, exec_lo, s37
	s_and_saveexec_b32 s37, s7
	s_cbranch_execz .LBB188_37
.LBB188_69:                             ;   in Loop: Header=BB188_29 Depth=1
	ds_load_b32 v9, v1 offset:24604
	s_wait_dscnt 0x0
	v_add_nc_u32_e32 v8, v9, v8
	s_or_b32 exec_lo, exec_lo, s37
	s_and_saveexec_b32 s37, s8
	s_cbranch_execnz .LBB188_38
.LBB188_70:                             ;   in Loop: Header=BB188_29 Depth=1
	s_or_b32 exec_lo, exec_lo, s37
	s_and_saveexec_b32 s37, s9
	s_cbranch_execz .LBB188_39
.LBB188_71:                             ;   in Loop: Header=BB188_29 Depth=1
	ds_load_b32 v9, v1 offset:24612
	s_wait_dscnt 0x0
	v_add_nc_u32_e32 v8, v9, v8
	s_or_b32 exec_lo, exec_lo, s37
	s_and_saveexec_b32 s37, s10
	s_cbranch_execnz .LBB188_40
.LBB188_72:                             ;   in Loop: Header=BB188_29 Depth=1
	s_or_b32 exec_lo, exec_lo, s37
	s_and_saveexec_b32 s37, s11
	s_cbranch_execz .LBB188_41
.LBB188_73:                             ;   in Loop: Header=BB188_29 Depth=1
	ds_load_b32 v9, v1 offset:24620
	s_wait_dscnt 0x0
	v_add_nc_u32_e32 v8, v9, v8
	s_or_b32 exec_lo, exec_lo, s37
	s_and_saveexec_b32 s37, s12
	s_cbranch_execnz .LBB188_42
.LBB188_74:                             ;   in Loop: Header=BB188_29 Depth=1
	s_or_b32 exec_lo, exec_lo, s37
	s_and_saveexec_b32 s37, s13
	s_cbranch_execz .LBB188_43
.LBB188_75:                             ;   in Loop: Header=BB188_29 Depth=1
	ds_load_b32 v9, v1 offset:24628
	s_wait_dscnt 0x0
	v_add_nc_u32_e32 v8, v9, v8
	s_or_b32 exec_lo, exec_lo, s37
	s_and_saveexec_b32 s37, s14
	s_cbranch_execnz .LBB188_44
.LBB188_76:                             ;   in Loop: Header=BB188_29 Depth=1
	s_or_b32 exec_lo, exec_lo, s37
	s_and_saveexec_b32 s37, s15
	s_cbranch_execz .LBB188_45
.LBB188_77:                             ;   in Loop: Header=BB188_29 Depth=1
	ds_load_b32 v9, v1 offset:24636
	s_wait_dscnt 0x0
	v_add_nc_u32_e32 v8, v9, v8
	s_or_b32 exec_lo, exec_lo, s37
	s_and_saveexec_b32 s37, s16
	s_cbranch_execnz .LBB188_46
.LBB188_78:                             ;   in Loop: Header=BB188_29 Depth=1
	s_or_b32 exec_lo, exec_lo, s37
	s_and_saveexec_b32 s37, s17
	s_cbranch_execz .LBB188_47
.LBB188_79:                             ;   in Loop: Header=BB188_29 Depth=1
	ds_load_b32 v9, v1 offset:24644
	s_wait_dscnt 0x0
	v_add_nc_u32_e32 v8, v9, v8
	s_or_b32 exec_lo, exec_lo, s37
	s_and_saveexec_b32 s37, s18
	s_cbranch_execnz .LBB188_48
.LBB188_80:                             ;   in Loop: Header=BB188_29 Depth=1
	s_or_b32 exec_lo, exec_lo, s37
	s_and_saveexec_b32 s37, s19
	s_cbranch_execz .LBB188_49
.LBB188_81:                             ;   in Loop: Header=BB188_29 Depth=1
	ds_load_b32 v9, v1 offset:24652
	s_wait_dscnt 0x0
	v_add_nc_u32_e32 v8, v9, v8
	s_or_b32 exec_lo, exec_lo, s37
	s_and_saveexec_b32 s37, s20
	s_cbranch_execnz .LBB188_50
.LBB188_82:                             ;   in Loop: Header=BB188_29 Depth=1
	s_or_b32 exec_lo, exec_lo, s37
	s_and_saveexec_b32 s37, s21
	s_cbranch_execz .LBB188_51
.LBB188_83:                             ;   in Loop: Header=BB188_29 Depth=1
	ds_load_b32 v9, v1 offset:24660
	s_wait_dscnt 0x0
	v_add_nc_u32_e32 v8, v9, v8
	s_or_b32 exec_lo, exec_lo, s37
	s_and_saveexec_b32 s37, s22
	s_cbranch_execnz .LBB188_52
.LBB188_84:                             ;   in Loop: Header=BB188_29 Depth=1
	s_or_b32 exec_lo, exec_lo, s37
	s_and_saveexec_b32 s37, s23
	s_cbranch_execz .LBB188_53
.LBB188_85:                             ;   in Loop: Header=BB188_29 Depth=1
	ds_load_b32 v9, v1 offset:24668
	s_wait_dscnt 0x0
	v_add_nc_u32_e32 v8, v9, v8
	s_or_b32 exec_lo, exec_lo, s37
	s_and_saveexec_b32 s37, s24
	s_cbranch_execnz .LBB188_54
.LBB188_86:                             ;   in Loop: Header=BB188_29 Depth=1
	s_or_b32 exec_lo, exec_lo, s37
	s_and_saveexec_b32 s37, s25
	s_cbranch_execz .LBB188_55
.LBB188_87:                             ;   in Loop: Header=BB188_29 Depth=1
	ds_load_b32 v9, v1 offset:24676
	s_wait_dscnt 0x0
	v_add_nc_u32_e32 v8, v9, v8
	s_or_b32 exec_lo, exec_lo, s37
	s_and_saveexec_b32 s37, s26
	s_cbranch_execnz .LBB188_56
.LBB188_88:                             ;   in Loop: Header=BB188_29 Depth=1
	s_or_b32 exec_lo, exec_lo, s37
	s_and_saveexec_b32 s37, s27
	s_cbranch_execz .LBB188_57
.LBB188_89:                             ;   in Loop: Header=BB188_29 Depth=1
	ds_load_b32 v9, v1 offset:24684
	s_wait_dscnt 0x0
	v_add_nc_u32_e32 v8, v9, v8
	s_or_b32 exec_lo, exec_lo, s37
	s_and_saveexec_b32 s37, s28
	s_cbranch_execnz .LBB188_58
.LBB188_90:                             ;   in Loop: Header=BB188_29 Depth=1
	s_or_b32 exec_lo, exec_lo, s37
	s_and_saveexec_b32 s37, s29
	s_cbranch_execz .LBB188_59
.LBB188_91:                             ;   in Loop: Header=BB188_29 Depth=1
	ds_load_b32 v9, v1 offset:24692
	s_wait_dscnt 0x0
	v_add_nc_u32_e32 v8, v9, v8
	s_or_b32 exec_lo, exec_lo, s37
	s_and_saveexec_b32 s37, s30
	s_cbranch_execnz .LBB188_60
.LBB188_92:                             ;   in Loop: Header=BB188_29 Depth=1
	s_or_b32 exec_lo, exec_lo, s37
	s_and_saveexec_b32 s37, s31
	s_cbranch_execz .LBB188_61
.LBB188_93:                             ;   in Loop: Header=BB188_29 Depth=1
	s_delay_alu instid0(VALU_DEP_1) | instskip(SKIP_1) | instid1(VALU_DEP_2)
	v_add3_u32 v9, v6, -1, v8
	v_add_nc_u32_e32 v10, v6, v8
	v_lshl_add_u32 v9, v9, 2, 0
	s_delay_alu instid0(VALU_DEP_2)
	v_lshl_add_u32 v10, v10, 3, 0
	ds_store_b32 v9, v7
	ds_store_b64 v10, v[4:5] offset:8184
	s_or_b32 exec_lo, exec_lo, s37
	s_and_saveexec_b32 s31, vcc_lo
	s_cbranch_execz .LBB188_28
.LBB188_94:                             ;   in Loop: Header=BB188_29 Depth=1
	ds_store_b32 v1, v8 offset:24700
	s_branch .LBB188_28
.LBB188_95:                             ;   in Loop: Header=BB188_97 Depth=1
	s_or_b32 exec_lo, exec_lo, s5
.LBB188_96:                             ;   in Loop: Header=BB188_97 Depth=1
	s_delay_alu instid0(SALU_CYCLE_1) | instskip(SKIP_4) | instid1(VALU_DEP_1)
	s_or_b32 exec_lo, exec_lo, s4
	s_wait_loadcnt 0x0
	v_mul_f64_e32 v[8:9], v[2:3], v[8:9]
	v_lshl_add_u32 v1, v1, 3, 0
	v_add_nc_u64_e32 v[6:7], 0x400, v[6:7]
	v_cmp_le_i64_e32 vcc_lo, s[2:3], v[6:7]
	s_or_b32 s1, vcc_lo, s1
	ds_add_f64 v1, v[8:9] offset:8192
	s_and_not1_b32 exec_lo, exec_lo, s1
	s_cbranch_execz .LBB188_26
.LBB188_97:                             ; =>This Loop Header: Depth=1
                                        ;     Child Loop BB188_100 Depth 2
	v_lshl_add_u64 v[8:9], v[6:7], 2, s[38:39]
	s_mov_b32 s4, exec_lo
	global_load_b32 v1, v[8:9], off
	s_wait_xcnt 0x0
	v_lshl_add_u64 v[8:9], v[6:7], 3, s[40:41]
	global_load_b64 v[8:9], v[8:9], off
	s_wait_loadcnt 0x1
	v_subrev_nc_u32_e32 v5, s47, v1
	s_delay_alu instid0(VALU_DEP_1) | instskip(NEXT) | instid1(VALU_DEP_1)
	v_mul_lo_u32 v1, 0x89, v5
	v_and_b32_e32 v1, 0x7ff, v1
	s_delay_alu instid0(VALU_DEP_1)
	v_lshl_add_u32 v10, v1, 2, 0
	ds_load_b32 v11, v10
	s_wait_dscnt 0x0
	s_wait_xcnt 0x0
	v_cmpx_ne_u32_e64 v11, v5
	s_cbranch_execz .LBB188_96
; %bb.98:                               ;   in Loop: Header=BB188_97 Depth=1
	s_mov_b32 s5, 0
	s_branch .LBB188_100
.LBB188_99:                             ;   in Loop: Header=BB188_100 Depth=2
	s_or_b32 exec_lo, exec_lo, s8
	s_delay_alu instid0(SALU_CYCLE_1) | instskip(NEXT) | instid1(SALU_CYCLE_1)
	s_and_b32 s6, exec_lo, s7
	s_or_b32 s5, s6, s5
	s_delay_alu instid0(SALU_CYCLE_1)
	s_and_not1_b32 exec_lo, exec_lo, s5
	s_cbranch_execz .LBB188_95
.LBB188_100:                            ;   Parent Loop BB188_97 Depth=1
                                        ; =>  This Inner Loop Header: Depth=2
	s_mov_b32 s6, 0
	s_mov_b32 s7, exec_lo
	v_cmpx_ne_u32_e64 s33, v11
	s_xor_b32 s7, exec_lo, s7
	s_cbranch_execz .LBB188_102
; %bb.101:                              ;   in Loop: Header=BB188_100 Depth=2
	v_add_nc_u32_e32 v1, 1, v1
	s_mov_b32 s6, exec_lo
                                        ; implicit-def: $vgpr10
	s_delay_alu instid0(VALU_DEP_1)
	v_and_b32_e32 v1, 0x7ff, v1
	s_and_not1_saveexec_b32 s7, s7
	s_cbranch_execz .LBB188_104
	s_branch .LBB188_103
.LBB188_102:                            ;   in Loop: Header=BB188_100 Depth=2
	s_and_not1_saveexec_b32 s7, s7
	s_cbranch_execz .LBB188_104
.LBB188_103:                            ;   in Loop: Header=BB188_100 Depth=2
	v_mov_b32_e32 v11, s33
	s_and_not1_b32 s6, s6, exec_lo
	ds_cmpstore_rtn_b32 v10, v10, v5, v11
	s_wait_dscnt 0x0
	v_cmp_ne_u32_e32 vcc_lo, s33, v10
	s_and_b32 s8, vcc_lo, exec_lo
	s_delay_alu instid0(SALU_CYCLE_1)
	s_or_b32 s6, s6, s8
.LBB188_104:                            ;   in Loop: Header=BB188_100 Depth=2
	s_or_b32 exec_lo, exec_lo, s7
	s_mov_b32 s7, -1
                                        ; implicit-def: $vgpr10
                                        ; implicit-def: $vgpr11
	s_and_saveexec_b32 s8, s6
	s_cbranch_execz .LBB188_99
; %bb.105:                              ;   in Loop: Header=BB188_100 Depth=2
	v_lshl_add_u32 v10, v1, 2, 0
	ds_load_b32 v11, v10
	s_wait_dscnt 0x0
	v_cmp_eq_u32_e32 vcc_lo, v11, v5
	s_or_not1_b32 s7, vcc_lo, exec_lo
	s_branch .LBB188_99
.LBB188_106:
	s_or_b32 exec_lo, exec_lo, s36
	s_wait_kmcnt 0x0
	s_ashr_i32 s49, s48, 31
	s_delay_alu instid0(SALU_CYCLE_1) | instskip(NEXT) | instid1(SALU_CYCLE_1)
	s_lshl_b64 s[0:1], s[48:49], 3
	s_add_nc_u64 s[4:5], s[42:43], s[0:1]
	s_load_b128 s[0:3], s[4:5], 0x0
	s_wait_xcnt 0x0
	s_mov_b32 s4, exec_lo
	s_wait_kmcnt 0x0
	s_sub_co_i32 s3, s2, s0
	s_delay_alu instid0(SALU_CYCLE_1)
	v_cmpx_gt_i32_e64 s3, v0
	s_cbranch_execz .LBB188_116
; %bb.107:
	s_sub_co_i32 s4, s0, s2
	s_and_b32 s2, s3, 7
	s_cmp_lt_u32 s4, -7
	s_mov_b32 s47, 0
	s_cselect_b32 s4, -1, 0
	s_and_b32 s5, s3, -8
	s_cmp_lg_u32 s2, 0
	s_sub_nc_u64 s[0:1], s[0:1], s[46:47]
	s_cselect_b32 s6, -1, 0
	s_mov_b32 s7, 0
	s_branch .LBB188_109
.LBB188_108:                            ;   in Loop: Header=BB188_109 Depth=1
	v_add_nc_u32_e32 v0, 0x400, v0
	s_delay_alu instid0(VALU_DEP_2) | instskip(NEXT) | instid1(VALU_DEP_2)
	v_lshl_add_u64 v[4:5], v[4:5], 3, s[34:35]
	v_cmp_le_i32_e32 vcc_lo, s3, v0
	s_wait_dscnt 0x0
	global_store_b64 v[4:5], v[2:3], off
	s_or_b32 s7, vcc_lo, s7
	s_wait_xcnt 0x0
	s_and_not1_b32 exec_lo, exec_lo, s7
	s_cbranch_execz .LBB188_116
.LBB188_109:                            ; =>This Loop Header: Depth=1
                                        ;     Child Loop BB188_111 Depth 2
                                        ;     Child Loop BB188_115 Depth 2
	v_lshlrev_b32_e32 v1, 2, v0
	v_mov_b64_e32 v[4:5], s[0:1]
	s_and_not1_b32 vcc_lo, exec_lo, s4
	s_mov_b32 s8, 0
	s_delay_alu instid0(VALU_DEP_2) | instskip(NEXT) | instid1(VALU_DEP_1)
	v_add_nc_u32_e32 v2, 0, v1
	v_add_nc_u32_e32 v3, v2, v1
	ds_load_b32 v1, v2
	ds_load_b64 v[2:3], v3 offset:8192
	s_cbranch_vccnz .LBB188_113
; %bb.110:                              ;   in Loop: Header=BB188_109 Depth=1
	v_mov_b64_e32 v[4:5], s[0:1]
	s_mov_b32 s9, 0
.LBB188_111:                            ;   Parent Loop BB188_109 Depth=1
                                        ; =>  This Inner Loop Header: Depth=2
	s_delay_alu instid0(SALU_CYCLE_1)
	v_dual_mov_b32 v10, s9 :: v_dual_mov_b32 v11, s47
	v_mov_b32_e32 v17, s47
	s_add_co_i32 s8, s8, 8
	s_add_co_i32 s9, s9, 32
	ds_load_2addr_b32 v[6:7], v10 offset1:1
	ds_load_2addr_b32 v[8:9], v10 offset0:2 offset1:3
	ds_load_2addr_b32 v[12:13], v10 offset0:4 offset1:5
	;; [unrolled: 1-line block ×3, first 2 shown]
	s_cmp_eq_u32 s5, s8
	s_wait_dscnt 0x3
	v_cmp_gt_i32_e32 vcc_lo, v1, v6
	v_cndmask_b32_e64 v10, 0, 1, vcc_lo
	v_cmp_gt_i32_e32 vcc_lo, v1, v7
	v_mov_b32_e32 v7, s47
	s_delay_alu instid0(VALU_DEP_3) | instskip(SKIP_4) | instid1(VALU_DEP_3)
	v_add_nc_u64_e32 v[4:5], v[4:5], v[10:11]
	v_cndmask_b32_e64 v16, 0, 1, vcc_lo
	s_wait_dscnt 0x2
	v_cmp_gt_i32_e32 vcc_lo, v1, v8
	v_cndmask_b32_e64 v6, 0, 1, vcc_lo
	v_add_nc_u64_e32 v[4:5], v[4:5], v[16:17]
	v_cmp_gt_i32_e32 vcc_lo, v1, v9
	v_mov_b32_e32 v9, s47
	v_cndmask_b32_e64 v10, 0, 1, vcc_lo
	s_delay_alu instid0(VALU_DEP_4) | instskip(SKIP_3) | instid1(VALU_DEP_3)
	v_add_nc_u64_e32 v[4:5], v[4:5], v[6:7]
	s_wait_dscnt 0x1
	v_cmp_gt_i32_e32 vcc_lo, v1, v12
	v_cndmask_b32_e64 v6, 0, 1, vcc_lo
	v_add_nc_u64_e32 v[4:5], v[4:5], v[10:11]
	v_cmp_gt_i32_e32 vcc_lo, v1, v13
	v_cndmask_b32_e64 v8, 0, 1, vcc_lo
	s_delay_alu instid0(VALU_DEP_3) | instskip(SKIP_3) | instid1(VALU_DEP_3)
	v_add_nc_u64_e32 v[4:5], v[4:5], v[6:7]
	s_wait_dscnt 0x0
	v_cmp_gt_i32_e32 vcc_lo, v1, v14
	v_cndmask_b32_e64 v6, 0, 1, vcc_lo
	v_add_nc_u64_e32 v[4:5], v[4:5], v[8:9]
	v_cmp_gt_i32_e32 vcc_lo, v1, v15
	v_cndmask_b32_e64 v8, 0, 1, vcc_lo
	s_delay_alu instid0(VALU_DEP_3) | instskip(NEXT) | instid1(VALU_DEP_1)
	v_add_nc_u64_e32 v[4:5], v[4:5], v[6:7]
	v_add_nc_u64_e32 v[4:5], v[4:5], v[8:9]
	s_cbranch_scc0 .LBB188_111
; %bb.112:                              ;   in Loop: Header=BB188_109 Depth=1
	s_mov_b32 s8, s5
.LBB188_113:                            ;   in Loop: Header=BB188_109 Depth=1
	s_and_not1_b32 vcc_lo, exec_lo, s6
	s_cbranch_vccnz .LBB188_108
; %bb.114:                              ;   in Loop: Header=BB188_109 Depth=1
	s_lshl_b32 s8, s8, 2
	s_mov_b32 s9, s2
	s_add_co_i32 s8, s8, 0
.LBB188_115:                            ;   Parent Loop BB188_109 Depth=1
                                        ; =>  This Inner Loop Header: Depth=2
	s_delay_alu instid0(SALU_CYCLE_1)
	v_dual_mov_b32 v6, s8 :: v_dual_mov_b32 v7, s47
	s_add_co_i32 s9, s9, -1
	s_add_co_i32 s8, s8, 4
	s_cmp_lg_u32 s9, 0
	ds_load_b32 v6, v6
	s_wait_dscnt 0x0
	v_cmp_gt_i32_e32 vcc_lo, v1, v6
	v_cndmask_b32_e64 v6, 0, 1, vcc_lo
	s_delay_alu instid0(VALU_DEP_1)
	v_add_nc_u64_e32 v[4:5], v[4:5], v[6:7]
	s_cbranch_scc1 .LBB188_115
	s_branch .LBB188_108
.LBB188_116:
	s_endpgm
	.section	.rodata,"a",@progbits
	.p2align	6, 0x0
	.amdhsa_kernel _ZN9rocsparseL41csrgemm_numeric_fill_block_per_row_kernelILj1024ELj32ELj2048ELj137ELj32ElidEEvT5_PKS1_S3_NS_24const_host_device_scalarIT6_EEPKT4_S3_PKS5_S9_S3_SB_S6_S9_S3_SB_S9_S3_PS5_21rocsparse_index_base_SD_SD_SD_bbb
		.amdhsa_group_segment_fixed_size 0
		.amdhsa_private_segment_fixed_size 0
		.amdhsa_kernarg_size 156
		.amdhsa_user_sgpr_count 2
		.amdhsa_user_sgpr_dispatch_ptr 0
		.amdhsa_user_sgpr_queue_ptr 0
		.amdhsa_user_sgpr_kernarg_segment_ptr 1
		.amdhsa_user_sgpr_dispatch_id 0
		.amdhsa_user_sgpr_kernarg_preload_length 0
		.amdhsa_user_sgpr_kernarg_preload_offset 0
		.amdhsa_user_sgpr_private_segment_size 0
		.amdhsa_wavefront_size32 1
		.amdhsa_uses_dynamic_stack 0
		.amdhsa_enable_private_segment 0
		.amdhsa_system_sgpr_workgroup_id_x 1
		.amdhsa_system_sgpr_workgroup_id_y 0
		.amdhsa_system_sgpr_workgroup_id_z 0
		.amdhsa_system_sgpr_workgroup_info 0
		.amdhsa_system_vgpr_workitem_id 0
		.amdhsa_next_free_vgpr 25
		.amdhsa_next_free_sgpr 50
		.amdhsa_named_barrier_count 0
		.amdhsa_reserve_vcc 1
		.amdhsa_float_round_mode_32 0
		.amdhsa_float_round_mode_16_64 0
		.amdhsa_float_denorm_mode_32 3
		.amdhsa_float_denorm_mode_16_64 3
		.amdhsa_fp16_overflow 0
		.amdhsa_memory_ordered 1
		.amdhsa_forward_progress 1
		.amdhsa_inst_pref_size 32
		.amdhsa_round_robin_scheduling 0
		.amdhsa_exception_fp_ieee_invalid_op 0
		.amdhsa_exception_fp_denorm_src 0
		.amdhsa_exception_fp_ieee_div_zero 0
		.amdhsa_exception_fp_ieee_overflow 0
		.amdhsa_exception_fp_ieee_underflow 0
		.amdhsa_exception_fp_ieee_inexact 0
		.amdhsa_exception_int_div_zero 0
	.end_amdhsa_kernel
	.section	.text._ZN9rocsparseL41csrgemm_numeric_fill_block_per_row_kernelILj1024ELj32ELj2048ELj137ELj32ElidEEvT5_PKS1_S3_NS_24const_host_device_scalarIT6_EEPKT4_S3_PKS5_S9_S3_SB_S6_S9_S3_SB_S9_S3_PS5_21rocsparse_index_base_SD_SD_SD_bbb,"axG",@progbits,_ZN9rocsparseL41csrgemm_numeric_fill_block_per_row_kernelILj1024ELj32ELj2048ELj137ELj32ElidEEvT5_PKS1_S3_NS_24const_host_device_scalarIT6_EEPKT4_S3_PKS5_S9_S3_SB_S6_S9_S3_SB_S9_S3_PS5_21rocsparse_index_base_SD_SD_SD_bbb,comdat
.Lfunc_end188:
	.size	_ZN9rocsparseL41csrgemm_numeric_fill_block_per_row_kernelILj1024ELj32ELj2048ELj137ELj32ElidEEvT5_PKS1_S3_NS_24const_host_device_scalarIT6_EEPKT4_S3_PKS5_S9_S3_SB_S6_S9_S3_SB_S9_S3_PS5_21rocsparse_index_base_SD_SD_SD_bbb, .Lfunc_end188-_ZN9rocsparseL41csrgemm_numeric_fill_block_per_row_kernelILj1024ELj32ELj2048ELj137ELj32ElidEEvT5_PKS1_S3_NS_24const_host_device_scalarIT6_EEPKT4_S3_PKS5_S9_S3_SB_S6_S9_S3_SB_S9_S3_PS5_21rocsparse_index_base_SD_SD_SD_bbb
                                        ; -- End function
	.set _ZN9rocsparseL41csrgemm_numeric_fill_block_per_row_kernelILj1024ELj32ELj2048ELj137ELj32ElidEEvT5_PKS1_S3_NS_24const_host_device_scalarIT6_EEPKT4_S3_PKS5_S9_S3_SB_S6_S9_S3_SB_S9_S3_PS5_21rocsparse_index_base_SD_SD_SD_bbb.num_vgpr, 25
	.set _ZN9rocsparseL41csrgemm_numeric_fill_block_per_row_kernelILj1024ELj32ELj2048ELj137ELj32ElidEEvT5_PKS1_S3_NS_24const_host_device_scalarIT6_EEPKT4_S3_PKS5_S9_S3_SB_S6_S9_S3_SB_S9_S3_PS5_21rocsparse_index_base_SD_SD_SD_bbb.num_agpr, 0
	.set _ZN9rocsparseL41csrgemm_numeric_fill_block_per_row_kernelILj1024ELj32ELj2048ELj137ELj32ElidEEvT5_PKS1_S3_NS_24const_host_device_scalarIT6_EEPKT4_S3_PKS5_S9_S3_SB_S6_S9_S3_SB_S9_S3_PS5_21rocsparse_index_base_SD_SD_SD_bbb.numbered_sgpr, 50
	.set _ZN9rocsparseL41csrgemm_numeric_fill_block_per_row_kernelILj1024ELj32ELj2048ELj137ELj32ElidEEvT5_PKS1_S3_NS_24const_host_device_scalarIT6_EEPKT4_S3_PKS5_S9_S3_SB_S6_S9_S3_SB_S9_S3_PS5_21rocsparse_index_base_SD_SD_SD_bbb.num_named_barrier, 0
	.set _ZN9rocsparseL41csrgemm_numeric_fill_block_per_row_kernelILj1024ELj32ELj2048ELj137ELj32ElidEEvT5_PKS1_S3_NS_24const_host_device_scalarIT6_EEPKT4_S3_PKS5_S9_S3_SB_S6_S9_S3_SB_S9_S3_PS5_21rocsparse_index_base_SD_SD_SD_bbb.private_seg_size, 0
	.set _ZN9rocsparseL41csrgemm_numeric_fill_block_per_row_kernelILj1024ELj32ELj2048ELj137ELj32ElidEEvT5_PKS1_S3_NS_24const_host_device_scalarIT6_EEPKT4_S3_PKS5_S9_S3_SB_S6_S9_S3_SB_S9_S3_PS5_21rocsparse_index_base_SD_SD_SD_bbb.uses_vcc, 1
	.set _ZN9rocsparseL41csrgemm_numeric_fill_block_per_row_kernelILj1024ELj32ELj2048ELj137ELj32ElidEEvT5_PKS1_S3_NS_24const_host_device_scalarIT6_EEPKT4_S3_PKS5_S9_S3_SB_S6_S9_S3_SB_S9_S3_PS5_21rocsparse_index_base_SD_SD_SD_bbb.uses_flat_scratch, 0
	.set _ZN9rocsparseL41csrgemm_numeric_fill_block_per_row_kernelILj1024ELj32ELj2048ELj137ELj32ElidEEvT5_PKS1_S3_NS_24const_host_device_scalarIT6_EEPKT4_S3_PKS5_S9_S3_SB_S6_S9_S3_SB_S9_S3_PS5_21rocsparse_index_base_SD_SD_SD_bbb.has_dyn_sized_stack, 0
	.set _ZN9rocsparseL41csrgemm_numeric_fill_block_per_row_kernelILj1024ELj32ELj2048ELj137ELj32ElidEEvT5_PKS1_S3_NS_24const_host_device_scalarIT6_EEPKT4_S3_PKS5_S9_S3_SB_S6_S9_S3_SB_S9_S3_PS5_21rocsparse_index_base_SD_SD_SD_bbb.has_recursion, 0
	.set _ZN9rocsparseL41csrgemm_numeric_fill_block_per_row_kernelILj1024ELj32ELj2048ELj137ELj32ElidEEvT5_PKS1_S3_NS_24const_host_device_scalarIT6_EEPKT4_S3_PKS5_S9_S3_SB_S6_S9_S3_SB_S9_S3_PS5_21rocsparse_index_base_SD_SD_SD_bbb.has_indirect_call, 0
	.section	.AMDGPU.csdata,"",@progbits
; Kernel info:
; codeLenInByte = 4044
; TotalNumSgprs: 52
; NumVgprs: 25
; ScratchSize: 0
; MemoryBound: 0
; FloatMode: 240
; IeeeMode: 1
; LDSByteSize: 0 bytes/workgroup (compile time only)
; SGPRBlocks: 0
; VGPRBlocks: 1
; NumSGPRsForWavesPerEU: 52
; NumVGPRsForWavesPerEU: 25
; NamedBarCnt: 0
; Occupancy: 16
; WaveLimiterHint : 1
; COMPUTE_PGM_RSRC2:SCRATCH_EN: 0
; COMPUTE_PGM_RSRC2:USER_SGPR: 2
; COMPUTE_PGM_RSRC2:TRAP_HANDLER: 0
; COMPUTE_PGM_RSRC2:TGID_X_EN: 1
; COMPUTE_PGM_RSRC2:TGID_Y_EN: 0
; COMPUTE_PGM_RSRC2:TGID_Z_EN: 0
; COMPUTE_PGM_RSRC2:TIDIG_COMP_CNT: 0
	.section	.text._ZN9rocsparseL41csrgemm_numeric_fill_block_per_row_kernelILj1024ELj32ELj2048ELj137ELj64ElidEEvT5_PKS1_S3_NS_24const_host_device_scalarIT6_EEPKT4_S3_PKS5_S9_S3_SB_S6_S9_S3_SB_S9_S3_PS5_21rocsparse_index_base_SD_SD_SD_bbb,"axG",@progbits,_ZN9rocsparseL41csrgemm_numeric_fill_block_per_row_kernelILj1024ELj32ELj2048ELj137ELj64ElidEEvT5_PKS1_S3_NS_24const_host_device_scalarIT6_EEPKT4_S3_PKS5_S9_S3_SB_S6_S9_S3_SB_S9_S3_PS5_21rocsparse_index_base_SD_SD_SD_bbb,comdat
	.globl	_ZN9rocsparseL41csrgemm_numeric_fill_block_per_row_kernelILj1024ELj32ELj2048ELj137ELj64ElidEEvT5_PKS1_S3_NS_24const_host_device_scalarIT6_EEPKT4_S3_PKS5_S9_S3_SB_S6_S9_S3_SB_S9_S3_PS5_21rocsparse_index_base_SD_SD_SD_bbb ; -- Begin function _ZN9rocsparseL41csrgemm_numeric_fill_block_per_row_kernelILj1024ELj32ELj2048ELj137ELj64ElidEEvT5_PKS1_S3_NS_24const_host_device_scalarIT6_EEPKT4_S3_PKS5_S9_S3_SB_S6_S9_S3_SB_S9_S3_PS5_21rocsparse_index_base_SD_SD_SD_bbb
	.p2align	8
	.type	_ZN9rocsparseL41csrgemm_numeric_fill_block_per_row_kernelILj1024ELj32ELj2048ELj137ELj64ElidEEvT5_PKS1_S3_NS_24const_host_device_scalarIT6_EEPKT4_S3_PKS5_S9_S3_SB_S6_S9_S3_SB_S9_S3_PS5_21rocsparse_index_base_SD_SD_SD_bbb,@function
_ZN9rocsparseL41csrgemm_numeric_fill_block_per_row_kernelILj1024ELj32ELj2048ELj137ELj64ElidEEvT5_PKS1_S3_NS_24const_host_device_scalarIT6_EEPKT4_S3_PKS5_S9_S3_SB_S6_S9_S3_SB_S9_S3_PS5_21rocsparse_index_base_SD_SD_SD_bbb: ; @_ZN9rocsparseL41csrgemm_numeric_fill_block_per_row_kernelILj1024ELj32ELj2048ELj137ELj64ElidEEvT5_PKS1_S3_NS_24const_host_device_scalarIT6_EEPKT4_S3_PKS5_S9_S3_SB_S6_S9_S3_SB_S9_S3_PS5_21rocsparse_index_base_SD_SD_SD_bbb
; %bb.0:
	s_clause 0x3
	s_load_b32 s6, s[0:1], 0x98
	s_load_b64 s[4:5], s[0:1], 0x18
	s_load_b128 s[20:23], s[0:1], 0x88
	s_load_b64 s[2:3], s[0:1], 0x50
	s_wait_kmcnt 0x0
	s_bitcmp1_b32 s6, 0
	s_cselect_b32 s37, -1, 0
	s_bitcmp1_b32 s6, 16
	s_cselect_b32 s7, -1, 0
	s_xor_b32 s8, s37, -1
	s_delay_alu instid0(SALU_CYCLE_1)
	s_or_b32 s10, s7, s8
	s_and_b32 s8, s37, exec_lo
	s_cselect_b32 s9, s5, 0
	s_cselect_b32 s8, s4, 0
	s_and_b32 vcc_lo, exec_lo, s10
	v_mov_b64_e32 v[4:5], s[8:9]
	s_cbranch_vccnz .LBB189_2
; %bb.1:
	v_mov_b32_e32 v1, 0
	flat_load_b64 v[4:5], v1, s[4:5]
.LBB189_2:
	s_load_b128 s[28:31], s[0:1], 0x8
	s_bitcmp1_b32 s6, 8
	s_cselect_b32 s36, -1, 0
	s_delay_alu instid0(SALU_CYCLE_1) | instskip(NEXT) | instid1(SALU_CYCLE_1)
	s_xor_b32 s4, s36, -1
	s_or_b32 s6, s7, s4
	s_and_b32 s4, s36, exec_lo
	s_cselect_b32 s5, s3, 0
	s_cselect_b32 s4, s2, 0
	s_and_b32 vcc_lo, exec_lo, s6
	v_mov_b64_e32 v[2:3], s[4:5]
	s_cbranch_vccnz .LBB189_4
; %bb.3:
	v_mov_b32_e32 v1, 0
	flat_load_b64 v[2:3], v1, s[2:3]
.LBB189_4:
	s_clause 0x4
	s_load_b32 s33, s[0:1], 0x0
	s_load_b64 s[34:35], s[0:1], 0x80
	s_load_b256 s[12:19], s[0:1], 0x58
	s_load_b128 s[24:27], s[0:1], 0x40
	s_load_b256 s[4:11], s[0:1], 0x20
	v_or_b32_e32 v19, 0xfffffc00, v0
	v_lshlrev_b32_e32 v1, 3, v0
	v_lshl_add_u32 v18, v0, 2, 0
	v_mov_b64_e32 v[6:7], 0
	s_wait_xcnt 0x0
	s_mov_b32 s0, 0
	v_mov_b32_e32 v8, v19
	v_add3_u32 v20, v1, 0, 0x2000
	s_delay_alu instid0(VALU_DEP_1)
	v_dual_mov_b32 v1, v18 :: v_dual_mov_b32 v10, v20
	s_wait_kmcnt 0x0
	v_mov_b32_e32 v9, s33
.LBB189_5:                              ; =>This Inner Loop Header: Depth=1
	v_add_co_u32 v8, s1, 0x400, v8
	s_xor_b32 s1, s1, -1
	ds_store_b32 v1, v9
	ds_store_b64 v10, v[6:7]
	v_add_nc_u32_e32 v10, 0x2000, v10
	v_add_nc_u32_e32 v1, 0x1000, v1
	s_and_b32 s1, exec_lo, s1
	s_delay_alu instid0(SALU_CYCLE_1) | instskip(NEXT) | instid1(SALU_CYCLE_1)
	s_or_b32 s0, s1, s0
	s_and_not1_b32 exec_lo, exec_lo, s0
	s_cbranch_execnz .LBB189_5
; %bb.6:
	s_or_b32 exec_lo, exec_lo, s0
	s_wait_loadcnt_dscnt 0x0
	s_barrier_signal -1
	s_barrier_wait -1
	s_load_b32 s0, s[28:29], 0x0
	s_bfe_u32 s1, ttmp6, 0x4000c
	s_and_b32 s2, ttmp6, 15
	s_add_co_i32 s1, s1, 1
	s_getreg_b32 s3, hwreg(HW_REG_IB_STS2, 6, 4)
	s_mul_i32 s1, ttmp9, s1
	s_delay_alu instid0(SALU_CYCLE_1)
	s_add_co_i32 s2, s2, s1
	s_cmp_eq_u32 s3, 0
	s_cselect_b32 s1, ttmp9, s2
	s_and_b32 vcc_lo, s37, exec_lo
	s_wait_kmcnt 0x0
	s_add_co_i32 s0, s0, s1
	s_mov_b32 s1, 0
	s_load_b32 s28, s[30:31], s0 offset:0x0 scale_offset
	s_cbranch_vccz .LBB189_24
; %bb.7:
	s_wait_kmcnt 0x0
	s_ashr_i32 s29, s28, 31
	v_dual_mov_b32 v9, 0 :: v_dual_lshrrev_b32 v8, 5, v0
	s_lshl_b64 s[2:3], s[28:29], 3
	s_mov_b32 s0, s20
	s_add_nc_u64 s[2:3], s[4:5], s[2:3]
	s_mov_b32 s4, exec_lo
	s_load_b128 s[40:43], s[2:3], 0x0
	v_sub_nc_u64_e64 v[6:7], v[8:9], s[0:1]
	s_wait_kmcnt 0x0
	s_delay_alu instid0(VALU_DEP_1)
	v_add_nc_u64_e32 v[6:7], s[40:41], v[6:7]
	s_sub_nc_u64 s[0:1], s[42:43], s[0:1]
	s_delay_alu instid0(VALU_DEP_1) | instid1(SALU_CYCLE_1)
	v_cmpx_gt_i64_e64 s[0:1], v[6:7]
	s_cbranch_execz .LBB189_23
; %bb.8:
	v_and_b32_e32 v8, 31, v0
	s_mov_b32 s3, 0
	s_mov_b32 s2, s21
	;; [unrolled: 1-line block ×3, first 2 shown]
	s_delay_alu instid0(VALU_DEP_1)
	v_sub_nc_u64_e64 v[8:9], v[8:9], s[2:3]
	s_branch .LBB189_10
.LBB189_9:                              ;   in Loop: Header=BB189_10 Depth=1
	s_or_b32 exec_lo, exec_lo, s29
	v_add_nc_u64_e32 v[6:7], 32, v[6:7]
	s_delay_alu instid0(VALU_DEP_1) | instskip(SKIP_1) | instid1(SALU_CYCLE_1)
	v_cmp_le_i64_e32 vcc_lo, s[0:1], v[6:7]
	s_or_b32 s5, vcc_lo, s5
	s_and_not1_b32 exec_lo, exec_lo, s5
	s_cbranch_execz .LBB189_23
.LBB189_10:                             ; =>This Loop Header: Depth=1
                                        ;     Child Loop BB189_14 Depth 2
                                        ;       Child Loop BB189_17 Depth 3
	v_lshl_add_u64 v[10:11], v[6:7], 2, s[6:7]
	s_mov_b32 s29, exec_lo
	global_load_b32 v1, v[10:11], off
	s_wait_loadcnt 0x0
	s_wait_xcnt 0x0
	v_subrev_nc_u32_e32 v10, s20, v1
	s_delay_alu instid0(VALU_DEP_1) | instskip(NEXT) | instid1(VALU_DEP_1)
	v_ashrrev_i32_e32 v11, 31, v10
	v_lshl_add_u64 v[10:11], v[10:11], 3, s[10:11]
	global_load_b128 v[12:15], v[10:11], off
	s_wait_loadcnt 0x0
	s_wait_xcnt 0x0
	v_sub_nc_u64_e64 v[10:11], v[14:15], s[2:3]
	v_add_nc_u64_e32 v[12:13], v[12:13], v[8:9]
	s_delay_alu instid0(VALU_DEP_1)
	v_cmpx_lt_i64_e64 v[12:13], v[10:11]
	s_cbranch_execz .LBB189_9
; %bb.11:                               ;   in Loop: Header=BB189_10 Depth=1
	v_lshl_add_u64 v[14:15], v[6:7], 3, s[8:9]
	s_mov_b32 s30, 0
	global_load_b64 v[14:15], v[14:15], off
	s_wait_loadcnt 0x0
	s_wait_xcnt 0x0
	v_mul_f64_e32 v[14:15], v[4:5], v[14:15]
	s_branch .LBB189_14
.LBB189_12:                             ;   in Loop: Header=BB189_14 Depth=2
	s_or_b32 exec_lo, exec_lo, s37
.LBB189_13:                             ;   in Loop: Header=BB189_14 Depth=2
	s_delay_alu instid0(SALU_CYCLE_1) | instskip(SKIP_4) | instid1(VALU_DEP_1)
	s_or_b32 exec_lo, exec_lo, s31
	s_wait_loadcnt 0x0
	v_mul_f64_e32 v[16:17], v[14:15], v[16:17]
	v_lshl_add_u32 v1, v1, 3, 0
	v_add_nc_u64_e32 v[12:13], 32, v[12:13]
	v_cmp_ge_i64_e32 vcc_lo, v[12:13], v[10:11]
	s_or_b32 s30, vcc_lo, s30
	ds_add_f64 v1, v[16:17] offset:8192
	s_and_not1_b32 exec_lo, exec_lo, s30
	s_cbranch_execz .LBB189_9
.LBB189_14:                             ;   Parent Loop BB189_10 Depth=1
                                        ; =>  This Loop Header: Depth=2
                                        ;       Child Loop BB189_17 Depth 3
	v_lshl_add_u64 v[16:17], v[12:13], 2, s[24:25]
	s_mov_b32 s31, exec_lo
	global_load_b32 v1, v[16:17], off
	s_wait_xcnt 0x0
	v_lshl_add_u64 v[16:17], v[12:13], 3, s[26:27]
	global_load_b64 v[16:17], v[16:17], off
	s_wait_loadcnt 0x1
	v_subrev_nc_u32_e32 v21, s21, v1
	s_delay_alu instid0(VALU_DEP_1) | instskip(NEXT) | instid1(VALU_DEP_1)
	v_mul_lo_u32 v1, 0x89, v21
	v_and_b32_e32 v1, 0x7ff, v1
	s_delay_alu instid0(VALU_DEP_1)
	v_lshl_add_u32 v22, v1, 2, 0
	ds_load_b32 v23, v22
	s_wait_dscnt 0x0
	s_wait_xcnt 0x0
	v_cmpx_ne_u32_e64 v23, v21
	s_cbranch_execz .LBB189_13
; %bb.15:                               ;   in Loop: Header=BB189_14 Depth=2
	s_mov_b32 s37, 0
	s_branch .LBB189_17
.LBB189_16:                             ;   in Loop: Header=BB189_17 Depth=3
	s_or_b32 exec_lo, exec_lo, s40
	s_delay_alu instid0(SALU_CYCLE_1) | instskip(NEXT) | instid1(SALU_CYCLE_1)
	s_and_b32 s38, exec_lo, s39
	s_or_b32 s37, s38, s37
	s_delay_alu instid0(SALU_CYCLE_1)
	s_and_not1_b32 exec_lo, exec_lo, s37
	s_cbranch_execz .LBB189_12
.LBB189_17:                             ;   Parent Loop BB189_10 Depth=1
                                        ;     Parent Loop BB189_14 Depth=2
                                        ; =>    This Inner Loop Header: Depth=3
	s_mov_b32 s38, 0
	s_mov_b32 s39, exec_lo
	v_cmpx_ne_u32_e64 s33, v23
	s_xor_b32 s39, exec_lo, s39
	s_cbranch_execz .LBB189_19
; %bb.18:                               ;   in Loop: Header=BB189_17 Depth=3
	v_add_nc_u32_e32 v1, 1, v1
	s_mov_b32 s38, exec_lo
                                        ; implicit-def: $vgpr22
	s_delay_alu instid0(VALU_DEP_1)
	v_and_b32_e32 v1, 0x7ff, v1
	s_and_not1_saveexec_b32 s39, s39
	s_cbranch_execz .LBB189_21
	s_branch .LBB189_20
.LBB189_19:                             ;   in Loop: Header=BB189_17 Depth=3
	s_and_not1_saveexec_b32 s39, s39
	s_cbranch_execz .LBB189_21
.LBB189_20:                             ;   in Loop: Header=BB189_17 Depth=3
	v_mov_b32_e32 v23, s33
	s_and_not1_b32 s38, s38, exec_lo
	ds_cmpstore_rtn_b32 v22, v22, v21, v23
	s_wait_dscnt 0x0
	v_cmp_ne_u32_e32 vcc_lo, s33, v22
	s_and_b32 s40, vcc_lo, exec_lo
	s_delay_alu instid0(SALU_CYCLE_1)
	s_or_b32 s38, s38, s40
.LBB189_21:                             ;   in Loop: Header=BB189_17 Depth=3
	s_or_b32 exec_lo, exec_lo, s39
	s_mov_b32 s39, -1
                                        ; implicit-def: $vgpr22
                                        ; implicit-def: $vgpr23
	s_and_saveexec_b32 s40, s38
	s_cbranch_execz .LBB189_16
; %bb.22:                               ;   in Loop: Header=BB189_17 Depth=3
	v_lshl_add_u32 v22, v1, 2, 0
	ds_load_b32 v23, v22
	s_wait_dscnt 0x0
	v_cmp_eq_u32_e32 vcc_lo, v23, v21
	s_or_not1_b32 s39, vcc_lo, exec_lo
	s_branch .LBB189_16
.LBB189_23:
	s_or_b32 exec_lo, exec_lo, s4
.LBB189_24:
	s_delay_alu instid0(SALU_CYCLE_1)
	s_and_not1_b32 vcc_lo, exec_lo, s36
	s_cbranch_vccnz .LBB189_27
; %bb.25:
	s_wait_kmcnt 0x0
	s_ashr_i32 s29, s28, 31
	v_mov_b32_e32 v1, 0
	s_lshl_b64 s[0:1], s[28:29], 3
	s_delay_alu instid0(SALU_CYCLE_1) | instskip(SKIP_4) | instid1(SALU_CYCLE_1)
	s_add_nc_u64 s[0:1], s[12:13], s[0:1]
	s_load_b128 s[4:7], s[0:1], 0x0
	s_wait_xcnt 0x0
	s_mov_b32 s1, 0
	s_mov_b32 s0, s23
	v_sub_nc_u64_e64 v[4:5], v[0:1], s[0:1]
	s_wait_kmcnt 0x0
	s_delay_alu instid0(VALU_DEP_1) | instskip(SKIP_2) | instid1(VALU_DEP_1)
	v_add_nc_u64_e32 v[4:5], s[4:5], v[4:5]
	s_sub_nc_u64 s[2:3], s[6:7], s[0:1]
	s_mov_b32 s0, exec_lo
	v_cmpx_gt_i64_e64 s[2:3], v[4:5]
	s_cbranch_execnz .LBB189_65
.LBB189_26:
	s_or_b32 exec_lo, exec_lo, s0
.LBB189_27:
	v_mbcnt_lo_u32_b32 v2, -1, 0
	v_dual_lshrrev_b32 v3, 4, v0 :: v_dual_mov_b32 v1, 0
	s_wait_xcnt 0x0
	v_cmp_lt_u32_e64 s0, 63, v0
	v_cmp_lt_u32_e64 s1, 0x7f, v0
	s_delay_alu instid0(VALU_DEP_3)
	v_dual_mov_b32 v6, 0 :: v_dual_bitop2_b32 v3, 60, v3 bitop3:0x40
	v_xor_b32_e32 v2, 31, v2
	v_cmp_lt_u32_e64 s2, 0xbf, v0
	v_cmp_lt_u32_e64 s3, 0xff, v0
	;; [unrolled: 1-line block ×3, first 2 shown]
	v_add_nc_u32_e32 v3, 0, v3
	v_lshrrev_b32_e64 v2, v2, -1
	v_cmp_lt_u32_e64 s5, 0x17f, v0
	v_cmp_lt_u32_e64 s6, 0x1bf, v0
	;; [unrolled: 1-line block ×10, first 2 shown]
	s_mov_b32 s16, 0
	s_wait_dscnt 0x0
	v_cmp_eq_u32_e32 vcc_lo, 0x3ff, v0
	s_barrier_signal -1
	s_barrier_wait -1
	s_branch .LBB189_29
.LBB189_28:                             ;   in Loop: Header=BB189_29 Depth=1
	s_or_b32 exec_lo, exec_lo, s15
	s_wait_dscnt 0x0
	s_barrier_signal -1
	s_barrier_wait -1
	ds_load_b32 v4, v1 offset:24636
	v_add_co_u32 v19, s15, 0x400, v19
	s_xor_b32 s15, s15, -1
	v_add_nc_u32_e32 v20, 0x2000, v20
	v_add_nc_u32_e32 v18, 0x1000, v18
	s_and_b32 s15, exec_lo, s15
	s_delay_alu instid0(SALU_CYCLE_1)
	s_or_b32 s16, s15, s16
	s_wait_dscnt 0x0
	v_add_nc_u32_e32 v6, v4, v6
	s_and_not1_b32 exec_lo, exec_lo, s16
	s_cbranch_execz .LBB189_74
.LBB189_29:                             ; =>This Inner Loop Header: Depth=1
	ds_load_b32 v7, v18
	ds_load_b64 v[4:5], v20
	s_wait_dscnt 0x0
	s_barrier_signal -1
	s_barrier_wait -1
	v_cmp_gt_i32_e64 s15, s33, v7
	s_bcnt1_i32_b32 s17, s15
	s_delay_alu instid0(SALU_CYCLE_1) | instskip(NEXT) | instid1(VALU_DEP_1)
	v_dual_mov_b32 v9, s17 :: v_dual_bitop2_b32 v8, s15, v2 bitop3:0x40
	v_bcnt_u32_b32 v8, v8, 0
	ds_store_b32 v3, v9 offset:24576
	s_wait_dscnt 0x0
	s_barrier_signal -1
	s_barrier_wait -1
	s_and_saveexec_b32 s17, s0
	s_cbranch_execz .LBB189_46
; %bb.30:                               ;   in Loop: Header=BB189_29 Depth=1
	ds_load_b32 v9, v1 offset:24576
	s_wait_dscnt 0x0
	v_add_nc_u32_e32 v8, v9, v8
	s_or_b32 exec_lo, exec_lo, s17
	s_and_saveexec_b32 s17, s1
	s_cbranch_execnz .LBB189_47
.LBB189_31:                             ;   in Loop: Header=BB189_29 Depth=1
	s_or_b32 exec_lo, exec_lo, s17
	s_and_saveexec_b32 s17, s2
	s_cbranch_execz .LBB189_48
.LBB189_32:                             ;   in Loop: Header=BB189_29 Depth=1
	ds_load_b32 v9, v1 offset:24584
	s_wait_dscnt 0x0
	v_add_nc_u32_e32 v8, v9, v8
	s_or_b32 exec_lo, exec_lo, s17
	s_and_saveexec_b32 s17, s3
	s_cbranch_execnz .LBB189_49
.LBB189_33:                             ;   in Loop: Header=BB189_29 Depth=1
	s_or_b32 exec_lo, exec_lo, s17
	s_and_saveexec_b32 s17, s4
	s_cbranch_execz .LBB189_50
.LBB189_34:                             ;   in Loop: Header=BB189_29 Depth=1
	ds_load_b32 v9, v1 offset:24592
	s_wait_dscnt 0x0
	v_add_nc_u32_e32 v8, v9, v8
	s_or_b32 exec_lo, exec_lo, s17
	s_and_saveexec_b32 s17, s5
	s_cbranch_execnz .LBB189_51
.LBB189_35:                             ;   in Loop: Header=BB189_29 Depth=1
	s_or_b32 exec_lo, exec_lo, s17
	s_and_saveexec_b32 s17, s6
	s_cbranch_execz .LBB189_52
.LBB189_36:                             ;   in Loop: Header=BB189_29 Depth=1
	ds_load_b32 v9, v1 offset:24600
	s_wait_dscnt 0x0
	v_add_nc_u32_e32 v8, v9, v8
	s_or_b32 exec_lo, exec_lo, s17
	s_and_saveexec_b32 s17, s7
	s_cbranch_execnz .LBB189_53
.LBB189_37:                             ;   in Loop: Header=BB189_29 Depth=1
	s_or_b32 exec_lo, exec_lo, s17
	s_and_saveexec_b32 s17, s8
	s_cbranch_execz .LBB189_54
.LBB189_38:                             ;   in Loop: Header=BB189_29 Depth=1
	ds_load_b32 v9, v1 offset:24608
	s_wait_dscnt 0x0
	v_add_nc_u32_e32 v8, v9, v8
	s_or_b32 exec_lo, exec_lo, s17
	s_and_saveexec_b32 s17, s9
	s_cbranch_execnz .LBB189_55
.LBB189_39:                             ;   in Loop: Header=BB189_29 Depth=1
	s_or_b32 exec_lo, exec_lo, s17
	s_and_saveexec_b32 s17, s10
	s_cbranch_execz .LBB189_56
.LBB189_40:                             ;   in Loop: Header=BB189_29 Depth=1
	ds_load_b32 v9, v1 offset:24616
	s_wait_dscnt 0x0
	v_add_nc_u32_e32 v8, v9, v8
	s_or_b32 exec_lo, exec_lo, s17
	s_and_saveexec_b32 s17, s11
	s_cbranch_execnz .LBB189_57
.LBB189_41:                             ;   in Loop: Header=BB189_29 Depth=1
	s_or_b32 exec_lo, exec_lo, s17
	s_and_saveexec_b32 s17, s12
	s_cbranch_execz .LBB189_58
.LBB189_42:                             ;   in Loop: Header=BB189_29 Depth=1
	ds_load_b32 v9, v1 offset:24624
	s_wait_dscnt 0x0
	v_add_nc_u32_e32 v8, v9, v8
	s_or_b32 exec_lo, exec_lo, s17
	s_and_saveexec_b32 s17, s13
	s_cbranch_execnz .LBB189_59
.LBB189_43:                             ;   in Loop: Header=BB189_29 Depth=1
	s_or_b32 exec_lo, exec_lo, s17
	s_and_saveexec_b32 s17, s14
	s_cbranch_execz .LBB189_60
.LBB189_44:                             ;   in Loop: Header=BB189_29 Depth=1
	ds_load_b32 v9, v1 offset:24632
	s_wait_dscnt 0x0
	v_add_nc_u32_e32 v8, v9, v8
	s_or_b32 exec_lo, exec_lo, s17
	s_and_saveexec_b32 s17, s15
	s_cbranch_execnz .LBB189_61
.LBB189_45:                             ;   in Loop: Header=BB189_29 Depth=1
	s_or_b32 exec_lo, exec_lo, s17
	s_and_saveexec_b32 s15, vcc_lo
	s_cbranch_execz .LBB189_28
	s_branch .LBB189_62
.LBB189_46:                             ;   in Loop: Header=BB189_29 Depth=1
	s_or_b32 exec_lo, exec_lo, s17
	s_and_saveexec_b32 s17, s1
	s_cbranch_execz .LBB189_31
.LBB189_47:                             ;   in Loop: Header=BB189_29 Depth=1
	ds_load_b32 v9, v1 offset:24580
	s_wait_dscnt 0x0
	v_add_nc_u32_e32 v8, v9, v8
	s_or_b32 exec_lo, exec_lo, s17
	s_and_saveexec_b32 s17, s2
	s_cbranch_execnz .LBB189_32
.LBB189_48:                             ;   in Loop: Header=BB189_29 Depth=1
	s_or_b32 exec_lo, exec_lo, s17
	s_and_saveexec_b32 s17, s3
	s_cbranch_execz .LBB189_33
.LBB189_49:                             ;   in Loop: Header=BB189_29 Depth=1
	ds_load_b32 v9, v1 offset:24588
	s_wait_dscnt 0x0
	v_add_nc_u32_e32 v8, v9, v8
	s_or_b32 exec_lo, exec_lo, s17
	s_and_saveexec_b32 s17, s4
	s_cbranch_execnz .LBB189_34
.LBB189_50:                             ;   in Loop: Header=BB189_29 Depth=1
	s_or_b32 exec_lo, exec_lo, s17
	s_and_saveexec_b32 s17, s5
	s_cbranch_execz .LBB189_35
.LBB189_51:                             ;   in Loop: Header=BB189_29 Depth=1
	ds_load_b32 v9, v1 offset:24596
	s_wait_dscnt 0x0
	v_add_nc_u32_e32 v8, v9, v8
	s_or_b32 exec_lo, exec_lo, s17
	s_and_saveexec_b32 s17, s6
	s_cbranch_execnz .LBB189_36
.LBB189_52:                             ;   in Loop: Header=BB189_29 Depth=1
	s_or_b32 exec_lo, exec_lo, s17
	s_and_saveexec_b32 s17, s7
	s_cbranch_execz .LBB189_37
.LBB189_53:                             ;   in Loop: Header=BB189_29 Depth=1
	ds_load_b32 v9, v1 offset:24604
	s_wait_dscnt 0x0
	v_add_nc_u32_e32 v8, v9, v8
	s_or_b32 exec_lo, exec_lo, s17
	s_and_saveexec_b32 s17, s8
	s_cbranch_execnz .LBB189_38
.LBB189_54:                             ;   in Loop: Header=BB189_29 Depth=1
	s_or_b32 exec_lo, exec_lo, s17
	s_and_saveexec_b32 s17, s9
	s_cbranch_execz .LBB189_39
.LBB189_55:                             ;   in Loop: Header=BB189_29 Depth=1
	ds_load_b32 v9, v1 offset:24612
	s_wait_dscnt 0x0
	v_add_nc_u32_e32 v8, v9, v8
	s_or_b32 exec_lo, exec_lo, s17
	s_and_saveexec_b32 s17, s10
	s_cbranch_execnz .LBB189_40
.LBB189_56:                             ;   in Loop: Header=BB189_29 Depth=1
	s_or_b32 exec_lo, exec_lo, s17
	s_and_saveexec_b32 s17, s11
	s_cbranch_execz .LBB189_41
.LBB189_57:                             ;   in Loop: Header=BB189_29 Depth=1
	ds_load_b32 v9, v1 offset:24620
	s_wait_dscnt 0x0
	v_add_nc_u32_e32 v8, v9, v8
	s_or_b32 exec_lo, exec_lo, s17
	s_and_saveexec_b32 s17, s12
	s_cbranch_execnz .LBB189_42
.LBB189_58:                             ;   in Loop: Header=BB189_29 Depth=1
	s_or_b32 exec_lo, exec_lo, s17
	s_and_saveexec_b32 s17, s13
	s_cbranch_execz .LBB189_43
.LBB189_59:                             ;   in Loop: Header=BB189_29 Depth=1
	ds_load_b32 v9, v1 offset:24628
	s_wait_dscnt 0x0
	v_add_nc_u32_e32 v8, v9, v8
	s_or_b32 exec_lo, exec_lo, s17
	s_and_saveexec_b32 s17, s14
	s_cbranch_execnz .LBB189_44
.LBB189_60:                             ;   in Loop: Header=BB189_29 Depth=1
	s_or_b32 exec_lo, exec_lo, s17
	s_and_saveexec_b32 s17, s15
	s_cbranch_execz .LBB189_45
.LBB189_61:                             ;   in Loop: Header=BB189_29 Depth=1
	s_delay_alu instid0(VALU_DEP_1) | instskip(SKIP_1) | instid1(VALU_DEP_2)
	v_add3_u32 v9, v6, -1, v8
	v_add_nc_u32_e32 v10, v6, v8
	v_lshl_add_u32 v9, v9, 2, 0
	s_delay_alu instid0(VALU_DEP_2)
	v_lshl_add_u32 v10, v10, 3, 0
	ds_store_b32 v9, v7
	ds_store_b64 v10, v[4:5] offset:8184
	s_or_b32 exec_lo, exec_lo, s17
	s_and_saveexec_b32 s15, vcc_lo
	s_cbranch_execz .LBB189_28
.LBB189_62:                             ;   in Loop: Header=BB189_29 Depth=1
	ds_store_b32 v1, v8 offset:24636
	s_branch .LBB189_28
.LBB189_63:                             ;   in Loop: Header=BB189_65 Depth=1
	s_or_b32 exec_lo, exec_lo, s5
.LBB189_64:                             ;   in Loop: Header=BB189_65 Depth=1
	s_delay_alu instid0(SALU_CYCLE_1) | instskip(SKIP_4) | instid1(VALU_DEP_1)
	s_or_b32 exec_lo, exec_lo, s4
	s_wait_loadcnt 0x0
	v_mul_f64_e32 v[6:7], v[2:3], v[6:7]
	v_lshl_add_u32 v1, v1, 3, 0
	v_add_nc_u64_e32 v[4:5], 0x400, v[4:5]
	v_cmp_le_i64_e32 vcc_lo, s[2:3], v[4:5]
	s_or_b32 s1, vcc_lo, s1
	ds_add_f64 v1, v[6:7] offset:8192
	s_and_not1_b32 exec_lo, exec_lo, s1
	s_cbranch_execz .LBB189_26
.LBB189_65:                             ; =>This Loop Header: Depth=1
                                        ;     Child Loop BB189_68 Depth 2
	v_lshl_add_u64 v[6:7], v[4:5], 2, s[14:15]
	s_mov_b32 s4, exec_lo
	global_load_b32 v1, v[6:7], off
	s_wait_xcnt 0x0
	v_lshl_add_u64 v[6:7], v[4:5], 3, s[16:17]
	global_load_b64 v[6:7], v[6:7], off
	s_wait_loadcnt 0x1
	v_subrev_nc_u32_e32 v8, s23, v1
	s_delay_alu instid0(VALU_DEP_1) | instskip(NEXT) | instid1(VALU_DEP_1)
	v_mul_lo_u32 v1, 0x89, v8
	v_and_b32_e32 v1, 0x7ff, v1
	s_delay_alu instid0(VALU_DEP_1)
	v_lshl_add_u32 v9, v1, 2, 0
	ds_load_b32 v10, v9
	s_wait_dscnt 0x0
	s_wait_xcnt 0x0
	v_cmpx_ne_u32_e64 v10, v8
	s_cbranch_execz .LBB189_64
; %bb.66:                               ;   in Loop: Header=BB189_65 Depth=1
	s_mov_b32 s5, 0
	s_branch .LBB189_68
.LBB189_67:                             ;   in Loop: Header=BB189_68 Depth=2
	s_or_b32 exec_lo, exec_lo, s8
	s_delay_alu instid0(SALU_CYCLE_1) | instskip(NEXT) | instid1(SALU_CYCLE_1)
	s_and_b32 s6, exec_lo, s7
	s_or_b32 s5, s6, s5
	s_delay_alu instid0(SALU_CYCLE_1)
	s_and_not1_b32 exec_lo, exec_lo, s5
	s_cbranch_execz .LBB189_63
.LBB189_68:                             ;   Parent Loop BB189_65 Depth=1
                                        ; =>  This Inner Loop Header: Depth=2
	s_mov_b32 s6, 0
	s_mov_b32 s7, exec_lo
	v_cmpx_ne_u32_e64 s33, v10
	s_xor_b32 s7, exec_lo, s7
	s_cbranch_execz .LBB189_70
; %bb.69:                               ;   in Loop: Header=BB189_68 Depth=2
	v_add_nc_u32_e32 v1, 1, v1
	s_mov_b32 s6, exec_lo
                                        ; implicit-def: $vgpr9
	s_delay_alu instid0(VALU_DEP_1)
	v_and_b32_e32 v1, 0x7ff, v1
	s_and_not1_saveexec_b32 s7, s7
	s_cbranch_execz .LBB189_72
	s_branch .LBB189_71
.LBB189_70:                             ;   in Loop: Header=BB189_68 Depth=2
	s_and_not1_saveexec_b32 s7, s7
	s_cbranch_execz .LBB189_72
.LBB189_71:                             ;   in Loop: Header=BB189_68 Depth=2
	v_mov_b32_e32 v10, s33
	s_and_not1_b32 s6, s6, exec_lo
	ds_cmpstore_rtn_b32 v9, v9, v8, v10
	s_wait_dscnt 0x0
	v_cmp_ne_u32_e32 vcc_lo, s33, v9
	s_and_b32 s8, vcc_lo, exec_lo
	s_delay_alu instid0(SALU_CYCLE_1)
	s_or_b32 s6, s6, s8
.LBB189_72:                             ;   in Loop: Header=BB189_68 Depth=2
	s_or_b32 exec_lo, exec_lo, s7
	s_mov_b32 s7, -1
                                        ; implicit-def: $vgpr9
                                        ; implicit-def: $vgpr10
	s_and_saveexec_b32 s8, s6
	s_cbranch_execz .LBB189_67
; %bb.73:                               ;   in Loop: Header=BB189_68 Depth=2
	v_lshl_add_u32 v9, v1, 2, 0
	ds_load_b32 v10, v9
	s_wait_dscnt 0x0
	v_cmp_eq_u32_e32 vcc_lo, v10, v8
	s_or_not1_b32 s7, vcc_lo, exec_lo
	s_branch .LBB189_67
.LBB189_74:
	s_or_b32 exec_lo, exec_lo, s16
	s_wait_kmcnt 0x0
	s_ashr_i32 s29, s28, 31
	s_delay_alu instid0(SALU_CYCLE_1) | instskip(NEXT) | instid1(SALU_CYCLE_1)
	s_lshl_b64 s[0:1], s[28:29], 3
	s_add_nc_u64 s[4:5], s[18:19], s[0:1]
	s_load_b128 s[0:3], s[4:5], 0x0
	s_wait_xcnt 0x0
	s_mov_b32 s4, exec_lo
	s_wait_kmcnt 0x0
	s_sub_co_i32 s3, s2, s0
	s_delay_alu instid0(SALU_CYCLE_1)
	v_cmpx_gt_i32_e64 s3, v0
	s_cbranch_execz .LBB189_84
; %bb.75:
	s_sub_co_i32 s4, s0, s2
	s_and_b32 s2, s3, 7
	s_cmp_lt_u32 s4, -7
	s_mov_b32 s23, 0
	s_cselect_b32 s4, -1, 0
	s_and_b32 s5, s3, -8
	s_cmp_lg_u32 s2, 0
	s_sub_nc_u64 s[0:1], s[0:1], s[22:23]
	s_cselect_b32 s6, -1, 0
	s_mov_b32 s7, 0
	s_branch .LBB189_77
.LBB189_76:                             ;   in Loop: Header=BB189_77 Depth=1
	v_add_nc_u32_e32 v0, 0x400, v0
	s_delay_alu instid0(VALU_DEP_2) | instskip(NEXT) | instid1(VALU_DEP_2)
	v_lshl_add_u64 v[4:5], v[4:5], 3, s[34:35]
	v_cmp_le_i32_e32 vcc_lo, s3, v0
	s_wait_dscnt 0x0
	global_store_b64 v[4:5], v[2:3], off
	s_or_b32 s7, vcc_lo, s7
	s_wait_xcnt 0x0
	s_and_not1_b32 exec_lo, exec_lo, s7
	s_cbranch_execz .LBB189_84
.LBB189_77:                             ; =>This Loop Header: Depth=1
                                        ;     Child Loop BB189_79 Depth 2
                                        ;     Child Loop BB189_83 Depth 2
	v_lshlrev_b32_e32 v1, 2, v0
	v_mov_b64_e32 v[4:5], s[0:1]
	s_and_not1_b32 vcc_lo, exec_lo, s4
	s_mov_b32 s8, 0
	s_delay_alu instid0(VALU_DEP_2) | instskip(NEXT) | instid1(VALU_DEP_1)
	v_add_nc_u32_e32 v2, 0, v1
	v_add_nc_u32_e32 v3, v2, v1
	ds_load_b32 v1, v2
	ds_load_b64 v[2:3], v3 offset:8192
	s_cbranch_vccnz .LBB189_81
; %bb.78:                               ;   in Loop: Header=BB189_77 Depth=1
	v_mov_b64_e32 v[4:5], s[0:1]
	s_mov_b32 s9, 0
.LBB189_79:                             ;   Parent Loop BB189_77 Depth=1
                                        ; =>  This Inner Loop Header: Depth=2
	s_delay_alu instid0(SALU_CYCLE_1)
	v_dual_mov_b32 v10, s9 :: v_dual_mov_b32 v11, s23
	v_mov_b32_e32 v17, s23
	s_add_co_i32 s8, s8, 8
	s_add_co_i32 s9, s9, 32
	ds_load_2addr_b32 v[6:7], v10 offset1:1
	ds_load_2addr_b32 v[8:9], v10 offset0:2 offset1:3
	ds_load_2addr_b32 v[12:13], v10 offset0:4 offset1:5
	;; [unrolled: 1-line block ×3, first 2 shown]
	s_cmp_eq_u32 s5, s8
	s_wait_dscnt 0x3
	v_cmp_gt_i32_e32 vcc_lo, v1, v6
	v_cndmask_b32_e64 v10, 0, 1, vcc_lo
	v_cmp_gt_i32_e32 vcc_lo, v1, v7
	v_mov_b32_e32 v7, s23
	s_delay_alu instid0(VALU_DEP_3) | instskip(SKIP_4) | instid1(VALU_DEP_3)
	v_add_nc_u64_e32 v[4:5], v[4:5], v[10:11]
	v_cndmask_b32_e64 v16, 0, 1, vcc_lo
	s_wait_dscnt 0x2
	v_cmp_gt_i32_e32 vcc_lo, v1, v8
	v_cndmask_b32_e64 v6, 0, 1, vcc_lo
	v_add_nc_u64_e32 v[4:5], v[4:5], v[16:17]
	v_cmp_gt_i32_e32 vcc_lo, v1, v9
	v_mov_b32_e32 v9, s23
	v_cndmask_b32_e64 v10, 0, 1, vcc_lo
	s_delay_alu instid0(VALU_DEP_4) | instskip(SKIP_3) | instid1(VALU_DEP_3)
	v_add_nc_u64_e32 v[4:5], v[4:5], v[6:7]
	s_wait_dscnt 0x1
	v_cmp_gt_i32_e32 vcc_lo, v1, v12
	v_cndmask_b32_e64 v6, 0, 1, vcc_lo
	v_add_nc_u64_e32 v[4:5], v[4:5], v[10:11]
	v_cmp_gt_i32_e32 vcc_lo, v1, v13
	v_cndmask_b32_e64 v8, 0, 1, vcc_lo
	s_delay_alu instid0(VALU_DEP_3) | instskip(SKIP_3) | instid1(VALU_DEP_3)
	v_add_nc_u64_e32 v[4:5], v[4:5], v[6:7]
	s_wait_dscnt 0x0
	v_cmp_gt_i32_e32 vcc_lo, v1, v14
	v_cndmask_b32_e64 v6, 0, 1, vcc_lo
	v_add_nc_u64_e32 v[4:5], v[4:5], v[8:9]
	v_cmp_gt_i32_e32 vcc_lo, v1, v15
	v_cndmask_b32_e64 v8, 0, 1, vcc_lo
	s_delay_alu instid0(VALU_DEP_3) | instskip(NEXT) | instid1(VALU_DEP_1)
	v_add_nc_u64_e32 v[4:5], v[4:5], v[6:7]
	v_add_nc_u64_e32 v[4:5], v[4:5], v[8:9]
	s_cbranch_scc0 .LBB189_79
; %bb.80:                               ;   in Loop: Header=BB189_77 Depth=1
	s_mov_b32 s8, s5
.LBB189_81:                             ;   in Loop: Header=BB189_77 Depth=1
	s_and_not1_b32 vcc_lo, exec_lo, s6
	s_cbranch_vccnz .LBB189_76
; %bb.82:                               ;   in Loop: Header=BB189_77 Depth=1
	s_lshl_b32 s8, s8, 2
	s_mov_b32 s9, s2
	s_add_co_i32 s8, s8, 0
.LBB189_83:                             ;   Parent Loop BB189_77 Depth=1
                                        ; =>  This Inner Loop Header: Depth=2
	s_delay_alu instid0(SALU_CYCLE_1)
	v_dual_mov_b32 v6, s8 :: v_dual_mov_b32 v7, s23
	s_add_co_i32 s9, s9, -1
	s_add_co_i32 s8, s8, 4
	s_cmp_lg_u32 s9, 0
	ds_load_b32 v6, v6
	s_wait_dscnt 0x0
	v_cmp_gt_i32_e32 vcc_lo, v1, v6
	v_cndmask_b32_e64 v6, 0, 1, vcc_lo
	s_delay_alu instid0(VALU_DEP_1)
	v_add_nc_u64_e32 v[4:5], v[4:5], v[6:7]
	s_cbranch_scc1 .LBB189_83
	s_branch .LBB189_76
.LBB189_84:
	s_endpgm
	.section	.rodata,"a",@progbits
	.p2align	6, 0x0
	.amdhsa_kernel _ZN9rocsparseL41csrgemm_numeric_fill_block_per_row_kernelILj1024ELj32ELj2048ELj137ELj64ElidEEvT5_PKS1_S3_NS_24const_host_device_scalarIT6_EEPKT4_S3_PKS5_S9_S3_SB_S6_S9_S3_SB_S9_S3_PS5_21rocsparse_index_base_SD_SD_SD_bbb
		.amdhsa_group_segment_fixed_size 0
		.amdhsa_private_segment_fixed_size 0
		.amdhsa_kernarg_size 156
		.amdhsa_user_sgpr_count 2
		.amdhsa_user_sgpr_dispatch_ptr 0
		.amdhsa_user_sgpr_queue_ptr 0
		.amdhsa_user_sgpr_kernarg_segment_ptr 1
		.amdhsa_user_sgpr_dispatch_id 0
		.amdhsa_user_sgpr_kernarg_preload_length 0
		.amdhsa_user_sgpr_kernarg_preload_offset 0
		.amdhsa_user_sgpr_private_segment_size 0
		.amdhsa_wavefront_size32 1
		.amdhsa_uses_dynamic_stack 0
		.amdhsa_enable_private_segment 0
		.amdhsa_system_sgpr_workgroup_id_x 1
		.amdhsa_system_sgpr_workgroup_id_y 0
		.amdhsa_system_sgpr_workgroup_id_z 0
		.amdhsa_system_sgpr_workgroup_info 0
		.amdhsa_system_vgpr_workitem_id 0
		.amdhsa_next_free_vgpr 24
		.amdhsa_next_free_sgpr 44
		.amdhsa_named_barrier_count 0
		.amdhsa_reserve_vcc 1
		.amdhsa_float_round_mode_32 0
		.amdhsa_float_round_mode_16_64 0
		.amdhsa_float_denorm_mode_32 3
		.amdhsa_float_denorm_mode_16_64 3
		.amdhsa_fp16_overflow 0
		.amdhsa_memory_ordered 1
		.amdhsa_forward_progress 1
		.amdhsa_inst_pref_size 26
		.amdhsa_round_robin_scheduling 0
		.amdhsa_exception_fp_ieee_invalid_op 0
		.amdhsa_exception_fp_denorm_src 0
		.amdhsa_exception_fp_ieee_div_zero 0
		.amdhsa_exception_fp_ieee_overflow 0
		.amdhsa_exception_fp_ieee_underflow 0
		.amdhsa_exception_fp_ieee_inexact 0
		.amdhsa_exception_int_div_zero 0
	.end_amdhsa_kernel
	.section	.text._ZN9rocsparseL41csrgemm_numeric_fill_block_per_row_kernelILj1024ELj32ELj2048ELj137ELj64ElidEEvT5_PKS1_S3_NS_24const_host_device_scalarIT6_EEPKT4_S3_PKS5_S9_S3_SB_S6_S9_S3_SB_S9_S3_PS5_21rocsparse_index_base_SD_SD_SD_bbb,"axG",@progbits,_ZN9rocsparseL41csrgemm_numeric_fill_block_per_row_kernelILj1024ELj32ELj2048ELj137ELj64ElidEEvT5_PKS1_S3_NS_24const_host_device_scalarIT6_EEPKT4_S3_PKS5_S9_S3_SB_S6_S9_S3_SB_S9_S3_PS5_21rocsparse_index_base_SD_SD_SD_bbb,comdat
.Lfunc_end189:
	.size	_ZN9rocsparseL41csrgemm_numeric_fill_block_per_row_kernelILj1024ELj32ELj2048ELj137ELj64ElidEEvT5_PKS1_S3_NS_24const_host_device_scalarIT6_EEPKT4_S3_PKS5_S9_S3_SB_S6_S9_S3_SB_S9_S3_PS5_21rocsparse_index_base_SD_SD_SD_bbb, .Lfunc_end189-_ZN9rocsparseL41csrgemm_numeric_fill_block_per_row_kernelILj1024ELj32ELj2048ELj137ELj64ElidEEvT5_PKS1_S3_NS_24const_host_device_scalarIT6_EEPKT4_S3_PKS5_S9_S3_SB_S6_S9_S3_SB_S9_S3_PS5_21rocsparse_index_base_SD_SD_SD_bbb
                                        ; -- End function
	.set _ZN9rocsparseL41csrgemm_numeric_fill_block_per_row_kernelILj1024ELj32ELj2048ELj137ELj64ElidEEvT5_PKS1_S3_NS_24const_host_device_scalarIT6_EEPKT4_S3_PKS5_S9_S3_SB_S6_S9_S3_SB_S9_S3_PS5_21rocsparse_index_base_SD_SD_SD_bbb.num_vgpr, 24
	.set _ZN9rocsparseL41csrgemm_numeric_fill_block_per_row_kernelILj1024ELj32ELj2048ELj137ELj64ElidEEvT5_PKS1_S3_NS_24const_host_device_scalarIT6_EEPKT4_S3_PKS5_S9_S3_SB_S6_S9_S3_SB_S9_S3_PS5_21rocsparse_index_base_SD_SD_SD_bbb.num_agpr, 0
	.set _ZN9rocsparseL41csrgemm_numeric_fill_block_per_row_kernelILj1024ELj32ELj2048ELj137ELj64ElidEEvT5_PKS1_S3_NS_24const_host_device_scalarIT6_EEPKT4_S3_PKS5_S9_S3_SB_S6_S9_S3_SB_S9_S3_PS5_21rocsparse_index_base_SD_SD_SD_bbb.numbered_sgpr, 44
	.set _ZN9rocsparseL41csrgemm_numeric_fill_block_per_row_kernelILj1024ELj32ELj2048ELj137ELj64ElidEEvT5_PKS1_S3_NS_24const_host_device_scalarIT6_EEPKT4_S3_PKS5_S9_S3_SB_S6_S9_S3_SB_S9_S3_PS5_21rocsparse_index_base_SD_SD_SD_bbb.num_named_barrier, 0
	.set _ZN9rocsparseL41csrgemm_numeric_fill_block_per_row_kernelILj1024ELj32ELj2048ELj137ELj64ElidEEvT5_PKS1_S3_NS_24const_host_device_scalarIT6_EEPKT4_S3_PKS5_S9_S3_SB_S6_S9_S3_SB_S9_S3_PS5_21rocsparse_index_base_SD_SD_SD_bbb.private_seg_size, 0
	.set _ZN9rocsparseL41csrgemm_numeric_fill_block_per_row_kernelILj1024ELj32ELj2048ELj137ELj64ElidEEvT5_PKS1_S3_NS_24const_host_device_scalarIT6_EEPKT4_S3_PKS5_S9_S3_SB_S6_S9_S3_SB_S9_S3_PS5_21rocsparse_index_base_SD_SD_SD_bbb.uses_vcc, 1
	.set _ZN9rocsparseL41csrgemm_numeric_fill_block_per_row_kernelILj1024ELj32ELj2048ELj137ELj64ElidEEvT5_PKS1_S3_NS_24const_host_device_scalarIT6_EEPKT4_S3_PKS5_S9_S3_SB_S6_S9_S3_SB_S9_S3_PS5_21rocsparse_index_base_SD_SD_SD_bbb.uses_flat_scratch, 0
	.set _ZN9rocsparseL41csrgemm_numeric_fill_block_per_row_kernelILj1024ELj32ELj2048ELj137ELj64ElidEEvT5_PKS1_S3_NS_24const_host_device_scalarIT6_EEPKT4_S3_PKS5_S9_S3_SB_S6_S9_S3_SB_S9_S3_PS5_21rocsparse_index_base_SD_SD_SD_bbb.has_dyn_sized_stack, 0
	.set _ZN9rocsparseL41csrgemm_numeric_fill_block_per_row_kernelILj1024ELj32ELj2048ELj137ELj64ElidEEvT5_PKS1_S3_NS_24const_host_device_scalarIT6_EEPKT4_S3_PKS5_S9_S3_SB_S6_S9_S3_SB_S9_S3_PS5_21rocsparse_index_base_SD_SD_SD_bbb.has_recursion, 0
	.set _ZN9rocsparseL41csrgemm_numeric_fill_block_per_row_kernelILj1024ELj32ELj2048ELj137ELj64ElidEEvT5_PKS1_S3_NS_24const_host_device_scalarIT6_EEPKT4_S3_PKS5_S9_S3_SB_S6_S9_S3_SB_S9_S3_PS5_21rocsparse_index_base_SD_SD_SD_bbb.has_indirect_call, 0
	.section	.AMDGPU.csdata,"",@progbits
; Kernel info:
; codeLenInByte = 3228
; TotalNumSgprs: 46
; NumVgprs: 24
; ScratchSize: 0
; MemoryBound: 0
; FloatMode: 240
; IeeeMode: 1
; LDSByteSize: 0 bytes/workgroup (compile time only)
; SGPRBlocks: 0
; VGPRBlocks: 1
; NumSGPRsForWavesPerEU: 46
; NumVGPRsForWavesPerEU: 24
; NamedBarCnt: 0
; Occupancy: 16
; WaveLimiterHint : 1
; COMPUTE_PGM_RSRC2:SCRATCH_EN: 0
; COMPUTE_PGM_RSRC2:USER_SGPR: 2
; COMPUTE_PGM_RSRC2:TRAP_HANDLER: 0
; COMPUTE_PGM_RSRC2:TGID_X_EN: 1
; COMPUTE_PGM_RSRC2:TGID_Y_EN: 0
; COMPUTE_PGM_RSRC2:TGID_Z_EN: 0
; COMPUTE_PGM_RSRC2:TIDIG_COMP_CNT: 0
	.section	.text._ZN9rocsparseL41csrgemm_numeric_fill_block_per_row_kernelILj1024ELj64ELj4096ELj137ELj32ElidEEvT5_PKS1_S3_NS_24const_host_device_scalarIT6_EEPKT4_S3_PKS5_S9_S3_SB_S6_S9_S3_SB_S9_S3_PS5_21rocsparse_index_base_SD_SD_SD_bbb,"axG",@progbits,_ZN9rocsparseL41csrgemm_numeric_fill_block_per_row_kernelILj1024ELj64ELj4096ELj137ELj32ElidEEvT5_PKS1_S3_NS_24const_host_device_scalarIT6_EEPKT4_S3_PKS5_S9_S3_SB_S6_S9_S3_SB_S9_S3_PS5_21rocsparse_index_base_SD_SD_SD_bbb,comdat
	.globl	_ZN9rocsparseL41csrgemm_numeric_fill_block_per_row_kernelILj1024ELj64ELj4096ELj137ELj32ElidEEvT5_PKS1_S3_NS_24const_host_device_scalarIT6_EEPKT4_S3_PKS5_S9_S3_SB_S6_S9_S3_SB_S9_S3_PS5_21rocsparse_index_base_SD_SD_SD_bbb ; -- Begin function _ZN9rocsparseL41csrgemm_numeric_fill_block_per_row_kernelILj1024ELj64ELj4096ELj137ELj32ElidEEvT5_PKS1_S3_NS_24const_host_device_scalarIT6_EEPKT4_S3_PKS5_S9_S3_SB_S6_S9_S3_SB_S9_S3_PS5_21rocsparse_index_base_SD_SD_SD_bbb
	.p2align	8
	.type	_ZN9rocsparseL41csrgemm_numeric_fill_block_per_row_kernelILj1024ELj64ELj4096ELj137ELj32ElidEEvT5_PKS1_S3_NS_24const_host_device_scalarIT6_EEPKT4_S3_PKS5_S9_S3_SB_S6_S9_S3_SB_S9_S3_PS5_21rocsparse_index_base_SD_SD_SD_bbb,@function
_ZN9rocsparseL41csrgemm_numeric_fill_block_per_row_kernelILj1024ELj64ELj4096ELj137ELj32ElidEEvT5_PKS1_S3_NS_24const_host_device_scalarIT6_EEPKT4_S3_PKS5_S9_S3_SB_S6_S9_S3_SB_S9_S3_PS5_21rocsparse_index_base_SD_SD_SD_bbb: ; @_ZN9rocsparseL41csrgemm_numeric_fill_block_per_row_kernelILj1024ELj64ELj4096ELj137ELj32ElidEEvT5_PKS1_S3_NS_24const_host_device_scalarIT6_EEPKT4_S3_PKS5_S9_S3_SB_S6_S9_S3_SB_S9_S3_PS5_21rocsparse_index_base_SD_SD_SD_bbb
; %bb.0:
	s_clause 0x3
	s_load_b32 s6, s[0:1], 0x98
	s_load_b64 s[4:5], s[0:1], 0x18
	s_load_b128 s[44:47], s[0:1], 0x88
	s_load_b64 s[2:3], s[0:1], 0x50
	s_wait_kmcnt 0x0
	s_bitcmp1_b32 s6, 0
	s_cselect_b32 s21, -1, 0
	s_bitcmp1_b32 s6, 16
	s_cselect_b32 s7, -1, 0
	s_xor_b32 s8, s21, -1
	s_delay_alu instid0(SALU_CYCLE_1)
	s_or_b32 s10, s7, s8
	s_and_b32 s8, s21, exec_lo
	s_cselect_b32 s9, s5, 0
	s_cselect_b32 s8, s4, 0
	s_and_b32 vcc_lo, exec_lo, s10
	v_mov_b64_e32 v[4:5], s[8:9]
	s_cbranch_vccnz .LBB190_2
; %bb.1:
	v_mov_b32_e32 v1, 0
	flat_load_b64 v[4:5], v1, s[4:5]
.LBB190_2:
	s_load_b128 s[16:19], s[0:1], 0x8
	s_bitcmp1_b32 s6, 8
	s_cselect_b32 s20, -1, 0
	s_delay_alu instid0(SALU_CYCLE_1) | instskip(NEXT) | instid1(SALU_CYCLE_1)
	s_xor_b32 s4, s20, -1
	s_or_b32 s6, s7, s4
	s_and_b32 s4, s20, exec_lo
	s_cselect_b32 s5, s3, 0
	s_cselect_b32 s4, s2, 0
	s_and_b32 vcc_lo, exec_lo, s6
	v_mov_b64_e32 v[2:3], s[4:5]
	s_cbranch_vccnz .LBB190_4
; %bb.3:
	v_mov_b32_e32 v1, 0
	flat_load_b64 v[2:3], v1, s[2:3]
.LBB190_4:
	s_clause 0x4
	s_load_b32 s33, s[0:1], 0x0
	s_load_b64 s[34:35], s[0:1], 0x80
	s_load_b256 s[36:43], s[0:1], 0x58
	s_load_b128 s[12:15], s[0:1], 0x40
	s_load_b256 s[4:11], s[0:1], 0x20
	v_or_b32_e32 v19, 0xfffffc00, v0
	v_lshlrev_b32_e32 v1, 3, v0
	v_lshl_add_u32 v18, v0, 2, 0
	v_mov_b64_e32 v[6:7], 0
	s_wait_xcnt 0x0
	s_mov_b32 s0, 0
	v_mov_b32_e32 v8, v19
	v_add3_u32 v20, v1, 0, 0x4000
	s_delay_alu instid0(VALU_DEP_1)
	v_dual_mov_b32 v1, v18 :: v_dual_mov_b32 v10, v20
	s_wait_kmcnt 0x0
	v_mov_b32_e32 v9, s33
.LBB190_5:                              ; =>This Inner Loop Header: Depth=1
	v_add_nc_u32_e32 v8, 0x400, v8
	ds_store_b32 v1, v9
	ds_store_b64 v10, v[6:7]
	v_add_nc_u32_e32 v10, 0x2000, v10
	v_add_nc_u32_e32 v1, 0x1000, v1
	v_cmp_lt_u32_e32 vcc_lo, 0xbff, v8
	s_or_b32 s0, vcc_lo, s0
	s_delay_alu instid0(SALU_CYCLE_1)
	s_and_not1_b32 exec_lo, exec_lo, s0
	s_cbranch_execnz .LBB190_5
; %bb.6:
	s_or_b32 exec_lo, exec_lo, s0
	s_wait_loadcnt_dscnt 0x0
	s_barrier_signal -1
	s_barrier_wait -1
	s_load_b32 s0, s[16:17], 0x0
	s_bfe_u32 s1, ttmp6, 0x4000c
	s_and_b32 s2, ttmp6, 15
	s_add_co_i32 s1, s1, 1
	s_getreg_b32 s3, hwreg(HW_REG_IB_STS2, 6, 4)
	s_mul_i32 s1, ttmp9, s1
	s_delay_alu instid0(SALU_CYCLE_1)
	s_add_co_i32 s2, s2, s1
	s_cmp_eq_u32 s3, 0
	s_cselect_b32 s1, ttmp9, s2
	s_and_b32 vcc_lo, s21, exec_lo
	s_wait_kmcnt 0x0
	s_add_co_i32 s0, s0, s1
	s_mov_b32 s1, 0
	s_load_b32 s48, s[18:19], s0 offset:0x0 scale_offset
	s_cbranch_vccz .LBB190_24
; %bb.7:
	s_wait_kmcnt 0x0
	s_ashr_i32 s49, s48, 31
	v_dual_mov_b32 v9, 0 :: v_dual_lshrrev_b32 v8, 6, v0
	s_lshl_b64 s[2:3], s[48:49], 3
	s_mov_b32 s0, s44
	s_add_nc_u64 s[2:3], s[4:5], s[2:3]
	s_mov_b32 s4, exec_lo
	s_load_b128 s[16:19], s[2:3], 0x0
	v_sub_nc_u64_e64 v[6:7], v[8:9], s[0:1]
	s_wait_kmcnt 0x0
	s_delay_alu instid0(VALU_DEP_1)
	v_add_nc_u64_e32 v[6:7], s[16:17], v[6:7]
	s_sub_nc_u64 s[0:1], s[18:19], s[0:1]
	s_delay_alu instid0(VALU_DEP_1) | instid1(SALU_CYCLE_1)
	v_cmpx_gt_i64_e64 s[0:1], v[6:7]
	s_cbranch_execz .LBB190_23
; %bb.8:
	v_and_b32_e32 v8, 63, v0
	s_mov_b32 s3, 0
	s_mov_b32 s2, s45
	;; [unrolled: 1-line block ×3, first 2 shown]
	s_delay_alu instid0(VALU_DEP_1)
	v_sub_nc_u64_e64 v[8:9], v[8:9], s[2:3]
	s_branch .LBB190_10
.LBB190_9:                              ;   in Loop: Header=BB190_10 Depth=1
	s_or_b32 exec_lo, exec_lo, s16
	v_add_nc_u64_e32 v[6:7], 16, v[6:7]
	s_delay_alu instid0(VALU_DEP_1) | instskip(SKIP_1) | instid1(SALU_CYCLE_1)
	v_cmp_le_i64_e32 vcc_lo, s[0:1], v[6:7]
	s_or_b32 s5, vcc_lo, s5
	s_and_not1_b32 exec_lo, exec_lo, s5
	s_cbranch_execz .LBB190_23
.LBB190_10:                             ; =>This Loop Header: Depth=1
                                        ;     Child Loop BB190_14 Depth 2
                                        ;       Child Loop BB190_17 Depth 3
	v_lshl_add_u64 v[10:11], v[6:7], 2, s[6:7]
	s_mov_b32 s16, exec_lo
	global_load_b32 v1, v[10:11], off
	s_wait_loadcnt 0x0
	s_wait_xcnt 0x0
	v_subrev_nc_u32_e32 v10, s44, v1
	s_delay_alu instid0(VALU_DEP_1) | instskip(NEXT) | instid1(VALU_DEP_1)
	v_ashrrev_i32_e32 v11, 31, v10
	v_lshl_add_u64 v[10:11], v[10:11], 3, s[10:11]
	global_load_b128 v[12:15], v[10:11], off
	s_wait_loadcnt 0x0
	s_wait_xcnt 0x0
	v_sub_nc_u64_e64 v[10:11], v[14:15], s[2:3]
	v_add_nc_u64_e32 v[12:13], v[12:13], v[8:9]
	s_delay_alu instid0(VALU_DEP_1)
	v_cmpx_lt_i64_e64 v[12:13], v[10:11]
	s_cbranch_execz .LBB190_9
; %bb.11:                               ;   in Loop: Header=BB190_10 Depth=1
	v_lshl_add_u64 v[14:15], v[6:7], 3, s[8:9]
	s_mov_b32 s17, 0
	global_load_b64 v[14:15], v[14:15], off
	s_wait_loadcnt 0x0
	s_wait_xcnt 0x0
	v_mul_f64_e32 v[14:15], v[4:5], v[14:15]
	s_branch .LBB190_14
.LBB190_12:                             ;   in Loop: Header=BB190_14 Depth=2
	s_or_b32 exec_lo, exec_lo, s19
.LBB190_13:                             ;   in Loop: Header=BB190_14 Depth=2
	s_delay_alu instid0(SALU_CYCLE_1) | instskip(SKIP_4) | instid1(VALU_DEP_1)
	s_or_b32 exec_lo, exec_lo, s18
	s_wait_loadcnt 0x0
	v_mul_f64_e32 v[16:17], v[14:15], v[16:17]
	v_lshl_add_u32 v1, v1, 3, 0
	v_add_nc_u64_e32 v[12:13], 64, v[12:13]
	v_cmp_ge_i64_e32 vcc_lo, v[12:13], v[10:11]
	s_or_b32 s17, vcc_lo, s17
	ds_add_f64 v1, v[16:17] offset:16384
	s_and_not1_b32 exec_lo, exec_lo, s17
	s_cbranch_execz .LBB190_9
.LBB190_14:                             ;   Parent Loop BB190_10 Depth=1
                                        ; =>  This Loop Header: Depth=2
                                        ;       Child Loop BB190_17 Depth 3
	v_lshl_add_u64 v[16:17], v[12:13], 2, s[12:13]
	s_mov_b32 s18, exec_lo
	global_load_b32 v1, v[16:17], off
	s_wait_xcnt 0x0
	v_lshl_add_u64 v[16:17], v[12:13], 3, s[14:15]
	global_load_b64 v[16:17], v[16:17], off
	s_wait_loadcnt 0x1
	v_subrev_nc_u32_e32 v21, s45, v1
	s_delay_alu instid0(VALU_DEP_1) | instskip(NEXT) | instid1(VALU_DEP_1)
	v_mul_lo_u32 v1, 0x89, v21
	v_and_b32_e32 v1, 0xfff, v1
	s_delay_alu instid0(VALU_DEP_1)
	v_lshl_add_u32 v22, v1, 2, 0
	ds_load_b32 v23, v22
	s_wait_dscnt 0x0
	s_wait_xcnt 0x0
	v_cmpx_ne_u32_e64 v23, v21
	s_cbranch_execz .LBB190_13
; %bb.15:                               ;   in Loop: Header=BB190_14 Depth=2
	s_mov_b32 s19, 0
	s_branch .LBB190_17
.LBB190_16:                             ;   in Loop: Header=BB190_17 Depth=3
	s_or_b32 exec_lo, exec_lo, s23
	s_delay_alu instid0(SALU_CYCLE_1) | instskip(NEXT) | instid1(SALU_CYCLE_1)
	s_and_b32 s21, exec_lo, s22
	s_or_b32 s19, s21, s19
	s_delay_alu instid0(SALU_CYCLE_1)
	s_and_not1_b32 exec_lo, exec_lo, s19
	s_cbranch_execz .LBB190_12
.LBB190_17:                             ;   Parent Loop BB190_10 Depth=1
                                        ;     Parent Loop BB190_14 Depth=2
                                        ; =>    This Inner Loop Header: Depth=3
	s_mov_b32 s21, 0
	s_mov_b32 s22, exec_lo
	v_cmpx_ne_u32_e64 s33, v23
	s_xor_b32 s22, exec_lo, s22
	s_cbranch_execz .LBB190_19
; %bb.18:                               ;   in Loop: Header=BB190_17 Depth=3
	v_add_nc_u32_e32 v1, 1, v1
	s_mov_b32 s21, exec_lo
                                        ; implicit-def: $vgpr22
	s_delay_alu instid0(VALU_DEP_1)
	v_and_b32_e32 v1, 0xfff, v1
	s_and_not1_saveexec_b32 s22, s22
	s_cbranch_execz .LBB190_21
	s_branch .LBB190_20
.LBB190_19:                             ;   in Loop: Header=BB190_17 Depth=3
	s_and_not1_saveexec_b32 s22, s22
	s_cbranch_execz .LBB190_21
.LBB190_20:                             ;   in Loop: Header=BB190_17 Depth=3
	v_mov_b32_e32 v23, s33
	s_and_not1_b32 s21, s21, exec_lo
	ds_cmpstore_rtn_b32 v22, v22, v21, v23
	s_wait_dscnt 0x0
	v_cmp_ne_u32_e32 vcc_lo, s33, v22
	s_and_b32 s23, vcc_lo, exec_lo
	s_delay_alu instid0(SALU_CYCLE_1)
	s_or_b32 s21, s21, s23
.LBB190_21:                             ;   in Loop: Header=BB190_17 Depth=3
	s_or_b32 exec_lo, exec_lo, s22
	s_mov_b32 s22, -1
                                        ; implicit-def: $vgpr22
                                        ; implicit-def: $vgpr23
	s_and_saveexec_b32 s23, s21
	s_cbranch_execz .LBB190_16
; %bb.22:                               ;   in Loop: Header=BB190_17 Depth=3
	v_lshl_add_u32 v22, v1, 2, 0
	ds_load_b32 v23, v22
	s_wait_dscnt 0x0
	v_cmp_eq_u32_e32 vcc_lo, v23, v21
	s_or_not1_b32 s22, vcc_lo, exec_lo
	s_branch .LBB190_16
.LBB190_23:
	s_or_b32 exec_lo, exec_lo, s4
.LBB190_24:
	s_delay_alu instid0(SALU_CYCLE_1)
	s_and_not1_b32 vcc_lo, exec_lo, s20
	s_cbranch_vccnz .LBB190_27
; %bb.25:
	s_wait_kmcnt 0x0
	s_ashr_i32 s49, s48, 31
	v_mov_b32_e32 v1, 0
	s_lshl_b64 s[0:1], s[48:49], 3
	s_delay_alu instid0(SALU_CYCLE_1) | instskip(SKIP_4) | instid1(SALU_CYCLE_1)
	s_add_nc_u64 s[0:1], s[36:37], s[0:1]
	s_load_b128 s[4:7], s[0:1], 0x0
	s_wait_xcnt 0x0
	s_mov_b32 s1, 0
	s_mov_b32 s0, s47
	v_sub_nc_u64_e64 v[4:5], v[0:1], s[0:1]
	s_wait_kmcnt 0x0
	s_delay_alu instid0(VALU_DEP_1) | instskip(SKIP_2) | instid1(VALU_DEP_1)
	v_add_nc_u64_e32 v[4:5], s[4:5], v[4:5]
	s_sub_nc_u64 s[2:3], s[6:7], s[0:1]
	s_mov_b32 s0, exec_lo
	v_cmpx_gt_i64_e64 s[2:3], v[4:5]
	s_cbranch_execnz .LBB190_97
.LBB190_26:
	s_or_b32 exec_lo, exec_lo, s0
.LBB190_27:
	v_mbcnt_lo_u32_b32 v2, -1, 0
	v_dual_lshrrev_b32 v3, 3, v0 :: v_dual_mov_b32 v1, 0
	s_wait_xcnt 0x0
	v_cmp_lt_u32_e64 s0, 31, v0
	v_cmp_lt_u32_e64 s1, 63, v0
	;; [unrolled: 1-line block ×3, first 2 shown]
	v_and_b32_e32 v3, 0x7c, v3
	v_xor_b32_e32 v2, 31, v2
	v_cmp_lt_u32_e64 s3, 0x7f, v0
	v_cmp_lt_u32_e64 s4, 0x9f, v0
	;; [unrolled: 1-line block ×3, first 2 shown]
	v_add_nc_u32_e32 v3, 0, v3
	v_lshrrev_b32_e64 v2, v2, -1
	v_cmp_lt_u32_e64 s6, 0xdf, v0
	v_cmp_lt_u32_e64 s7, 0xff, v0
	;; [unrolled: 1-line block ×25, first 2 shown]
	v_mov_b32_e32 v6, 0
	s_mov_b32 s36, 0
	s_wait_dscnt 0x0
	v_cmp_eq_u32_e32 vcc_lo, 0x3ff, v0
	s_barrier_signal -1
	s_barrier_wait -1
	s_branch .LBB190_29
.LBB190_28:                             ;   in Loop: Header=BB190_29 Depth=1
	s_or_b32 exec_lo, exec_lo, s31
	s_wait_dscnt 0x0
	s_barrier_signal -1
	s_barrier_wait -1
	ds_load_b32 v4, v1 offset:49276
	v_add_nc_u32_e32 v19, 0x400, v19
	v_add_nc_u32_e32 v20, 0x2000, v20
	;; [unrolled: 1-line block ×3, first 2 shown]
	s_delay_alu instid0(VALU_DEP_3)
	v_cmp_lt_u32_e64 s31, 0xbff, v19
	s_or_b32 s36, s31, s36
	s_wait_dscnt 0x0
	v_add_nc_u32_e32 v6, v4, v6
	s_and_not1_b32 exec_lo, exec_lo, s36
	s_cbranch_execz .LBB190_106
.LBB190_29:                             ; =>This Inner Loop Header: Depth=1
	ds_load_b32 v7, v18
	ds_load_b64 v[4:5], v20
	s_wait_dscnt 0x0
	s_barrier_signal -1
	s_barrier_wait -1
	v_cmp_gt_i32_e64 s31, s33, v7
	s_bcnt1_i32_b32 s37, s31
	s_delay_alu instid0(SALU_CYCLE_1) | instskip(NEXT) | instid1(VALU_DEP_1)
	v_dual_mov_b32 v9, s37 :: v_dual_bitop2_b32 v8, s31, v2 bitop3:0x40
	v_bcnt_u32_b32 v8, v8, 0
	ds_store_b32 v3, v9 offset:49152
	s_wait_dscnt 0x0
	s_barrier_signal -1
	s_barrier_wait -1
	s_and_saveexec_b32 s37, s0
	s_cbranch_execz .LBB190_62
; %bb.30:                               ;   in Loop: Header=BB190_29 Depth=1
	ds_load_b32 v9, v1 offset:49152
	s_wait_dscnt 0x0
	v_add_nc_u32_e32 v8, v9, v8
	s_or_b32 exec_lo, exec_lo, s37
	s_and_saveexec_b32 s37, s1
	s_cbranch_execnz .LBB190_63
.LBB190_31:                             ;   in Loop: Header=BB190_29 Depth=1
	s_or_b32 exec_lo, exec_lo, s37
	s_and_saveexec_b32 s37, s2
	s_cbranch_execz .LBB190_64
.LBB190_32:                             ;   in Loop: Header=BB190_29 Depth=1
	ds_load_b32 v9, v1 offset:49160
	s_wait_dscnt 0x0
	v_add_nc_u32_e32 v8, v9, v8
	s_or_b32 exec_lo, exec_lo, s37
	s_and_saveexec_b32 s37, s3
	s_cbranch_execnz .LBB190_65
.LBB190_33:                             ;   in Loop: Header=BB190_29 Depth=1
	s_or_b32 exec_lo, exec_lo, s37
	s_and_saveexec_b32 s37, s4
	s_cbranch_execz .LBB190_66
.LBB190_34:                             ;   in Loop: Header=BB190_29 Depth=1
	ds_load_b32 v9, v1 offset:49168
	s_wait_dscnt 0x0
	v_add_nc_u32_e32 v8, v9, v8
	s_or_b32 exec_lo, exec_lo, s37
	s_and_saveexec_b32 s37, s5
	s_cbranch_execnz .LBB190_67
.LBB190_35:                             ;   in Loop: Header=BB190_29 Depth=1
	s_or_b32 exec_lo, exec_lo, s37
	s_and_saveexec_b32 s37, s6
	s_cbranch_execz .LBB190_68
.LBB190_36:                             ;   in Loop: Header=BB190_29 Depth=1
	ds_load_b32 v9, v1 offset:49176
	s_wait_dscnt 0x0
	v_add_nc_u32_e32 v8, v9, v8
	s_or_b32 exec_lo, exec_lo, s37
	s_and_saveexec_b32 s37, s7
	s_cbranch_execnz .LBB190_69
.LBB190_37:                             ;   in Loop: Header=BB190_29 Depth=1
	s_or_b32 exec_lo, exec_lo, s37
	s_and_saveexec_b32 s37, s8
	s_cbranch_execz .LBB190_70
.LBB190_38:                             ;   in Loop: Header=BB190_29 Depth=1
	ds_load_b32 v9, v1 offset:49184
	s_wait_dscnt 0x0
	v_add_nc_u32_e32 v8, v9, v8
	s_or_b32 exec_lo, exec_lo, s37
	s_and_saveexec_b32 s37, s9
	s_cbranch_execnz .LBB190_71
.LBB190_39:                             ;   in Loop: Header=BB190_29 Depth=1
	s_or_b32 exec_lo, exec_lo, s37
	s_and_saveexec_b32 s37, s10
	s_cbranch_execz .LBB190_72
.LBB190_40:                             ;   in Loop: Header=BB190_29 Depth=1
	ds_load_b32 v9, v1 offset:49192
	s_wait_dscnt 0x0
	v_add_nc_u32_e32 v8, v9, v8
	s_or_b32 exec_lo, exec_lo, s37
	s_and_saveexec_b32 s37, s11
	s_cbranch_execnz .LBB190_73
.LBB190_41:                             ;   in Loop: Header=BB190_29 Depth=1
	s_or_b32 exec_lo, exec_lo, s37
	s_and_saveexec_b32 s37, s12
	s_cbranch_execz .LBB190_74
.LBB190_42:                             ;   in Loop: Header=BB190_29 Depth=1
	ds_load_b32 v9, v1 offset:49200
	s_wait_dscnt 0x0
	v_add_nc_u32_e32 v8, v9, v8
	s_or_b32 exec_lo, exec_lo, s37
	s_and_saveexec_b32 s37, s13
	s_cbranch_execnz .LBB190_75
.LBB190_43:                             ;   in Loop: Header=BB190_29 Depth=1
	s_or_b32 exec_lo, exec_lo, s37
	s_and_saveexec_b32 s37, s14
	s_cbranch_execz .LBB190_76
.LBB190_44:                             ;   in Loop: Header=BB190_29 Depth=1
	ds_load_b32 v9, v1 offset:49208
	s_wait_dscnt 0x0
	v_add_nc_u32_e32 v8, v9, v8
	s_or_b32 exec_lo, exec_lo, s37
	s_and_saveexec_b32 s37, s15
	s_cbranch_execnz .LBB190_77
.LBB190_45:                             ;   in Loop: Header=BB190_29 Depth=1
	s_or_b32 exec_lo, exec_lo, s37
	s_and_saveexec_b32 s37, s16
	s_cbranch_execz .LBB190_78
.LBB190_46:                             ;   in Loop: Header=BB190_29 Depth=1
	ds_load_b32 v9, v1 offset:49216
	s_wait_dscnt 0x0
	v_add_nc_u32_e32 v8, v9, v8
	s_or_b32 exec_lo, exec_lo, s37
	s_and_saveexec_b32 s37, s17
	s_cbranch_execnz .LBB190_79
.LBB190_47:                             ;   in Loop: Header=BB190_29 Depth=1
	s_or_b32 exec_lo, exec_lo, s37
	s_and_saveexec_b32 s37, s18
	s_cbranch_execz .LBB190_80
.LBB190_48:                             ;   in Loop: Header=BB190_29 Depth=1
	ds_load_b32 v9, v1 offset:49224
	s_wait_dscnt 0x0
	v_add_nc_u32_e32 v8, v9, v8
	s_or_b32 exec_lo, exec_lo, s37
	s_and_saveexec_b32 s37, s19
	s_cbranch_execnz .LBB190_81
.LBB190_49:                             ;   in Loop: Header=BB190_29 Depth=1
	s_or_b32 exec_lo, exec_lo, s37
	s_and_saveexec_b32 s37, s20
	s_cbranch_execz .LBB190_82
.LBB190_50:                             ;   in Loop: Header=BB190_29 Depth=1
	ds_load_b32 v9, v1 offset:49232
	s_wait_dscnt 0x0
	v_add_nc_u32_e32 v8, v9, v8
	s_or_b32 exec_lo, exec_lo, s37
	s_and_saveexec_b32 s37, s21
	s_cbranch_execnz .LBB190_83
.LBB190_51:                             ;   in Loop: Header=BB190_29 Depth=1
	s_or_b32 exec_lo, exec_lo, s37
	s_and_saveexec_b32 s37, s22
	s_cbranch_execz .LBB190_84
.LBB190_52:                             ;   in Loop: Header=BB190_29 Depth=1
	ds_load_b32 v9, v1 offset:49240
	s_wait_dscnt 0x0
	v_add_nc_u32_e32 v8, v9, v8
	s_or_b32 exec_lo, exec_lo, s37
	s_and_saveexec_b32 s37, s23
	s_cbranch_execnz .LBB190_85
.LBB190_53:                             ;   in Loop: Header=BB190_29 Depth=1
	s_or_b32 exec_lo, exec_lo, s37
	s_and_saveexec_b32 s37, s24
	s_cbranch_execz .LBB190_86
.LBB190_54:                             ;   in Loop: Header=BB190_29 Depth=1
	ds_load_b32 v9, v1 offset:49248
	s_wait_dscnt 0x0
	v_add_nc_u32_e32 v8, v9, v8
	s_or_b32 exec_lo, exec_lo, s37
	s_and_saveexec_b32 s37, s25
	s_cbranch_execnz .LBB190_87
.LBB190_55:                             ;   in Loop: Header=BB190_29 Depth=1
	s_or_b32 exec_lo, exec_lo, s37
	s_and_saveexec_b32 s37, s26
	s_cbranch_execz .LBB190_88
.LBB190_56:                             ;   in Loop: Header=BB190_29 Depth=1
	ds_load_b32 v9, v1 offset:49256
	s_wait_dscnt 0x0
	v_add_nc_u32_e32 v8, v9, v8
	s_or_b32 exec_lo, exec_lo, s37
	s_and_saveexec_b32 s37, s27
	s_cbranch_execnz .LBB190_89
.LBB190_57:                             ;   in Loop: Header=BB190_29 Depth=1
	s_or_b32 exec_lo, exec_lo, s37
	s_and_saveexec_b32 s37, s28
	s_cbranch_execz .LBB190_90
.LBB190_58:                             ;   in Loop: Header=BB190_29 Depth=1
	ds_load_b32 v9, v1 offset:49264
	s_wait_dscnt 0x0
	v_add_nc_u32_e32 v8, v9, v8
	s_or_b32 exec_lo, exec_lo, s37
	s_and_saveexec_b32 s37, s29
	s_cbranch_execnz .LBB190_91
.LBB190_59:                             ;   in Loop: Header=BB190_29 Depth=1
	s_or_b32 exec_lo, exec_lo, s37
	s_and_saveexec_b32 s37, s30
	s_cbranch_execz .LBB190_92
.LBB190_60:                             ;   in Loop: Header=BB190_29 Depth=1
	ds_load_b32 v9, v1 offset:49272
	s_wait_dscnt 0x0
	v_add_nc_u32_e32 v8, v9, v8
	s_or_b32 exec_lo, exec_lo, s37
	s_and_saveexec_b32 s37, s31
	s_cbranch_execnz .LBB190_93
.LBB190_61:                             ;   in Loop: Header=BB190_29 Depth=1
	s_or_b32 exec_lo, exec_lo, s37
	s_and_saveexec_b32 s31, vcc_lo
	s_cbranch_execz .LBB190_28
	s_branch .LBB190_94
.LBB190_62:                             ;   in Loop: Header=BB190_29 Depth=1
	s_or_b32 exec_lo, exec_lo, s37
	s_and_saveexec_b32 s37, s1
	s_cbranch_execz .LBB190_31
.LBB190_63:                             ;   in Loop: Header=BB190_29 Depth=1
	ds_load_b32 v9, v1 offset:49156
	s_wait_dscnt 0x0
	v_add_nc_u32_e32 v8, v9, v8
	s_or_b32 exec_lo, exec_lo, s37
	s_and_saveexec_b32 s37, s2
	s_cbranch_execnz .LBB190_32
.LBB190_64:                             ;   in Loop: Header=BB190_29 Depth=1
	s_or_b32 exec_lo, exec_lo, s37
	s_and_saveexec_b32 s37, s3
	s_cbranch_execz .LBB190_33
.LBB190_65:                             ;   in Loop: Header=BB190_29 Depth=1
	ds_load_b32 v9, v1 offset:49164
	s_wait_dscnt 0x0
	v_add_nc_u32_e32 v8, v9, v8
	s_or_b32 exec_lo, exec_lo, s37
	s_and_saveexec_b32 s37, s4
	s_cbranch_execnz .LBB190_34
.LBB190_66:                             ;   in Loop: Header=BB190_29 Depth=1
	s_or_b32 exec_lo, exec_lo, s37
	s_and_saveexec_b32 s37, s5
	s_cbranch_execz .LBB190_35
.LBB190_67:                             ;   in Loop: Header=BB190_29 Depth=1
	ds_load_b32 v9, v1 offset:49172
	s_wait_dscnt 0x0
	v_add_nc_u32_e32 v8, v9, v8
	s_or_b32 exec_lo, exec_lo, s37
	s_and_saveexec_b32 s37, s6
	s_cbranch_execnz .LBB190_36
.LBB190_68:                             ;   in Loop: Header=BB190_29 Depth=1
	s_or_b32 exec_lo, exec_lo, s37
	s_and_saveexec_b32 s37, s7
	s_cbranch_execz .LBB190_37
.LBB190_69:                             ;   in Loop: Header=BB190_29 Depth=1
	ds_load_b32 v9, v1 offset:49180
	s_wait_dscnt 0x0
	v_add_nc_u32_e32 v8, v9, v8
	s_or_b32 exec_lo, exec_lo, s37
	s_and_saveexec_b32 s37, s8
	s_cbranch_execnz .LBB190_38
.LBB190_70:                             ;   in Loop: Header=BB190_29 Depth=1
	s_or_b32 exec_lo, exec_lo, s37
	s_and_saveexec_b32 s37, s9
	s_cbranch_execz .LBB190_39
.LBB190_71:                             ;   in Loop: Header=BB190_29 Depth=1
	ds_load_b32 v9, v1 offset:49188
	s_wait_dscnt 0x0
	v_add_nc_u32_e32 v8, v9, v8
	s_or_b32 exec_lo, exec_lo, s37
	s_and_saveexec_b32 s37, s10
	s_cbranch_execnz .LBB190_40
.LBB190_72:                             ;   in Loop: Header=BB190_29 Depth=1
	s_or_b32 exec_lo, exec_lo, s37
	s_and_saveexec_b32 s37, s11
	s_cbranch_execz .LBB190_41
.LBB190_73:                             ;   in Loop: Header=BB190_29 Depth=1
	ds_load_b32 v9, v1 offset:49196
	s_wait_dscnt 0x0
	v_add_nc_u32_e32 v8, v9, v8
	s_or_b32 exec_lo, exec_lo, s37
	s_and_saveexec_b32 s37, s12
	s_cbranch_execnz .LBB190_42
.LBB190_74:                             ;   in Loop: Header=BB190_29 Depth=1
	s_or_b32 exec_lo, exec_lo, s37
	s_and_saveexec_b32 s37, s13
	s_cbranch_execz .LBB190_43
.LBB190_75:                             ;   in Loop: Header=BB190_29 Depth=1
	ds_load_b32 v9, v1 offset:49204
	s_wait_dscnt 0x0
	v_add_nc_u32_e32 v8, v9, v8
	s_or_b32 exec_lo, exec_lo, s37
	s_and_saveexec_b32 s37, s14
	s_cbranch_execnz .LBB190_44
.LBB190_76:                             ;   in Loop: Header=BB190_29 Depth=1
	s_or_b32 exec_lo, exec_lo, s37
	s_and_saveexec_b32 s37, s15
	s_cbranch_execz .LBB190_45
.LBB190_77:                             ;   in Loop: Header=BB190_29 Depth=1
	ds_load_b32 v9, v1 offset:49212
	s_wait_dscnt 0x0
	v_add_nc_u32_e32 v8, v9, v8
	s_or_b32 exec_lo, exec_lo, s37
	s_and_saveexec_b32 s37, s16
	s_cbranch_execnz .LBB190_46
.LBB190_78:                             ;   in Loop: Header=BB190_29 Depth=1
	s_or_b32 exec_lo, exec_lo, s37
	s_and_saveexec_b32 s37, s17
	s_cbranch_execz .LBB190_47
.LBB190_79:                             ;   in Loop: Header=BB190_29 Depth=1
	ds_load_b32 v9, v1 offset:49220
	s_wait_dscnt 0x0
	v_add_nc_u32_e32 v8, v9, v8
	s_or_b32 exec_lo, exec_lo, s37
	s_and_saveexec_b32 s37, s18
	s_cbranch_execnz .LBB190_48
.LBB190_80:                             ;   in Loop: Header=BB190_29 Depth=1
	s_or_b32 exec_lo, exec_lo, s37
	s_and_saveexec_b32 s37, s19
	s_cbranch_execz .LBB190_49
.LBB190_81:                             ;   in Loop: Header=BB190_29 Depth=1
	ds_load_b32 v9, v1 offset:49228
	s_wait_dscnt 0x0
	v_add_nc_u32_e32 v8, v9, v8
	s_or_b32 exec_lo, exec_lo, s37
	s_and_saveexec_b32 s37, s20
	s_cbranch_execnz .LBB190_50
.LBB190_82:                             ;   in Loop: Header=BB190_29 Depth=1
	s_or_b32 exec_lo, exec_lo, s37
	s_and_saveexec_b32 s37, s21
	s_cbranch_execz .LBB190_51
.LBB190_83:                             ;   in Loop: Header=BB190_29 Depth=1
	ds_load_b32 v9, v1 offset:49236
	s_wait_dscnt 0x0
	v_add_nc_u32_e32 v8, v9, v8
	s_or_b32 exec_lo, exec_lo, s37
	s_and_saveexec_b32 s37, s22
	s_cbranch_execnz .LBB190_52
.LBB190_84:                             ;   in Loop: Header=BB190_29 Depth=1
	s_or_b32 exec_lo, exec_lo, s37
	s_and_saveexec_b32 s37, s23
	s_cbranch_execz .LBB190_53
.LBB190_85:                             ;   in Loop: Header=BB190_29 Depth=1
	ds_load_b32 v9, v1 offset:49244
	s_wait_dscnt 0x0
	v_add_nc_u32_e32 v8, v9, v8
	s_or_b32 exec_lo, exec_lo, s37
	s_and_saveexec_b32 s37, s24
	s_cbranch_execnz .LBB190_54
.LBB190_86:                             ;   in Loop: Header=BB190_29 Depth=1
	s_or_b32 exec_lo, exec_lo, s37
	s_and_saveexec_b32 s37, s25
	s_cbranch_execz .LBB190_55
.LBB190_87:                             ;   in Loop: Header=BB190_29 Depth=1
	ds_load_b32 v9, v1 offset:49252
	s_wait_dscnt 0x0
	v_add_nc_u32_e32 v8, v9, v8
	s_or_b32 exec_lo, exec_lo, s37
	s_and_saveexec_b32 s37, s26
	s_cbranch_execnz .LBB190_56
.LBB190_88:                             ;   in Loop: Header=BB190_29 Depth=1
	s_or_b32 exec_lo, exec_lo, s37
	s_and_saveexec_b32 s37, s27
	s_cbranch_execz .LBB190_57
.LBB190_89:                             ;   in Loop: Header=BB190_29 Depth=1
	ds_load_b32 v9, v1 offset:49260
	s_wait_dscnt 0x0
	v_add_nc_u32_e32 v8, v9, v8
	s_or_b32 exec_lo, exec_lo, s37
	s_and_saveexec_b32 s37, s28
	s_cbranch_execnz .LBB190_58
.LBB190_90:                             ;   in Loop: Header=BB190_29 Depth=1
	s_or_b32 exec_lo, exec_lo, s37
	s_and_saveexec_b32 s37, s29
	s_cbranch_execz .LBB190_59
.LBB190_91:                             ;   in Loop: Header=BB190_29 Depth=1
	ds_load_b32 v9, v1 offset:49268
	s_wait_dscnt 0x0
	v_add_nc_u32_e32 v8, v9, v8
	s_or_b32 exec_lo, exec_lo, s37
	s_and_saveexec_b32 s37, s30
	s_cbranch_execnz .LBB190_60
.LBB190_92:                             ;   in Loop: Header=BB190_29 Depth=1
	s_or_b32 exec_lo, exec_lo, s37
	s_and_saveexec_b32 s37, s31
	s_cbranch_execz .LBB190_61
.LBB190_93:                             ;   in Loop: Header=BB190_29 Depth=1
	s_delay_alu instid0(VALU_DEP_1) | instskip(SKIP_1) | instid1(VALU_DEP_2)
	v_add3_u32 v9, v6, -1, v8
	v_add_nc_u32_e32 v10, v6, v8
	v_lshl_add_u32 v9, v9, 2, 0
	s_delay_alu instid0(VALU_DEP_2)
	v_lshl_add_u32 v10, v10, 3, 0
	ds_store_b32 v9, v7
	ds_store_b64 v10, v[4:5] offset:16376
	s_or_b32 exec_lo, exec_lo, s37
	s_and_saveexec_b32 s31, vcc_lo
	s_cbranch_execz .LBB190_28
.LBB190_94:                             ;   in Loop: Header=BB190_29 Depth=1
	ds_store_b32 v1, v8 offset:49276
	s_branch .LBB190_28
.LBB190_95:                             ;   in Loop: Header=BB190_97 Depth=1
	s_or_b32 exec_lo, exec_lo, s5
.LBB190_96:                             ;   in Loop: Header=BB190_97 Depth=1
	s_delay_alu instid0(SALU_CYCLE_1) | instskip(SKIP_4) | instid1(VALU_DEP_1)
	s_or_b32 exec_lo, exec_lo, s4
	s_wait_loadcnt 0x0
	v_mul_f64_e32 v[6:7], v[2:3], v[6:7]
	v_lshl_add_u32 v1, v1, 3, 0
	v_add_nc_u64_e32 v[4:5], 0x400, v[4:5]
	v_cmp_le_i64_e32 vcc_lo, s[2:3], v[4:5]
	s_or_b32 s1, vcc_lo, s1
	ds_add_f64 v1, v[6:7] offset:16384
	s_and_not1_b32 exec_lo, exec_lo, s1
	s_cbranch_execz .LBB190_26
.LBB190_97:                             ; =>This Loop Header: Depth=1
                                        ;     Child Loop BB190_100 Depth 2
	v_lshl_add_u64 v[6:7], v[4:5], 2, s[38:39]
	s_mov_b32 s4, exec_lo
	global_load_b32 v1, v[6:7], off
	s_wait_xcnt 0x0
	v_lshl_add_u64 v[6:7], v[4:5], 3, s[40:41]
	global_load_b64 v[6:7], v[6:7], off
	s_wait_loadcnt 0x1
	v_subrev_nc_u32_e32 v8, s47, v1
	s_delay_alu instid0(VALU_DEP_1) | instskip(NEXT) | instid1(VALU_DEP_1)
	v_mul_lo_u32 v1, 0x89, v8
	v_and_b32_e32 v1, 0xfff, v1
	s_delay_alu instid0(VALU_DEP_1)
	v_lshl_add_u32 v9, v1, 2, 0
	ds_load_b32 v10, v9
	s_wait_dscnt 0x0
	s_wait_xcnt 0x0
	v_cmpx_ne_u32_e64 v10, v8
	s_cbranch_execz .LBB190_96
; %bb.98:                               ;   in Loop: Header=BB190_97 Depth=1
	s_mov_b32 s5, 0
	s_branch .LBB190_100
.LBB190_99:                             ;   in Loop: Header=BB190_100 Depth=2
	s_or_b32 exec_lo, exec_lo, s8
	s_delay_alu instid0(SALU_CYCLE_1) | instskip(NEXT) | instid1(SALU_CYCLE_1)
	s_and_b32 s6, exec_lo, s7
	s_or_b32 s5, s6, s5
	s_delay_alu instid0(SALU_CYCLE_1)
	s_and_not1_b32 exec_lo, exec_lo, s5
	s_cbranch_execz .LBB190_95
.LBB190_100:                            ;   Parent Loop BB190_97 Depth=1
                                        ; =>  This Inner Loop Header: Depth=2
	s_mov_b32 s6, 0
	s_mov_b32 s7, exec_lo
	v_cmpx_ne_u32_e64 s33, v10
	s_xor_b32 s7, exec_lo, s7
	s_cbranch_execz .LBB190_102
; %bb.101:                              ;   in Loop: Header=BB190_100 Depth=2
	v_add_nc_u32_e32 v1, 1, v1
	s_mov_b32 s6, exec_lo
                                        ; implicit-def: $vgpr9
	s_delay_alu instid0(VALU_DEP_1)
	v_and_b32_e32 v1, 0xfff, v1
	s_and_not1_saveexec_b32 s7, s7
	s_cbranch_execz .LBB190_104
	s_branch .LBB190_103
.LBB190_102:                            ;   in Loop: Header=BB190_100 Depth=2
	s_and_not1_saveexec_b32 s7, s7
	s_cbranch_execz .LBB190_104
.LBB190_103:                            ;   in Loop: Header=BB190_100 Depth=2
	v_mov_b32_e32 v10, s33
	s_and_not1_b32 s6, s6, exec_lo
	ds_cmpstore_rtn_b32 v9, v9, v8, v10
	s_wait_dscnt 0x0
	v_cmp_ne_u32_e32 vcc_lo, s33, v9
	s_and_b32 s8, vcc_lo, exec_lo
	s_delay_alu instid0(SALU_CYCLE_1)
	s_or_b32 s6, s6, s8
.LBB190_104:                            ;   in Loop: Header=BB190_100 Depth=2
	s_or_b32 exec_lo, exec_lo, s7
	s_mov_b32 s7, -1
                                        ; implicit-def: $vgpr9
                                        ; implicit-def: $vgpr10
	s_and_saveexec_b32 s8, s6
	s_cbranch_execz .LBB190_99
; %bb.105:                              ;   in Loop: Header=BB190_100 Depth=2
	v_lshl_add_u32 v9, v1, 2, 0
	ds_load_b32 v10, v9
	s_wait_dscnt 0x0
	v_cmp_eq_u32_e32 vcc_lo, v10, v8
	s_or_not1_b32 s7, vcc_lo, exec_lo
	s_branch .LBB190_99
.LBB190_106:
	s_or_b32 exec_lo, exec_lo, s36
	s_wait_kmcnt 0x0
	s_ashr_i32 s49, s48, 31
	s_delay_alu instid0(SALU_CYCLE_1) | instskip(NEXT) | instid1(SALU_CYCLE_1)
	s_lshl_b64 s[0:1], s[48:49], 3
	s_add_nc_u64 s[4:5], s[42:43], s[0:1]
	s_load_b128 s[0:3], s[4:5], 0x0
	s_wait_xcnt 0x0
	s_mov_b32 s4, exec_lo
	s_wait_kmcnt 0x0
	s_sub_co_i32 s3, s2, s0
	s_delay_alu instid0(SALU_CYCLE_1)
	v_cmpx_gt_i32_e64 s3, v0
	s_cbranch_execz .LBB190_116
; %bb.107:
	s_sub_co_i32 s4, s0, s2
	s_and_b32 s2, s3, 7
	s_cmp_lt_u32 s4, -7
	s_mov_b32 s47, 0
	s_cselect_b32 s4, -1, 0
	s_and_b32 s5, s3, -8
	s_cmp_lg_u32 s2, 0
	s_sub_nc_u64 s[0:1], s[0:1], s[46:47]
	s_cselect_b32 s6, -1, 0
	s_mov_b32 s7, 0
	s_branch .LBB190_109
.LBB190_108:                            ;   in Loop: Header=BB190_109 Depth=1
	v_add_nc_u32_e32 v0, 0x400, v0
	s_delay_alu instid0(VALU_DEP_2) | instskip(NEXT) | instid1(VALU_DEP_2)
	v_lshl_add_u64 v[4:5], v[4:5], 3, s[34:35]
	v_cmp_le_i32_e32 vcc_lo, s3, v0
	s_wait_dscnt 0x0
	global_store_b64 v[4:5], v[2:3], off
	s_or_b32 s7, vcc_lo, s7
	s_wait_xcnt 0x0
	s_and_not1_b32 exec_lo, exec_lo, s7
	s_cbranch_execz .LBB190_116
.LBB190_109:                            ; =>This Loop Header: Depth=1
                                        ;     Child Loop BB190_111 Depth 2
                                        ;     Child Loop BB190_115 Depth 2
	v_lshlrev_b32_e32 v1, 2, v0
	v_mov_b64_e32 v[4:5], s[0:1]
	s_and_not1_b32 vcc_lo, exec_lo, s4
	s_mov_b32 s8, 0
	s_delay_alu instid0(VALU_DEP_2) | instskip(NEXT) | instid1(VALU_DEP_1)
	v_add_nc_u32_e32 v2, 0, v1
	v_add_nc_u32_e32 v3, v2, v1
	ds_load_b32 v1, v2
	ds_load_b64 v[2:3], v3 offset:16384
	s_cbranch_vccnz .LBB190_113
; %bb.110:                              ;   in Loop: Header=BB190_109 Depth=1
	v_mov_b64_e32 v[4:5], s[0:1]
	s_mov_b32 s9, 0
.LBB190_111:                            ;   Parent Loop BB190_109 Depth=1
                                        ; =>  This Inner Loop Header: Depth=2
	s_delay_alu instid0(SALU_CYCLE_1)
	v_dual_mov_b32 v10, s9 :: v_dual_mov_b32 v11, s47
	v_mov_b32_e32 v17, s47
	s_add_co_i32 s8, s8, 8
	s_add_co_i32 s9, s9, 32
	ds_load_2addr_b32 v[6:7], v10 offset1:1
	ds_load_2addr_b32 v[8:9], v10 offset0:2 offset1:3
	ds_load_2addr_b32 v[12:13], v10 offset0:4 offset1:5
	;; [unrolled: 1-line block ×3, first 2 shown]
	s_cmp_eq_u32 s5, s8
	s_wait_dscnt 0x3
	v_cmp_gt_i32_e32 vcc_lo, v1, v6
	v_cndmask_b32_e64 v10, 0, 1, vcc_lo
	v_cmp_gt_i32_e32 vcc_lo, v1, v7
	v_mov_b32_e32 v7, s47
	s_delay_alu instid0(VALU_DEP_3) | instskip(SKIP_4) | instid1(VALU_DEP_3)
	v_add_nc_u64_e32 v[4:5], v[4:5], v[10:11]
	v_cndmask_b32_e64 v16, 0, 1, vcc_lo
	s_wait_dscnt 0x2
	v_cmp_gt_i32_e32 vcc_lo, v1, v8
	v_cndmask_b32_e64 v6, 0, 1, vcc_lo
	v_add_nc_u64_e32 v[4:5], v[4:5], v[16:17]
	v_cmp_gt_i32_e32 vcc_lo, v1, v9
	v_mov_b32_e32 v9, s47
	v_cndmask_b32_e64 v10, 0, 1, vcc_lo
	s_delay_alu instid0(VALU_DEP_4) | instskip(SKIP_3) | instid1(VALU_DEP_3)
	v_add_nc_u64_e32 v[4:5], v[4:5], v[6:7]
	s_wait_dscnt 0x1
	v_cmp_gt_i32_e32 vcc_lo, v1, v12
	v_cndmask_b32_e64 v6, 0, 1, vcc_lo
	v_add_nc_u64_e32 v[4:5], v[4:5], v[10:11]
	v_cmp_gt_i32_e32 vcc_lo, v1, v13
	v_cndmask_b32_e64 v8, 0, 1, vcc_lo
	s_delay_alu instid0(VALU_DEP_3) | instskip(SKIP_3) | instid1(VALU_DEP_3)
	v_add_nc_u64_e32 v[4:5], v[4:5], v[6:7]
	s_wait_dscnt 0x0
	v_cmp_gt_i32_e32 vcc_lo, v1, v14
	v_cndmask_b32_e64 v6, 0, 1, vcc_lo
	v_add_nc_u64_e32 v[4:5], v[4:5], v[8:9]
	v_cmp_gt_i32_e32 vcc_lo, v1, v15
	v_cndmask_b32_e64 v8, 0, 1, vcc_lo
	s_delay_alu instid0(VALU_DEP_3) | instskip(NEXT) | instid1(VALU_DEP_1)
	v_add_nc_u64_e32 v[4:5], v[4:5], v[6:7]
	v_add_nc_u64_e32 v[4:5], v[4:5], v[8:9]
	s_cbranch_scc0 .LBB190_111
; %bb.112:                              ;   in Loop: Header=BB190_109 Depth=1
	s_mov_b32 s8, s5
.LBB190_113:                            ;   in Loop: Header=BB190_109 Depth=1
	s_and_not1_b32 vcc_lo, exec_lo, s6
	s_cbranch_vccnz .LBB190_108
; %bb.114:                              ;   in Loop: Header=BB190_109 Depth=1
	s_lshl_b32 s8, s8, 2
	s_mov_b32 s9, s2
	s_add_co_i32 s8, s8, 0
.LBB190_115:                            ;   Parent Loop BB190_109 Depth=1
                                        ; =>  This Inner Loop Header: Depth=2
	s_delay_alu instid0(SALU_CYCLE_1)
	v_dual_mov_b32 v6, s8 :: v_dual_mov_b32 v7, s47
	s_add_co_i32 s9, s9, -1
	s_add_co_i32 s8, s8, 4
	s_cmp_lg_u32 s9, 0
	ds_load_b32 v6, v6
	s_wait_dscnt 0x0
	v_cmp_gt_i32_e32 vcc_lo, v1, v6
	v_cndmask_b32_e64 v6, 0, 1, vcc_lo
	s_delay_alu instid0(VALU_DEP_1)
	v_add_nc_u64_e32 v[4:5], v[4:5], v[6:7]
	s_cbranch_scc1 .LBB190_115
	s_branch .LBB190_108
.LBB190_116:
	s_endpgm
	.section	.rodata,"a",@progbits
	.p2align	6, 0x0
	.amdhsa_kernel _ZN9rocsparseL41csrgemm_numeric_fill_block_per_row_kernelILj1024ELj64ELj4096ELj137ELj32ElidEEvT5_PKS1_S3_NS_24const_host_device_scalarIT6_EEPKT4_S3_PKS5_S9_S3_SB_S6_S9_S3_SB_S9_S3_PS5_21rocsparse_index_base_SD_SD_SD_bbb
		.amdhsa_group_segment_fixed_size 0
		.amdhsa_private_segment_fixed_size 0
		.amdhsa_kernarg_size 156
		.amdhsa_user_sgpr_count 2
		.amdhsa_user_sgpr_dispatch_ptr 0
		.amdhsa_user_sgpr_queue_ptr 0
		.amdhsa_user_sgpr_kernarg_segment_ptr 1
		.amdhsa_user_sgpr_dispatch_id 0
		.amdhsa_user_sgpr_kernarg_preload_length 0
		.amdhsa_user_sgpr_kernarg_preload_offset 0
		.amdhsa_user_sgpr_private_segment_size 0
		.amdhsa_wavefront_size32 1
		.amdhsa_uses_dynamic_stack 0
		.amdhsa_enable_private_segment 0
		.amdhsa_system_sgpr_workgroup_id_x 1
		.amdhsa_system_sgpr_workgroup_id_y 0
		.amdhsa_system_sgpr_workgroup_id_z 0
		.amdhsa_system_sgpr_workgroup_info 0
		.amdhsa_system_vgpr_workitem_id 0
		.amdhsa_next_free_vgpr 24
		.amdhsa_next_free_sgpr 50
		.amdhsa_named_barrier_count 0
		.amdhsa_reserve_vcc 1
		.amdhsa_float_round_mode_32 0
		.amdhsa_float_round_mode_16_64 0
		.amdhsa_float_denorm_mode_32 3
		.amdhsa_float_denorm_mode_16_64 3
		.amdhsa_fp16_overflow 0
		.amdhsa_memory_ordered 1
		.amdhsa_forward_progress 1
		.amdhsa_inst_pref_size 32
		.amdhsa_round_robin_scheduling 0
		.amdhsa_exception_fp_ieee_invalid_op 0
		.amdhsa_exception_fp_denorm_src 0
		.amdhsa_exception_fp_ieee_div_zero 0
		.amdhsa_exception_fp_ieee_overflow 0
		.amdhsa_exception_fp_ieee_underflow 0
		.amdhsa_exception_fp_ieee_inexact 0
		.amdhsa_exception_int_div_zero 0
	.end_amdhsa_kernel
	.section	.text._ZN9rocsparseL41csrgemm_numeric_fill_block_per_row_kernelILj1024ELj64ELj4096ELj137ELj32ElidEEvT5_PKS1_S3_NS_24const_host_device_scalarIT6_EEPKT4_S3_PKS5_S9_S3_SB_S6_S9_S3_SB_S9_S3_PS5_21rocsparse_index_base_SD_SD_SD_bbb,"axG",@progbits,_ZN9rocsparseL41csrgemm_numeric_fill_block_per_row_kernelILj1024ELj64ELj4096ELj137ELj32ElidEEvT5_PKS1_S3_NS_24const_host_device_scalarIT6_EEPKT4_S3_PKS5_S9_S3_SB_S6_S9_S3_SB_S9_S3_PS5_21rocsparse_index_base_SD_SD_SD_bbb,comdat
.Lfunc_end190:
	.size	_ZN9rocsparseL41csrgemm_numeric_fill_block_per_row_kernelILj1024ELj64ELj4096ELj137ELj32ElidEEvT5_PKS1_S3_NS_24const_host_device_scalarIT6_EEPKT4_S3_PKS5_S9_S3_SB_S6_S9_S3_SB_S9_S3_PS5_21rocsparse_index_base_SD_SD_SD_bbb, .Lfunc_end190-_ZN9rocsparseL41csrgemm_numeric_fill_block_per_row_kernelILj1024ELj64ELj4096ELj137ELj32ElidEEvT5_PKS1_S3_NS_24const_host_device_scalarIT6_EEPKT4_S3_PKS5_S9_S3_SB_S6_S9_S3_SB_S9_S3_PS5_21rocsparse_index_base_SD_SD_SD_bbb
                                        ; -- End function
	.set _ZN9rocsparseL41csrgemm_numeric_fill_block_per_row_kernelILj1024ELj64ELj4096ELj137ELj32ElidEEvT5_PKS1_S3_NS_24const_host_device_scalarIT6_EEPKT4_S3_PKS5_S9_S3_SB_S6_S9_S3_SB_S9_S3_PS5_21rocsparse_index_base_SD_SD_SD_bbb.num_vgpr, 24
	.set _ZN9rocsparseL41csrgemm_numeric_fill_block_per_row_kernelILj1024ELj64ELj4096ELj137ELj32ElidEEvT5_PKS1_S3_NS_24const_host_device_scalarIT6_EEPKT4_S3_PKS5_S9_S3_SB_S6_S9_S3_SB_S9_S3_PS5_21rocsparse_index_base_SD_SD_SD_bbb.num_agpr, 0
	.set _ZN9rocsparseL41csrgemm_numeric_fill_block_per_row_kernelILj1024ELj64ELj4096ELj137ELj32ElidEEvT5_PKS1_S3_NS_24const_host_device_scalarIT6_EEPKT4_S3_PKS5_S9_S3_SB_S6_S9_S3_SB_S9_S3_PS5_21rocsparse_index_base_SD_SD_SD_bbb.numbered_sgpr, 50
	.set _ZN9rocsparseL41csrgemm_numeric_fill_block_per_row_kernelILj1024ELj64ELj4096ELj137ELj32ElidEEvT5_PKS1_S3_NS_24const_host_device_scalarIT6_EEPKT4_S3_PKS5_S9_S3_SB_S6_S9_S3_SB_S9_S3_PS5_21rocsparse_index_base_SD_SD_SD_bbb.num_named_barrier, 0
	.set _ZN9rocsparseL41csrgemm_numeric_fill_block_per_row_kernelILj1024ELj64ELj4096ELj137ELj32ElidEEvT5_PKS1_S3_NS_24const_host_device_scalarIT6_EEPKT4_S3_PKS5_S9_S3_SB_S6_S9_S3_SB_S9_S3_PS5_21rocsparse_index_base_SD_SD_SD_bbb.private_seg_size, 0
	.set _ZN9rocsparseL41csrgemm_numeric_fill_block_per_row_kernelILj1024ELj64ELj4096ELj137ELj32ElidEEvT5_PKS1_S3_NS_24const_host_device_scalarIT6_EEPKT4_S3_PKS5_S9_S3_SB_S6_S9_S3_SB_S9_S3_PS5_21rocsparse_index_base_SD_SD_SD_bbb.uses_vcc, 1
	.set _ZN9rocsparseL41csrgemm_numeric_fill_block_per_row_kernelILj1024ELj64ELj4096ELj137ELj32ElidEEvT5_PKS1_S3_NS_24const_host_device_scalarIT6_EEPKT4_S3_PKS5_S9_S3_SB_S6_S9_S3_SB_S9_S3_PS5_21rocsparse_index_base_SD_SD_SD_bbb.uses_flat_scratch, 0
	.set _ZN9rocsparseL41csrgemm_numeric_fill_block_per_row_kernelILj1024ELj64ELj4096ELj137ELj32ElidEEvT5_PKS1_S3_NS_24const_host_device_scalarIT6_EEPKT4_S3_PKS5_S9_S3_SB_S6_S9_S3_SB_S9_S3_PS5_21rocsparse_index_base_SD_SD_SD_bbb.has_dyn_sized_stack, 0
	.set _ZN9rocsparseL41csrgemm_numeric_fill_block_per_row_kernelILj1024ELj64ELj4096ELj137ELj32ElidEEvT5_PKS1_S3_NS_24const_host_device_scalarIT6_EEPKT4_S3_PKS5_S9_S3_SB_S6_S9_S3_SB_S9_S3_PS5_21rocsparse_index_base_SD_SD_SD_bbb.has_recursion, 0
	.set _ZN9rocsparseL41csrgemm_numeric_fill_block_per_row_kernelILj1024ELj64ELj4096ELj137ELj32ElidEEvT5_PKS1_S3_NS_24const_host_device_scalarIT6_EEPKT4_S3_PKS5_S9_S3_SB_S6_S9_S3_SB_S9_S3_PS5_21rocsparse_index_base_SD_SD_SD_bbb.has_indirect_call, 0
	.section	.AMDGPU.csdata,"",@progbits
; Kernel info:
; codeLenInByte = 4048
; TotalNumSgprs: 52
; NumVgprs: 24
; ScratchSize: 0
; MemoryBound: 0
; FloatMode: 240
; IeeeMode: 1
; LDSByteSize: 0 bytes/workgroup (compile time only)
; SGPRBlocks: 0
; VGPRBlocks: 1
; NumSGPRsForWavesPerEU: 52
; NumVGPRsForWavesPerEU: 24
; NamedBarCnt: 0
; Occupancy: 16
; WaveLimiterHint : 1
; COMPUTE_PGM_RSRC2:SCRATCH_EN: 0
; COMPUTE_PGM_RSRC2:USER_SGPR: 2
; COMPUTE_PGM_RSRC2:TRAP_HANDLER: 0
; COMPUTE_PGM_RSRC2:TGID_X_EN: 1
; COMPUTE_PGM_RSRC2:TGID_Y_EN: 0
; COMPUTE_PGM_RSRC2:TGID_Z_EN: 0
; COMPUTE_PGM_RSRC2:TIDIG_COMP_CNT: 0
	.section	.text._ZN9rocsparseL41csrgemm_numeric_fill_block_per_row_kernelILj1024ELj64ELj4096ELj137ELj64ElidEEvT5_PKS1_S3_NS_24const_host_device_scalarIT6_EEPKT4_S3_PKS5_S9_S3_SB_S6_S9_S3_SB_S9_S3_PS5_21rocsparse_index_base_SD_SD_SD_bbb,"axG",@progbits,_ZN9rocsparseL41csrgemm_numeric_fill_block_per_row_kernelILj1024ELj64ELj4096ELj137ELj64ElidEEvT5_PKS1_S3_NS_24const_host_device_scalarIT6_EEPKT4_S3_PKS5_S9_S3_SB_S6_S9_S3_SB_S9_S3_PS5_21rocsparse_index_base_SD_SD_SD_bbb,comdat
	.globl	_ZN9rocsparseL41csrgemm_numeric_fill_block_per_row_kernelILj1024ELj64ELj4096ELj137ELj64ElidEEvT5_PKS1_S3_NS_24const_host_device_scalarIT6_EEPKT4_S3_PKS5_S9_S3_SB_S6_S9_S3_SB_S9_S3_PS5_21rocsparse_index_base_SD_SD_SD_bbb ; -- Begin function _ZN9rocsparseL41csrgemm_numeric_fill_block_per_row_kernelILj1024ELj64ELj4096ELj137ELj64ElidEEvT5_PKS1_S3_NS_24const_host_device_scalarIT6_EEPKT4_S3_PKS5_S9_S3_SB_S6_S9_S3_SB_S9_S3_PS5_21rocsparse_index_base_SD_SD_SD_bbb
	.p2align	8
	.type	_ZN9rocsparseL41csrgemm_numeric_fill_block_per_row_kernelILj1024ELj64ELj4096ELj137ELj64ElidEEvT5_PKS1_S3_NS_24const_host_device_scalarIT6_EEPKT4_S3_PKS5_S9_S3_SB_S6_S9_S3_SB_S9_S3_PS5_21rocsparse_index_base_SD_SD_SD_bbb,@function
_ZN9rocsparseL41csrgemm_numeric_fill_block_per_row_kernelILj1024ELj64ELj4096ELj137ELj64ElidEEvT5_PKS1_S3_NS_24const_host_device_scalarIT6_EEPKT4_S3_PKS5_S9_S3_SB_S6_S9_S3_SB_S9_S3_PS5_21rocsparse_index_base_SD_SD_SD_bbb: ; @_ZN9rocsparseL41csrgemm_numeric_fill_block_per_row_kernelILj1024ELj64ELj4096ELj137ELj64ElidEEvT5_PKS1_S3_NS_24const_host_device_scalarIT6_EEPKT4_S3_PKS5_S9_S3_SB_S6_S9_S3_SB_S9_S3_PS5_21rocsparse_index_base_SD_SD_SD_bbb
; %bb.0:
	s_clause 0x3
	s_load_b32 s6, s[0:1], 0x98
	s_load_b64 s[4:5], s[0:1], 0x18
	s_load_b128 s[20:23], s[0:1], 0x88
	s_load_b64 s[2:3], s[0:1], 0x50
	s_wait_kmcnt 0x0
	s_bitcmp1_b32 s6, 0
	s_cselect_b32 s37, -1, 0
	s_bitcmp1_b32 s6, 16
	s_cselect_b32 s7, -1, 0
	s_xor_b32 s8, s37, -1
	s_delay_alu instid0(SALU_CYCLE_1)
	s_or_b32 s10, s7, s8
	s_and_b32 s8, s37, exec_lo
	s_cselect_b32 s9, s5, 0
	s_cselect_b32 s8, s4, 0
	s_and_b32 vcc_lo, exec_lo, s10
	v_mov_b64_e32 v[6:7], s[8:9]
	s_cbranch_vccnz .LBB191_2
; %bb.1:
	v_mov_b32_e32 v1, 0
	flat_load_b64 v[6:7], v1, s[4:5]
.LBB191_2:
	s_load_b128 s[28:31], s[0:1], 0x8
	s_bitcmp1_b32 s6, 8
	s_cselect_b32 s36, -1, 0
	s_delay_alu instid0(SALU_CYCLE_1) | instskip(NEXT) | instid1(SALU_CYCLE_1)
	s_xor_b32 s4, s36, -1
	s_or_b32 s6, s7, s4
	s_and_b32 s4, s36, exec_lo
	s_cselect_b32 s5, s3, 0
	s_cselect_b32 s4, s2, 0
	s_and_b32 vcc_lo, exec_lo, s6
	v_mov_b64_e32 v[2:3], s[4:5]
	s_cbranch_vccnz .LBB191_4
; %bb.3:
	v_mov_b32_e32 v1, 0
	flat_load_b64 v[2:3], v1, s[2:3]
.LBB191_4:
	s_clause 0x4
	s_load_b32 s33, s[0:1], 0x0
	s_load_b64 s[34:35], s[0:1], 0x80
	s_load_b256 s[12:19], s[0:1], 0x58
	s_load_b128 s[24:27], s[0:1], 0x40
	s_load_b256 s[4:11], s[0:1], 0x20
	v_or_b32_e32 v21, 0xfffffc00, v0
	v_lshlrev_b32_e32 v1, 3, v0
	v_lshl_add_u32 v20, v0, 2, 0
	v_mov_b64_e32 v[4:5], 0
	s_wait_xcnt 0x0
	s_mov_b32 s0, 0
	v_mov_b32_e32 v8, v21
	v_add3_u32 v22, v1, 0, 0x4000
	s_delay_alu instid0(VALU_DEP_1)
	v_dual_mov_b32 v1, v20 :: v_dual_mov_b32 v10, v22
	s_wait_kmcnt 0x0
	v_mov_b32_e32 v9, s33
.LBB191_5:                              ; =>This Inner Loop Header: Depth=1
	v_add_nc_u32_e32 v8, 0x400, v8
	ds_store_b32 v1, v9
	ds_store_b64 v10, v[4:5]
	v_add_nc_u32_e32 v10, 0x2000, v10
	v_add_nc_u32_e32 v1, 0x1000, v1
	v_cmp_lt_u32_e32 vcc_lo, 0xbff, v8
	s_or_b32 s0, vcc_lo, s0
	s_delay_alu instid0(SALU_CYCLE_1)
	s_and_not1_b32 exec_lo, exec_lo, s0
	s_cbranch_execnz .LBB191_5
; %bb.6:
	s_or_b32 exec_lo, exec_lo, s0
	s_wait_loadcnt_dscnt 0x0
	s_barrier_signal -1
	s_barrier_wait -1
	s_load_b32 s0, s[28:29], 0x0
	s_bfe_u32 s1, ttmp6, 0x4000c
	s_and_b32 s2, ttmp6, 15
	s_add_co_i32 s1, s1, 1
	s_getreg_b32 s3, hwreg(HW_REG_IB_STS2, 6, 4)
	s_mul_i32 s1, ttmp9, s1
	v_lshrrev_b32_e32 v4, 6, v0
	s_add_co_i32 s2, s2, s1
	s_cmp_eq_u32 s3, 0
	s_cselect_b32 s1, ttmp9, s2
	s_and_b32 vcc_lo, s37, exec_lo
	s_wait_kmcnt 0x0
	s_add_co_i32 s0, s0, s1
	s_mov_b32 s1, 0
	s_load_b32 s28, s[30:31], s0 offset:0x0 scale_offset
	s_cbranch_vccz .LBB191_24
; %bb.7:
	s_wait_kmcnt 0x0
	s_ashr_i32 s29, s28, 31
	v_mov_b32_e32 v5, 0
	s_lshl_b64 s[2:3], s[28:29], 3
	s_mov_b32 s0, s20
	s_add_nc_u64 s[2:3], s[4:5], s[2:3]
	s_mov_b32 s4, exec_lo
	s_load_b128 s[40:43], s[2:3], 0x0
	v_sub_nc_u64_e64 v[8:9], v[4:5], s[0:1]
	s_wait_kmcnt 0x0
	s_delay_alu instid0(VALU_DEP_1)
	v_add_nc_u64_e32 v[8:9], s[40:41], v[8:9]
	s_sub_nc_u64 s[0:1], s[42:43], s[0:1]
	s_delay_alu instid0(VALU_DEP_1) | instid1(SALU_CYCLE_1)
	v_cmpx_gt_i64_e64 s[0:1], v[8:9]
	s_cbranch_execz .LBB191_23
; %bb.8:
	v_dual_mov_b32 v11, v5 :: v_dual_bitop2_b32 v10, 63, v0 bitop3:0x40
	s_mov_b32 s3, 0
	s_mov_b32 s2, s21
	;; [unrolled: 1-line block ×3, first 2 shown]
	s_delay_alu instid0(VALU_DEP_1)
	v_sub_nc_u64_e64 v[10:11], v[10:11], s[2:3]
	s_branch .LBB191_10
.LBB191_9:                              ;   in Loop: Header=BB191_10 Depth=1
	s_or_b32 exec_lo, exec_lo, s29
	v_add_nc_u64_e32 v[8:9], 16, v[8:9]
	s_delay_alu instid0(VALU_DEP_1) | instskip(SKIP_1) | instid1(SALU_CYCLE_1)
	v_cmp_le_i64_e32 vcc_lo, s[0:1], v[8:9]
	s_or_b32 s5, vcc_lo, s5
	s_and_not1_b32 exec_lo, exec_lo, s5
	s_cbranch_execz .LBB191_23
.LBB191_10:                             ; =>This Loop Header: Depth=1
                                        ;     Child Loop BB191_14 Depth 2
                                        ;       Child Loop BB191_17 Depth 3
	v_lshl_add_u64 v[12:13], v[8:9], 2, s[6:7]
	s_mov_b32 s29, exec_lo
	global_load_b32 v1, v[12:13], off
	s_wait_loadcnt 0x0
	s_wait_xcnt 0x0
	v_subrev_nc_u32_e32 v12, s20, v1
	s_delay_alu instid0(VALU_DEP_1) | instskip(NEXT) | instid1(VALU_DEP_1)
	v_ashrrev_i32_e32 v13, 31, v12
	v_lshl_add_u64 v[12:13], v[12:13], 3, s[10:11]
	global_load_b128 v[14:17], v[12:13], off
	s_wait_loadcnt 0x0
	s_wait_xcnt 0x0
	v_sub_nc_u64_e64 v[12:13], v[16:17], s[2:3]
	v_add_nc_u64_e32 v[14:15], v[14:15], v[10:11]
	s_delay_alu instid0(VALU_DEP_1)
	v_cmpx_lt_i64_e64 v[14:15], v[12:13]
	s_cbranch_execz .LBB191_9
; %bb.11:                               ;   in Loop: Header=BB191_10 Depth=1
	v_lshl_add_u64 v[16:17], v[8:9], 3, s[8:9]
	s_mov_b32 s30, 0
	global_load_b64 v[16:17], v[16:17], off
	s_wait_loadcnt 0x0
	s_wait_xcnt 0x0
	v_mul_f64_e32 v[16:17], v[6:7], v[16:17]
	s_branch .LBB191_14
.LBB191_12:                             ;   in Loop: Header=BB191_14 Depth=2
	s_or_b32 exec_lo, exec_lo, s37
.LBB191_13:                             ;   in Loop: Header=BB191_14 Depth=2
	s_delay_alu instid0(SALU_CYCLE_1) | instskip(SKIP_4) | instid1(VALU_DEP_1)
	s_or_b32 exec_lo, exec_lo, s31
	s_wait_loadcnt 0x0
	v_mul_f64_e32 v[18:19], v[16:17], v[18:19]
	v_lshl_add_u32 v1, v1, 3, 0
	v_add_nc_u64_e32 v[14:15], 64, v[14:15]
	v_cmp_ge_i64_e32 vcc_lo, v[14:15], v[12:13]
	s_or_b32 s30, vcc_lo, s30
	ds_add_f64 v1, v[18:19] offset:16384
	s_and_not1_b32 exec_lo, exec_lo, s30
	s_cbranch_execz .LBB191_9
.LBB191_14:                             ;   Parent Loop BB191_10 Depth=1
                                        ; =>  This Loop Header: Depth=2
                                        ;       Child Loop BB191_17 Depth 3
	v_lshl_add_u64 v[18:19], v[14:15], 2, s[24:25]
	s_mov_b32 s31, exec_lo
	global_load_b32 v1, v[18:19], off
	s_wait_xcnt 0x0
	v_lshl_add_u64 v[18:19], v[14:15], 3, s[26:27]
	global_load_b64 v[18:19], v[18:19], off
	s_wait_loadcnt 0x1
	v_subrev_nc_u32_e32 v5, s21, v1
	s_delay_alu instid0(VALU_DEP_1) | instskip(NEXT) | instid1(VALU_DEP_1)
	v_mul_lo_u32 v1, 0x89, v5
	v_and_b32_e32 v1, 0xfff, v1
	s_delay_alu instid0(VALU_DEP_1)
	v_lshl_add_u32 v23, v1, 2, 0
	ds_load_b32 v24, v23
	s_wait_dscnt 0x0
	s_wait_xcnt 0x0
	v_cmpx_ne_u32_e64 v24, v5
	s_cbranch_execz .LBB191_13
; %bb.15:                               ;   in Loop: Header=BB191_14 Depth=2
	s_mov_b32 s37, 0
	s_branch .LBB191_17
.LBB191_16:                             ;   in Loop: Header=BB191_17 Depth=3
	s_or_b32 exec_lo, exec_lo, s40
	s_delay_alu instid0(SALU_CYCLE_1) | instskip(NEXT) | instid1(SALU_CYCLE_1)
	s_and_b32 s38, exec_lo, s39
	s_or_b32 s37, s38, s37
	s_delay_alu instid0(SALU_CYCLE_1)
	s_and_not1_b32 exec_lo, exec_lo, s37
	s_cbranch_execz .LBB191_12
.LBB191_17:                             ;   Parent Loop BB191_10 Depth=1
                                        ;     Parent Loop BB191_14 Depth=2
                                        ; =>    This Inner Loop Header: Depth=3
	s_mov_b32 s38, 0
	s_mov_b32 s39, exec_lo
	v_cmpx_ne_u32_e64 s33, v24
	s_xor_b32 s39, exec_lo, s39
	s_cbranch_execz .LBB191_19
; %bb.18:                               ;   in Loop: Header=BB191_17 Depth=3
	v_add_nc_u32_e32 v1, 1, v1
	s_mov_b32 s38, exec_lo
                                        ; implicit-def: $vgpr23
	s_delay_alu instid0(VALU_DEP_1)
	v_and_b32_e32 v1, 0xfff, v1
	s_and_not1_saveexec_b32 s39, s39
	s_cbranch_execz .LBB191_21
	s_branch .LBB191_20
.LBB191_19:                             ;   in Loop: Header=BB191_17 Depth=3
	s_and_not1_saveexec_b32 s39, s39
	s_cbranch_execz .LBB191_21
.LBB191_20:                             ;   in Loop: Header=BB191_17 Depth=3
	v_mov_b32_e32 v24, s33
	s_and_not1_b32 s38, s38, exec_lo
	ds_cmpstore_rtn_b32 v23, v23, v5, v24
	s_wait_dscnt 0x0
	v_cmp_ne_u32_e32 vcc_lo, s33, v23
	s_and_b32 s40, vcc_lo, exec_lo
	s_delay_alu instid0(SALU_CYCLE_1)
	s_or_b32 s38, s38, s40
.LBB191_21:                             ;   in Loop: Header=BB191_17 Depth=3
	s_or_b32 exec_lo, exec_lo, s39
	s_mov_b32 s39, -1
                                        ; implicit-def: $vgpr23
                                        ; implicit-def: $vgpr24
	s_and_saveexec_b32 s40, s38
	s_cbranch_execz .LBB191_16
; %bb.22:                               ;   in Loop: Header=BB191_17 Depth=3
	v_lshl_add_u32 v23, v1, 2, 0
	ds_load_b32 v24, v23
	s_wait_dscnt 0x0
	v_cmp_eq_u32_e32 vcc_lo, v24, v5
	s_or_not1_b32 s39, vcc_lo, exec_lo
	s_branch .LBB191_16
.LBB191_23:
	s_or_b32 exec_lo, exec_lo, s4
.LBB191_24:
	s_delay_alu instid0(SALU_CYCLE_1)
	s_and_not1_b32 vcc_lo, exec_lo, s36
	s_cbranch_vccnz .LBB191_27
; %bb.25:
	s_wait_kmcnt 0x0
	s_ashr_i32 s29, s28, 31
	v_mov_b32_e32 v1, 0
	s_lshl_b64 s[0:1], s[28:29], 3
	s_delay_alu instid0(SALU_CYCLE_1) | instskip(SKIP_4) | instid1(SALU_CYCLE_1)
	s_add_nc_u64 s[0:1], s[12:13], s[0:1]
	s_load_b128 s[4:7], s[0:1], 0x0
	s_wait_xcnt 0x0
	s_mov_b32 s1, 0
	s_mov_b32 s0, s23
	v_sub_nc_u64_e64 v[6:7], v[0:1], s[0:1]
	s_wait_kmcnt 0x0
	s_delay_alu instid0(VALU_DEP_1) | instskip(SKIP_2) | instid1(VALU_DEP_1)
	v_add_nc_u64_e32 v[6:7], s[4:5], v[6:7]
	s_sub_nc_u64 s[2:3], s[6:7], s[0:1]
	s_mov_b32 s0, exec_lo
	v_cmpx_gt_i64_e64 s[2:3], v[6:7]
	s_cbranch_execnz .LBB191_65
.LBB191_26:
	s_or_b32 exec_lo, exec_lo, s0
.LBB191_27:
	v_mbcnt_lo_u32_b32 v2, -1, 0
	v_mov_b32_e32 v1, 0
	v_lshl_add_u32 v3, v4, 2, 0
	s_wait_xcnt 0x0
	v_cmp_lt_u32_e64 s0, 63, v0
	v_cmp_lt_u32_e64 s1, 0x7f, v0
	v_xor_b32_e32 v2, 31, v2
	v_cmp_lt_u32_e64 s2, 0xbf, v0
	v_cmp_lt_u32_e64 s3, 0xff, v0
	;; [unrolled: 1-line block ×4, first 2 shown]
	v_lshrrev_b32_e64 v2, v2, -1
	v_cmp_lt_u32_e64 s6, 0x1bf, v0
	v_cmp_lt_u32_e64 s7, 0x1ff, v0
	;; [unrolled: 1-line block ×9, first 2 shown]
	v_mov_b32_e32 v6, 0
	s_mov_b32 s16, 0
	s_wait_dscnt 0x0
	v_cmp_eq_u32_e32 vcc_lo, 0x3ff, v0
	s_barrier_signal -1
	s_barrier_wait -1
	s_branch .LBB191_29
.LBB191_28:                             ;   in Loop: Header=BB191_29 Depth=1
	s_or_b32 exec_lo, exec_lo, s15
	s_wait_dscnt 0x0
	s_barrier_signal -1
	s_barrier_wait -1
	ds_load_b32 v4, v1 offset:49212
	v_add_nc_u32_e32 v21, 0x400, v21
	v_add_nc_u32_e32 v22, 0x2000, v22
	;; [unrolled: 1-line block ×3, first 2 shown]
	s_delay_alu instid0(VALU_DEP_3)
	v_cmp_lt_u32_e64 s15, 0xbff, v21
	s_or_b32 s16, s15, s16
	s_wait_dscnt 0x0
	v_add_nc_u32_e32 v6, v4, v6
	s_and_not1_b32 exec_lo, exec_lo, s16
	s_cbranch_execz .LBB191_74
.LBB191_29:                             ; =>This Inner Loop Header: Depth=1
	ds_load_b32 v7, v20
	ds_load_b64 v[4:5], v22
	s_wait_dscnt 0x0
	s_barrier_signal -1
	s_barrier_wait -1
	v_cmp_gt_i32_e64 s15, s33, v7
	s_bcnt1_i32_b32 s17, s15
	s_delay_alu instid0(SALU_CYCLE_1) | instskip(NEXT) | instid1(VALU_DEP_1)
	v_dual_mov_b32 v9, s17 :: v_dual_bitop2_b32 v8, s15, v2 bitop3:0x40
	v_bcnt_u32_b32 v8, v8, 0
	ds_store_b32 v3, v9 offset:49152
	s_wait_dscnt 0x0
	s_barrier_signal -1
	s_barrier_wait -1
	s_and_saveexec_b32 s17, s0
	s_cbranch_execz .LBB191_46
; %bb.30:                               ;   in Loop: Header=BB191_29 Depth=1
	ds_load_b32 v9, v1 offset:49152
	s_wait_dscnt 0x0
	v_add_nc_u32_e32 v8, v9, v8
	s_or_b32 exec_lo, exec_lo, s17
	s_and_saveexec_b32 s17, s1
	s_cbranch_execnz .LBB191_47
.LBB191_31:                             ;   in Loop: Header=BB191_29 Depth=1
	s_or_b32 exec_lo, exec_lo, s17
	s_and_saveexec_b32 s17, s2
	s_cbranch_execz .LBB191_48
.LBB191_32:                             ;   in Loop: Header=BB191_29 Depth=1
	ds_load_b32 v9, v1 offset:49160
	s_wait_dscnt 0x0
	v_add_nc_u32_e32 v8, v9, v8
	s_or_b32 exec_lo, exec_lo, s17
	s_and_saveexec_b32 s17, s3
	s_cbranch_execnz .LBB191_49
.LBB191_33:                             ;   in Loop: Header=BB191_29 Depth=1
	s_or_b32 exec_lo, exec_lo, s17
	s_and_saveexec_b32 s17, s4
	s_cbranch_execz .LBB191_50
.LBB191_34:                             ;   in Loop: Header=BB191_29 Depth=1
	ds_load_b32 v9, v1 offset:49168
	s_wait_dscnt 0x0
	v_add_nc_u32_e32 v8, v9, v8
	s_or_b32 exec_lo, exec_lo, s17
	s_and_saveexec_b32 s17, s5
	s_cbranch_execnz .LBB191_51
.LBB191_35:                             ;   in Loop: Header=BB191_29 Depth=1
	s_or_b32 exec_lo, exec_lo, s17
	s_and_saveexec_b32 s17, s6
	s_cbranch_execz .LBB191_52
.LBB191_36:                             ;   in Loop: Header=BB191_29 Depth=1
	ds_load_b32 v9, v1 offset:49176
	s_wait_dscnt 0x0
	v_add_nc_u32_e32 v8, v9, v8
	s_or_b32 exec_lo, exec_lo, s17
	s_and_saveexec_b32 s17, s7
	s_cbranch_execnz .LBB191_53
.LBB191_37:                             ;   in Loop: Header=BB191_29 Depth=1
	s_or_b32 exec_lo, exec_lo, s17
	s_and_saveexec_b32 s17, s8
	s_cbranch_execz .LBB191_54
.LBB191_38:                             ;   in Loop: Header=BB191_29 Depth=1
	ds_load_b32 v9, v1 offset:49184
	s_wait_dscnt 0x0
	v_add_nc_u32_e32 v8, v9, v8
	s_or_b32 exec_lo, exec_lo, s17
	s_and_saveexec_b32 s17, s9
	s_cbranch_execnz .LBB191_55
.LBB191_39:                             ;   in Loop: Header=BB191_29 Depth=1
	s_or_b32 exec_lo, exec_lo, s17
	s_and_saveexec_b32 s17, s10
	s_cbranch_execz .LBB191_56
.LBB191_40:                             ;   in Loop: Header=BB191_29 Depth=1
	ds_load_b32 v9, v1 offset:49192
	s_wait_dscnt 0x0
	v_add_nc_u32_e32 v8, v9, v8
	s_or_b32 exec_lo, exec_lo, s17
	s_and_saveexec_b32 s17, s11
	s_cbranch_execnz .LBB191_57
.LBB191_41:                             ;   in Loop: Header=BB191_29 Depth=1
	s_or_b32 exec_lo, exec_lo, s17
	s_and_saveexec_b32 s17, s12
	s_cbranch_execz .LBB191_58
.LBB191_42:                             ;   in Loop: Header=BB191_29 Depth=1
	ds_load_b32 v9, v1 offset:49200
	s_wait_dscnt 0x0
	v_add_nc_u32_e32 v8, v9, v8
	s_or_b32 exec_lo, exec_lo, s17
	s_and_saveexec_b32 s17, s13
	s_cbranch_execnz .LBB191_59
.LBB191_43:                             ;   in Loop: Header=BB191_29 Depth=1
	s_or_b32 exec_lo, exec_lo, s17
	s_and_saveexec_b32 s17, s14
	s_cbranch_execz .LBB191_60
.LBB191_44:                             ;   in Loop: Header=BB191_29 Depth=1
	ds_load_b32 v9, v1 offset:49208
	s_wait_dscnt 0x0
	v_add_nc_u32_e32 v8, v9, v8
	s_or_b32 exec_lo, exec_lo, s17
	s_and_saveexec_b32 s17, s15
	s_cbranch_execnz .LBB191_61
.LBB191_45:                             ;   in Loop: Header=BB191_29 Depth=1
	s_or_b32 exec_lo, exec_lo, s17
	s_and_saveexec_b32 s15, vcc_lo
	s_cbranch_execz .LBB191_28
	s_branch .LBB191_62
.LBB191_46:                             ;   in Loop: Header=BB191_29 Depth=1
	s_or_b32 exec_lo, exec_lo, s17
	s_and_saveexec_b32 s17, s1
	s_cbranch_execz .LBB191_31
.LBB191_47:                             ;   in Loop: Header=BB191_29 Depth=1
	ds_load_b32 v9, v1 offset:49156
	s_wait_dscnt 0x0
	v_add_nc_u32_e32 v8, v9, v8
	s_or_b32 exec_lo, exec_lo, s17
	s_and_saveexec_b32 s17, s2
	s_cbranch_execnz .LBB191_32
.LBB191_48:                             ;   in Loop: Header=BB191_29 Depth=1
	s_or_b32 exec_lo, exec_lo, s17
	s_and_saveexec_b32 s17, s3
	s_cbranch_execz .LBB191_33
.LBB191_49:                             ;   in Loop: Header=BB191_29 Depth=1
	ds_load_b32 v9, v1 offset:49164
	s_wait_dscnt 0x0
	v_add_nc_u32_e32 v8, v9, v8
	s_or_b32 exec_lo, exec_lo, s17
	s_and_saveexec_b32 s17, s4
	s_cbranch_execnz .LBB191_34
.LBB191_50:                             ;   in Loop: Header=BB191_29 Depth=1
	s_or_b32 exec_lo, exec_lo, s17
	s_and_saveexec_b32 s17, s5
	s_cbranch_execz .LBB191_35
.LBB191_51:                             ;   in Loop: Header=BB191_29 Depth=1
	ds_load_b32 v9, v1 offset:49172
	s_wait_dscnt 0x0
	v_add_nc_u32_e32 v8, v9, v8
	s_or_b32 exec_lo, exec_lo, s17
	s_and_saveexec_b32 s17, s6
	s_cbranch_execnz .LBB191_36
.LBB191_52:                             ;   in Loop: Header=BB191_29 Depth=1
	s_or_b32 exec_lo, exec_lo, s17
	s_and_saveexec_b32 s17, s7
	s_cbranch_execz .LBB191_37
.LBB191_53:                             ;   in Loop: Header=BB191_29 Depth=1
	ds_load_b32 v9, v1 offset:49180
	s_wait_dscnt 0x0
	v_add_nc_u32_e32 v8, v9, v8
	s_or_b32 exec_lo, exec_lo, s17
	s_and_saveexec_b32 s17, s8
	s_cbranch_execnz .LBB191_38
.LBB191_54:                             ;   in Loop: Header=BB191_29 Depth=1
	s_or_b32 exec_lo, exec_lo, s17
	s_and_saveexec_b32 s17, s9
	s_cbranch_execz .LBB191_39
.LBB191_55:                             ;   in Loop: Header=BB191_29 Depth=1
	ds_load_b32 v9, v1 offset:49188
	s_wait_dscnt 0x0
	v_add_nc_u32_e32 v8, v9, v8
	s_or_b32 exec_lo, exec_lo, s17
	s_and_saveexec_b32 s17, s10
	s_cbranch_execnz .LBB191_40
.LBB191_56:                             ;   in Loop: Header=BB191_29 Depth=1
	s_or_b32 exec_lo, exec_lo, s17
	s_and_saveexec_b32 s17, s11
	s_cbranch_execz .LBB191_41
.LBB191_57:                             ;   in Loop: Header=BB191_29 Depth=1
	ds_load_b32 v9, v1 offset:49196
	s_wait_dscnt 0x0
	v_add_nc_u32_e32 v8, v9, v8
	s_or_b32 exec_lo, exec_lo, s17
	s_and_saveexec_b32 s17, s12
	s_cbranch_execnz .LBB191_42
.LBB191_58:                             ;   in Loop: Header=BB191_29 Depth=1
	s_or_b32 exec_lo, exec_lo, s17
	s_and_saveexec_b32 s17, s13
	s_cbranch_execz .LBB191_43
.LBB191_59:                             ;   in Loop: Header=BB191_29 Depth=1
	ds_load_b32 v9, v1 offset:49204
	s_wait_dscnt 0x0
	v_add_nc_u32_e32 v8, v9, v8
	s_or_b32 exec_lo, exec_lo, s17
	s_and_saveexec_b32 s17, s14
	s_cbranch_execnz .LBB191_44
.LBB191_60:                             ;   in Loop: Header=BB191_29 Depth=1
	s_or_b32 exec_lo, exec_lo, s17
	s_and_saveexec_b32 s17, s15
	s_cbranch_execz .LBB191_45
.LBB191_61:                             ;   in Loop: Header=BB191_29 Depth=1
	s_delay_alu instid0(VALU_DEP_1) | instskip(SKIP_1) | instid1(VALU_DEP_2)
	v_add3_u32 v9, v6, -1, v8
	v_add_nc_u32_e32 v10, v6, v8
	v_lshl_add_u32 v9, v9, 2, 0
	s_delay_alu instid0(VALU_DEP_2)
	v_lshl_add_u32 v10, v10, 3, 0
	ds_store_b32 v9, v7
	ds_store_b64 v10, v[4:5] offset:16376
	s_or_b32 exec_lo, exec_lo, s17
	s_and_saveexec_b32 s15, vcc_lo
	s_cbranch_execz .LBB191_28
.LBB191_62:                             ;   in Loop: Header=BB191_29 Depth=1
	ds_store_b32 v1, v8 offset:49212
	s_branch .LBB191_28
.LBB191_63:                             ;   in Loop: Header=BB191_65 Depth=1
	s_or_b32 exec_lo, exec_lo, s5
.LBB191_64:                             ;   in Loop: Header=BB191_65 Depth=1
	s_delay_alu instid0(SALU_CYCLE_1) | instskip(SKIP_4) | instid1(VALU_DEP_1)
	s_or_b32 exec_lo, exec_lo, s4
	s_wait_loadcnt 0x0
	v_mul_f64_e32 v[8:9], v[2:3], v[8:9]
	v_lshl_add_u32 v1, v1, 3, 0
	v_add_nc_u64_e32 v[6:7], 0x400, v[6:7]
	v_cmp_le_i64_e32 vcc_lo, s[2:3], v[6:7]
	s_or_b32 s1, vcc_lo, s1
	ds_add_f64 v1, v[8:9] offset:16384
	s_and_not1_b32 exec_lo, exec_lo, s1
	s_cbranch_execz .LBB191_26
.LBB191_65:                             ; =>This Loop Header: Depth=1
                                        ;     Child Loop BB191_68 Depth 2
	v_lshl_add_u64 v[8:9], v[6:7], 2, s[14:15]
	s_mov_b32 s4, exec_lo
	global_load_b32 v1, v[8:9], off
	s_wait_xcnt 0x0
	v_lshl_add_u64 v[8:9], v[6:7], 3, s[16:17]
	global_load_b64 v[8:9], v[8:9], off
	s_wait_loadcnt 0x1
	v_subrev_nc_u32_e32 v5, s23, v1
	s_delay_alu instid0(VALU_DEP_1) | instskip(NEXT) | instid1(VALU_DEP_1)
	v_mul_lo_u32 v1, 0x89, v5
	v_and_b32_e32 v1, 0xfff, v1
	s_delay_alu instid0(VALU_DEP_1)
	v_lshl_add_u32 v10, v1, 2, 0
	ds_load_b32 v11, v10
	s_wait_dscnt 0x0
	s_wait_xcnt 0x0
	v_cmpx_ne_u32_e64 v11, v5
	s_cbranch_execz .LBB191_64
; %bb.66:                               ;   in Loop: Header=BB191_65 Depth=1
	s_mov_b32 s5, 0
	s_branch .LBB191_68
.LBB191_67:                             ;   in Loop: Header=BB191_68 Depth=2
	s_or_b32 exec_lo, exec_lo, s8
	s_delay_alu instid0(SALU_CYCLE_1) | instskip(NEXT) | instid1(SALU_CYCLE_1)
	s_and_b32 s6, exec_lo, s7
	s_or_b32 s5, s6, s5
	s_delay_alu instid0(SALU_CYCLE_1)
	s_and_not1_b32 exec_lo, exec_lo, s5
	s_cbranch_execz .LBB191_63
.LBB191_68:                             ;   Parent Loop BB191_65 Depth=1
                                        ; =>  This Inner Loop Header: Depth=2
	s_mov_b32 s6, 0
	s_mov_b32 s7, exec_lo
	v_cmpx_ne_u32_e64 s33, v11
	s_xor_b32 s7, exec_lo, s7
	s_cbranch_execz .LBB191_70
; %bb.69:                               ;   in Loop: Header=BB191_68 Depth=2
	v_add_nc_u32_e32 v1, 1, v1
	s_mov_b32 s6, exec_lo
                                        ; implicit-def: $vgpr10
	s_delay_alu instid0(VALU_DEP_1)
	v_and_b32_e32 v1, 0xfff, v1
	s_and_not1_saveexec_b32 s7, s7
	s_cbranch_execz .LBB191_72
	s_branch .LBB191_71
.LBB191_70:                             ;   in Loop: Header=BB191_68 Depth=2
	s_and_not1_saveexec_b32 s7, s7
	s_cbranch_execz .LBB191_72
.LBB191_71:                             ;   in Loop: Header=BB191_68 Depth=2
	v_mov_b32_e32 v11, s33
	s_and_not1_b32 s6, s6, exec_lo
	ds_cmpstore_rtn_b32 v10, v10, v5, v11
	s_wait_dscnt 0x0
	v_cmp_ne_u32_e32 vcc_lo, s33, v10
	s_and_b32 s8, vcc_lo, exec_lo
	s_delay_alu instid0(SALU_CYCLE_1)
	s_or_b32 s6, s6, s8
.LBB191_72:                             ;   in Loop: Header=BB191_68 Depth=2
	s_or_b32 exec_lo, exec_lo, s7
	s_mov_b32 s7, -1
                                        ; implicit-def: $vgpr10
                                        ; implicit-def: $vgpr11
	s_and_saveexec_b32 s8, s6
	s_cbranch_execz .LBB191_67
; %bb.73:                               ;   in Loop: Header=BB191_68 Depth=2
	v_lshl_add_u32 v10, v1, 2, 0
	ds_load_b32 v11, v10
	s_wait_dscnt 0x0
	v_cmp_eq_u32_e32 vcc_lo, v11, v5
	s_or_not1_b32 s7, vcc_lo, exec_lo
	s_branch .LBB191_67
.LBB191_74:
	s_or_b32 exec_lo, exec_lo, s16
	s_wait_kmcnt 0x0
	s_ashr_i32 s29, s28, 31
	s_delay_alu instid0(SALU_CYCLE_1) | instskip(NEXT) | instid1(SALU_CYCLE_1)
	s_lshl_b64 s[0:1], s[28:29], 3
	s_add_nc_u64 s[4:5], s[18:19], s[0:1]
	s_load_b128 s[0:3], s[4:5], 0x0
	s_wait_xcnt 0x0
	s_mov_b32 s4, exec_lo
	s_wait_kmcnt 0x0
	s_sub_co_i32 s3, s2, s0
	s_delay_alu instid0(SALU_CYCLE_1)
	v_cmpx_gt_i32_e64 s3, v0
	s_cbranch_execz .LBB191_84
; %bb.75:
	s_sub_co_i32 s4, s0, s2
	s_and_b32 s2, s3, 7
	s_cmp_lt_u32 s4, -7
	s_mov_b32 s23, 0
	s_cselect_b32 s4, -1, 0
	s_and_b32 s5, s3, -8
	s_cmp_lg_u32 s2, 0
	s_sub_nc_u64 s[0:1], s[0:1], s[22:23]
	s_cselect_b32 s6, -1, 0
	s_mov_b32 s7, 0
	s_branch .LBB191_77
.LBB191_76:                             ;   in Loop: Header=BB191_77 Depth=1
	v_add_nc_u32_e32 v0, 0x400, v0
	s_delay_alu instid0(VALU_DEP_2) | instskip(NEXT) | instid1(VALU_DEP_2)
	v_lshl_add_u64 v[4:5], v[4:5], 3, s[34:35]
	v_cmp_le_i32_e32 vcc_lo, s3, v0
	s_wait_dscnt 0x0
	global_store_b64 v[4:5], v[2:3], off
	s_or_b32 s7, vcc_lo, s7
	s_wait_xcnt 0x0
	s_and_not1_b32 exec_lo, exec_lo, s7
	s_cbranch_execz .LBB191_84
.LBB191_77:                             ; =>This Loop Header: Depth=1
                                        ;     Child Loop BB191_79 Depth 2
                                        ;     Child Loop BB191_83 Depth 2
	v_lshlrev_b32_e32 v1, 2, v0
	v_mov_b64_e32 v[4:5], s[0:1]
	s_and_not1_b32 vcc_lo, exec_lo, s4
	s_mov_b32 s8, 0
	s_delay_alu instid0(VALU_DEP_2) | instskip(NEXT) | instid1(VALU_DEP_1)
	v_add_nc_u32_e32 v2, 0, v1
	v_add_nc_u32_e32 v3, v2, v1
	ds_load_b32 v1, v2
	ds_load_b64 v[2:3], v3 offset:16384
	s_cbranch_vccnz .LBB191_81
; %bb.78:                               ;   in Loop: Header=BB191_77 Depth=1
	v_mov_b64_e32 v[4:5], s[0:1]
	s_mov_b32 s9, 0
.LBB191_79:                             ;   Parent Loop BB191_77 Depth=1
                                        ; =>  This Inner Loop Header: Depth=2
	s_delay_alu instid0(SALU_CYCLE_1)
	v_dual_mov_b32 v10, s9 :: v_dual_mov_b32 v11, s23
	v_mov_b32_e32 v17, s23
	s_add_co_i32 s8, s8, 8
	s_add_co_i32 s9, s9, 32
	ds_load_2addr_b32 v[6:7], v10 offset1:1
	ds_load_2addr_b32 v[8:9], v10 offset0:2 offset1:3
	ds_load_2addr_b32 v[12:13], v10 offset0:4 offset1:5
	;; [unrolled: 1-line block ×3, first 2 shown]
	s_cmp_eq_u32 s5, s8
	s_wait_dscnt 0x3
	v_cmp_gt_i32_e32 vcc_lo, v1, v6
	v_cndmask_b32_e64 v10, 0, 1, vcc_lo
	v_cmp_gt_i32_e32 vcc_lo, v1, v7
	v_mov_b32_e32 v7, s23
	s_delay_alu instid0(VALU_DEP_3) | instskip(SKIP_4) | instid1(VALU_DEP_3)
	v_add_nc_u64_e32 v[4:5], v[4:5], v[10:11]
	v_cndmask_b32_e64 v16, 0, 1, vcc_lo
	s_wait_dscnt 0x2
	v_cmp_gt_i32_e32 vcc_lo, v1, v8
	v_cndmask_b32_e64 v6, 0, 1, vcc_lo
	v_add_nc_u64_e32 v[4:5], v[4:5], v[16:17]
	v_cmp_gt_i32_e32 vcc_lo, v1, v9
	v_mov_b32_e32 v9, s23
	v_cndmask_b32_e64 v10, 0, 1, vcc_lo
	s_delay_alu instid0(VALU_DEP_4) | instskip(SKIP_3) | instid1(VALU_DEP_3)
	v_add_nc_u64_e32 v[4:5], v[4:5], v[6:7]
	s_wait_dscnt 0x1
	v_cmp_gt_i32_e32 vcc_lo, v1, v12
	v_cndmask_b32_e64 v6, 0, 1, vcc_lo
	v_add_nc_u64_e32 v[4:5], v[4:5], v[10:11]
	v_cmp_gt_i32_e32 vcc_lo, v1, v13
	v_cndmask_b32_e64 v8, 0, 1, vcc_lo
	s_delay_alu instid0(VALU_DEP_3) | instskip(SKIP_3) | instid1(VALU_DEP_3)
	v_add_nc_u64_e32 v[4:5], v[4:5], v[6:7]
	s_wait_dscnt 0x0
	v_cmp_gt_i32_e32 vcc_lo, v1, v14
	v_cndmask_b32_e64 v6, 0, 1, vcc_lo
	v_add_nc_u64_e32 v[4:5], v[4:5], v[8:9]
	v_cmp_gt_i32_e32 vcc_lo, v1, v15
	v_cndmask_b32_e64 v8, 0, 1, vcc_lo
	s_delay_alu instid0(VALU_DEP_3) | instskip(NEXT) | instid1(VALU_DEP_1)
	v_add_nc_u64_e32 v[4:5], v[4:5], v[6:7]
	v_add_nc_u64_e32 v[4:5], v[4:5], v[8:9]
	s_cbranch_scc0 .LBB191_79
; %bb.80:                               ;   in Loop: Header=BB191_77 Depth=1
	s_mov_b32 s8, s5
.LBB191_81:                             ;   in Loop: Header=BB191_77 Depth=1
	s_and_not1_b32 vcc_lo, exec_lo, s6
	s_cbranch_vccnz .LBB191_76
; %bb.82:                               ;   in Loop: Header=BB191_77 Depth=1
	s_lshl_b32 s8, s8, 2
	s_mov_b32 s9, s2
	s_add_co_i32 s8, s8, 0
.LBB191_83:                             ;   Parent Loop BB191_77 Depth=1
                                        ; =>  This Inner Loop Header: Depth=2
	s_delay_alu instid0(SALU_CYCLE_1)
	v_dual_mov_b32 v6, s8 :: v_dual_mov_b32 v7, s23
	s_add_co_i32 s9, s9, -1
	s_add_co_i32 s8, s8, 4
	s_cmp_lg_u32 s9, 0
	ds_load_b32 v6, v6
	s_wait_dscnt 0x0
	v_cmp_gt_i32_e32 vcc_lo, v1, v6
	v_cndmask_b32_e64 v6, 0, 1, vcc_lo
	s_delay_alu instid0(VALU_DEP_1)
	v_add_nc_u64_e32 v[4:5], v[4:5], v[6:7]
	s_cbranch_scc1 .LBB191_83
	s_branch .LBB191_76
.LBB191_84:
	s_endpgm
	.section	.rodata,"a",@progbits
	.p2align	6, 0x0
	.amdhsa_kernel _ZN9rocsparseL41csrgemm_numeric_fill_block_per_row_kernelILj1024ELj64ELj4096ELj137ELj64ElidEEvT5_PKS1_S3_NS_24const_host_device_scalarIT6_EEPKT4_S3_PKS5_S9_S3_SB_S6_S9_S3_SB_S9_S3_PS5_21rocsparse_index_base_SD_SD_SD_bbb
		.amdhsa_group_segment_fixed_size 0
		.amdhsa_private_segment_fixed_size 0
		.amdhsa_kernarg_size 156
		.amdhsa_user_sgpr_count 2
		.amdhsa_user_sgpr_dispatch_ptr 0
		.amdhsa_user_sgpr_queue_ptr 0
		.amdhsa_user_sgpr_kernarg_segment_ptr 1
		.amdhsa_user_sgpr_dispatch_id 0
		.amdhsa_user_sgpr_kernarg_preload_length 0
		.amdhsa_user_sgpr_kernarg_preload_offset 0
		.amdhsa_user_sgpr_private_segment_size 0
		.amdhsa_wavefront_size32 1
		.amdhsa_uses_dynamic_stack 0
		.amdhsa_enable_private_segment 0
		.amdhsa_system_sgpr_workgroup_id_x 1
		.amdhsa_system_sgpr_workgroup_id_y 0
		.amdhsa_system_sgpr_workgroup_id_z 0
		.amdhsa_system_sgpr_workgroup_info 0
		.amdhsa_system_vgpr_workitem_id 0
		.amdhsa_next_free_vgpr 25
		.amdhsa_next_free_sgpr 44
		.amdhsa_named_barrier_count 0
		.amdhsa_reserve_vcc 1
		.amdhsa_float_round_mode_32 0
		.amdhsa_float_round_mode_16_64 0
		.amdhsa_float_denorm_mode_32 3
		.amdhsa_float_denorm_mode_16_64 3
		.amdhsa_fp16_overflow 0
		.amdhsa_memory_ordered 1
		.amdhsa_forward_progress 1
		.amdhsa_inst_pref_size 26
		.amdhsa_round_robin_scheduling 0
		.amdhsa_exception_fp_ieee_invalid_op 0
		.amdhsa_exception_fp_denorm_src 0
		.amdhsa_exception_fp_ieee_div_zero 0
		.amdhsa_exception_fp_ieee_overflow 0
		.amdhsa_exception_fp_ieee_underflow 0
		.amdhsa_exception_fp_ieee_inexact 0
		.amdhsa_exception_int_div_zero 0
	.end_amdhsa_kernel
	.section	.text._ZN9rocsparseL41csrgemm_numeric_fill_block_per_row_kernelILj1024ELj64ELj4096ELj137ELj64ElidEEvT5_PKS1_S3_NS_24const_host_device_scalarIT6_EEPKT4_S3_PKS5_S9_S3_SB_S6_S9_S3_SB_S9_S3_PS5_21rocsparse_index_base_SD_SD_SD_bbb,"axG",@progbits,_ZN9rocsparseL41csrgemm_numeric_fill_block_per_row_kernelILj1024ELj64ELj4096ELj137ELj64ElidEEvT5_PKS1_S3_NS_24const_host_device_scalarIT6_EEPKT4_S3_PKS5_S9_S3_SB_S6_S9_S3_SB_S9_S3_PS5_21rocsparse_index_base_SD_SD_SD_bbb,comdat
.Lfunc_end191:
	.size	_ZN9rocsparseL41csrgemm_numeric_fill_block_per_row_kernelILj1024ELj64ELj4096ELj137ELj64ElidEEvT5_PKS1_S3_NS_24const_host_device_scalarIT6_EEPKT4_S3_PKS5_S9_S3_SB_S6_S9_S3_SB_S9_S3_PS5_21rocsparse_index_base_SD_SD_SD_bbb, .Lfunc_end191-_ZN9rocsparseL41csrgemm_numeric_fill_block_per_row_kernelILj1024ELj64ELj4096ELj137ELj64ElidEEvT5_PKS1_S3_NS_24const_host_device_scalarIT6_EEPKT4_S3_PKS5_S9_S3_SB_S6_S9_S3_SB_S9_S3_PS5_21rocsparse_index_base_SD_SD_SD_bbb
                                        ; -- End function
	.set _ZN9rocsparseL41csrgemm_numeric_fill_block_per_row_kernelILj1024ELj64ELj4096ELj137ELj64ElidEEvT5_PKS1_S3_NS_24const_host_device_scalarIT6_EEPKT4_S3_PKS5_S9_S3_SB_S6_S9_S3_SB_S9_S3_PS5_21rocsparse_index_base_SD_SD_SD_bbb.num_vgpr, 25
	.set _ZN9rocsparseL41csrgemm_numeric_fill_block_per_row_kernelILj1024ELj64ELj4096ELj137ELj64ElidEEvT5_PKS1_S3_NS_24const_host_device_scalarIT6_EEPKT4_S3_PKS5_S9_S3_SB_S6_S9_S3_SB_S9_S3_PS5_21rocsparse_index_base_SD_SD_SD_bbb.num_agpr, 0
	.set _ZN9rocsparseL41csrgemm_numeric_fill_block_per_row_kernelILj1024ELj64ELj4096ELj137ELj64ElidEEvT5_PKS1_S3_NS_24const_host_device_scalarIT6_EEPKT4_S3_PKS5_S9_S3_SB_S6_S9_S3_SB_S9_S3_PS5_21rocsparse_index_base_SD_SD_SD_bbb.numbered_sgpr, 44
	.set _ZN9rocsparseL41csrgemm_numeric_fill_block_per_row_kernelILj1024ELj64ELj4096ELj137ELj64ElidEEvT5_PKS1_S3_NS_24const_host_device_scalarIT6_EEPKT4_S3_PKS5_S9_S3_SB_S6_S9_S3_SB_S9_S3_PS5_21rocsparse_index_base_SD_SD_SD_bbb.num_named_barrier, 0
	.set _ZN9rocsparseL41csrgemm_numeric_fill_block_per_row_kernelILj1024ELj64ELj4096ELj137ELj64ElidEEvT5_PKS1_S3_NS_24const_host_device_scalarIT6_EEPKT4_S3_PKS5_S9_S3_SB_S6_S9_S3_SB_S9_S3_PS5_21rocsparse_index_base_SD_SD_SD_bbb.private_seg_size, 0
	.set _ZN9rocsparseL41csrgemm_numeric_fill_block_per_row_kernelILj1024ELj64ELj4096ELj137ELj64ElidEEvT5_PKS1_S3_NS_24const_host_device_scalarIT6_EEPKT4_S3_PKS5_S9_S3_SB_S6_S9_S3_SB_S9_S3_PS5_21rocsparse_index_base_SD_SD_SD_bbb.uses_vcc, 1
	.set _ZN9rocsparseL41csrgemm_numeric_fill_block_per_row_kernelILj1024ELj64ELj4096ELj137ELj64ElidEEvT5_PKS1_S3_NS_24const_host_device_scalarIT6_EEPKT4_S3_PKS5_S9_S3_SB_S6_S9_S3_SB_S9_S3_PS5_21rocsparse_index_base_SD_SD_SD_bbb.uses_flat_scratch, 0
	.set _ZN9rocsparseL41csrgemm_numeric_fill_block_per_row_kernelILj1024ELj64ELj4096ELj137ELj64ElidEEvT5_PKS1_S3_NS_24const_host_device_scalarIT6_EEPKT4_S3_PKS5_S9_S3_SB_S6_S9_S3_SB_S9_S3_PS5_21rocsparse_index_base_SD_SD_SD_bbb.has_dyn_sized_stack, 0
	.set _ZN9rocsparseL41csrgemm_numeric_fill_block_per_row_kernelILj1024ELj64ELj4096ELj137ELj64ElidEEvT5_PKS1_S3_NS_24const_host_device_scalarIT6_EEPKT4_S3_PKS5_S9_S3_SB_S6_S9_S3_SB_S9_S3_PS5_21rocsparse_index_base_SD_SD_SD_bbb.has_recursion, 0
	.set _ZN9rocsparseL41csrgemm_numeric_fill_block_per_row_kernelILj1024ELj64ELj4096ELj137ELj64ElidEEvT5_PKS1_S3_NS_24const_host_device_scalarIT6_EEPKT4_S3_PKS5_S9_S3_SB_S6_S9_S3_SB_S9_S3_PS5_21rocsparse_index_base_SD_SD_SD_bbb.has_indirect_call, 0
	.section	.AMDGPU.csdata,"",@progbits
; Kernel info:
; codeLenInByte = 3212
; TotalNumSgprs: 46
; NumVgprs: 25
; ScratchSize: 0
; MemoryBound: 0
; FloatMode: 240
; IeeeMode: 1
; LDSByteSize: 0 bytes/workgroup (compile time only)
; SGPRBlocks: 0
; VGPRBlocks: 1
; NumSGPRsForWavesPerEU: 46
; NumVGPRsForWavesPerEU: 25
; NamedBarCnt: 0
; Occupancy: 16
; WaveLimiterHint : 1
; COMPUTE_PGM_RSRC2:SCRATCH_EN: 0
; COMPUTE_PGM_RSRC2:USER_SGPR: 2
; COMPUTE_PGM_RSRC2:TRAP_HANDLER: 0
; COMPUTE_PGM_RSRC2:TGID_X_EN: 1
; COMPUTE_PGM_RSRC2:TGID_Y_EN: 0
; COMPUTE_PGM_RSRC2:TGID_Z_EN: 0
; COMPUTE_PGM_RSRC2:TIDIG_COMP_CNT: 0
	.section	.text._ZN9rocsparseL41csrgemm_numeric_fill_block_per_row_kernelILj1024ELj64ELj8192ELj137ELj32ElidEEvT5_PKS1_S3_NS_24const_host_device_scalarIT6_EEPKT4_S3_PKS5_S9_S3_SB_S6_S9_S3_SB_S9_S3_PS5_21rocsparse_index_base_SD_SD_SD_bbb,"axG",@progbits,_ZN9rocsparseL41csrgemm_numeric_fill_block_per_row_kernelILj1024ELj64ELj8192ELj137ELj32ElidEEvT5_PKS1_S3_NS_24const_host_device_scalarIT6_EEPKT4_S3_PKS5_S9_S3_SB_S6_S9_S3_SB_S9_S3_PS5_21rocsparse_index_base_SD_SD_SD_bbb,comdat
	.globl	_ZN9rocsparseL41csrgemm_numeric_fill_block_per_row_kernelILj1024ELj64ELj8192ELj137ELj32ElidEEvT5_PKS1_S3_NS_24const_host_device_scalarIT6_EEPKT4_S3_PKS5_S9_S3_SB_S6_S9_S3_SB_S9_S3_PS5_21rocsparse_index_base_SD_SD_SD_bbb ; -- Begin function _ZN9rocsparseL41csrgemm_numeric_fill_block_per_row_kernelILj1024ELj64ELj8192ELj137ELj32ElidEEvT5_PKS1_S3_NS_24const_host_device_scalarIT6_EEPKT4_S3_PKS5_S9_S3_SB_S6_S9_S3_SB_S9_S3_PS5_21rocsparse_index_base_SD_SD_SD_bbb
	.p2align	8
	.type	_ZN9rocsparseL41csrgemm_numeric_fill_block_per_row_kernelILj1024ELj64ELj8192ELj137ELj32ElidEEvT5_PKS1_S3_NS_24const_host_device_scalarIT6_EEPKT4_S3_PKS5_S9_S3_SB_S6_S9_S3_SB_S9_S3_PS5_21rocsparse_index_base_SD_SD_SD_bbb,@function
_ZN9rocsparseL41csrgemm_numeric_fill_block_per_row_kernelILj1024ELj64ELj8192ELj137ELj32ElidEEvT5_PKS1_S3_NS_24const_host_device_scalarIT6_EEPKT4_S3_PKS5_S9_S3_SB_S6_S9_S3_SB_S9_S3_PS5_21rocsparse_index_base_SD_SD_SD_bbb: ; @_ZN9rocsparseL41csrgemm_numeric_fill_block_per_row_kernelILj1024ELj64ELj8192ELj137ELj32ElidEEvT5_PKS1_S3_NS_24const_host_device_scalarIT6_EEPKT4_S3_PKS5_S9_S3_SB_S6_S9_S3_SB_S9_S3_PS5_21rocsparse_index_base_SD_SD_SD_bbb
; %bb.0:
	s_clause 0x4
	s_load_b32 s11, s[0:1], 0x98
	s_load_b64 s[8:9], s[0:1], 0x18
	s_load_b128 s[4:7], s[0:1], 0x8
	s_load_b128 s[36:39], s[0:1], 0x88
	s_load_b64 s[2:3], s[0:1], 0x50
	s_wait_kmcnt 0x0
	s_bitcmp1_b32 s11, 0
	s_cselect_b32 s10, -1, 0
	s_bitcmp1_b32 s11, 16
	s_cselect_b32 s12, -1, 0
	s_xor_b32 s13, s10, -1
	s_delay_alu instid0(SALU_CYCLE_1)
	s_or_b32 s13, s12, s13
	s_and_b32 s14, s10, exec_lo
	s_cselect_b32 s15, s9, 0
	s_cselect_b32 s14, s8, 0
	s_and_b32 vcc_lo, exec_lo, s13
	v_mov_b64_e32 v[4:5], s[14:15]
	s_cbranch_vccnz .LBB192_2
; %bb.1:
	v_mov_b32_e32 v1, 0
	flat_load_b64 v[4:5], v1, s[8:9]
.LBB192_2:
	s_bitcmp1_b32 s11, 8
	s_cselect_b32 s16, -1, 0
	s_wait_xcnt 0x0
	s_xor_b32 s8, s16, -1
	s_delay_alu instid0(SALU_CYCLE_1)
	s_or_b32 s11, s12, s8
	s_and_b32 s8, s16, exec_lo
	s_cselect_b32 s9, s3, 0
	s_cselect_b32 s8, s2, 0
	s_and_b32 vcc_lo, exec_lo, s11
	v_mov_b64_e32 v[2:3], s[8:9]
	s_cbranch_vccnz .LBB192_4
; %bb.3:
	v_mov_b32_e32 v1, 0
	flat_load_b64 v[2:3], v1, s[2:3]
.LBB192_4:
	s_load_b32 s33, s[0:1], 0x0
	v_dual_lshlrev_b32 v1, 2, v0 :: v_dual_lshlrev_b32 v19, 3, v0
	v_mov_b64_e32 v[6:7], 0
	s_bfe_u32 s3, ttmp6, 0x4000c
	s_delay_alu instid0(VALU_DEP_2) | instskip(NEXT) | instid1(VALU_DEP_3)
	v_add_nc_u32_e32 v18, 0, v1
	v_add3_u32 v8, 0x8000, 0, v19
	s_add_co_i32 s3, s3, 1
	s_delay_alu instid0(SALU_CYCLE_1)
	s_mul_i32 s3, ttmp9, s3
	s_wait_kmcnt 0x0
	v_dual_add_nc_u32 v1, v18, v1 :: v_dual_mov_b32 v9, s33
	ds_store_2addr_stride64_b64 v1, v[6:7], v[6:7] offset0:64 offset1:80
	ds_store_2addr_stride64_b64 v1, v[6:7], v[6:7] offset0:96 offset1:112
	;; [unrolled: 1-line block ×3, first 2 shown]
	v_dual_mov_b32 v1, s33 :: v_dual_mov_b32 v10, s33
	v_dual_mov_b32 v11, s33 :: v_dual_mov_b32 v12, s33
	;; [unrolled: 1-line block ×3, first 2 shown]
	v_mov_b32_e32 v15, s33
	ds_store_2addr_stride64_b64 v8, v[6:7], v[6:7] offset0:96 offset1:112
	ds_store_2addr_stride64_b32 v18, v1, v9 offset1:16
	ds_store_2addr_stride64_b32 v18, v10, v11 offset0:32 offset1:48
	ds_store_2addr_stride64_b32 v18, v12, v13 offset0:64 offset1:80
	;; [unrolled: 1-line block ×3, first 2 shown]
	s_wait_loadcnt_dscnt 0x0
	s_barrier_signal -1
	s_barrier_wait -1
	s_load_b32 s2, s[4:5], 0x0
	s_wait_xcnt 0x0
	s_and_b32 s4, ttmp6, 15
	s_getreg_b32 s5, hwreg(HW_REG_IB_STS2, 6, 4)
	s_add_co_i32 s4, s4, s3
	s_cmp_eq_u32 s5, 0
	s_cselect_b32 s3, ttmp9, s4
	s_and_not1_b32 vcc_lo, exec_lo, s10
	s_wait_kmcnt 0x0
	s_add_co_i32 s2, s2, s3
	s_mov_b32 s3, 0
	s_load_b32 s34, s[6:7], s2 offset:0x0 scale_offset
	s_cbranch_vccnz .LBB192_22
; %bb.5:
	s_load_b64 s[4:5], s[0:1], 0x20
	s_wait_kmcnt 0x0
	s_ashr_i32 s35, s34, 31
	v_dual_mov_b32 v9, 0 :: v_dual_lshrrev_b32 v8, 6, v0
	s_lshl_b64 s[6:7], s[34:35], 3
	s_mov_b32 s2, s36
	s_mov_b32 s17, exec_lo
	s_delay_alu instid0(VALU_DEP_1) | instskip(SKIP_3) | instid1(VALU_DEP_1)
	v_sub_nc_u64_e64 v[6:7], v[8:9], s[2:3]
	s_add_nc_u64 s[8:9], s[4:5], s[6:7]
	s_load_b128 s[4:7], s[8:9], 0x0
	s_wait_kmcnt 0x0
	v_add_nc_u64_e32 v[6:7], s[4:5], v[6:7]
	s_sub_nc_u64 s[2:3], s[6:7], s[2:3]
	s_delay_alu instid0(VALU_DEP_1) | instid1(SALU_CYCLE_1)
	v_cmpx_gt_i64_e64 s[2:3], v[6:7]
	s_cbranch_execz .LBB192_21
; %bb.6:
	s_clause 0x1
	s_load_b64 s[12:13], s[0:1], 0x48
	s_load_b256 s[4:11], s[0:1], 0x28
	v_and_b32_e32 v8, 63, v0
	s_mov_b32 s15, 0
	s_mov_b32 s14, s37
	;; [unrolled: 1-line block ×3, first 2 shown]
	s_delay_alu instid0(VALU_DEP_1)
	v_sub_nc_u64_e64 v[8:9], v[8:9], s[14:15]
	s_branch .LBB192_8
.LBB192_7:                              ;   in Loop: Header=BB192_8 Depth=1
	s_or_b32 exec_lo, exec_lo, s19
	v_add_nc_u64_e32 v[6:7], 16, v[6:7]
	s_delay_alu instid0(VALU_DEP_1) | instskip(SKIP_1) | instid1(SALU_CYCLE_1)
	v_cmp_le_i64_e32 vcc_lo, s[2:3], v[6:7]
	s_or_b32 s18, vcc_lo, s18
	s_and_not1_b32 exec_lo, exec_lo, s18
	s_cbranch_execz .LBB192_21
.LBB192_8:                              ; =>This Loop Header: Depth=1
                                        ;     Child Loop BB192_12 Depth 2
                                        ;       Child Loop BB192_15 Depth 3
	s_wait_kmcnt 0x0
	v_lshl_add_u64 v[10:11], v[6:7], 2, s[4:5]
	s_mov_b32 s19, exec_lo
	global_load_b32 v1, v[10:11], off
	s_wait_loadcnt 0x0
	s_wait_xcnt 0x0
	v_subrev_nc_u32_e32 v10, s36, v1
	s_delay_alu instid0(VALU_DEP_1) | instskip(NEXT) | instid1(VALU_DEP_1)
	v_ashrrev_i32_e32 v11, 31, v10
	v_lshl_add_u64 v[10:11], v[10:11], 3, s[8:9]
	global_load_b128 v[12:15], v[10:11], off
	s_wait_loadcnt 0x0
	s_wait_xcnt 0x0
	v_sub_nc_u64_e64 v[10:11], v[14:15], s[14:15]
	v_add_nc_u64_e32 v[12:13], v[12:13], v[8:9]
	s_delay_alu instid0(VALU_DEP_1)
	v_cmpx_lt_i64_e64 v[12:13], v[10:11]
	s_cbranch_execz .LBB192_7
; %bb.9:                                ;   in Loop: Header=BB192_8 Depth=1
	v_lshl_add_u64 v[14:15], v[6:7], 3, s[6:7]
	s_mov_b32 s20, 0
	global_load_b64 v[14:15], v[14:15], off
	s_wait_loadcnt 0x0
	s_wait_xcnt 0x0
	v_mul_f64_e32 v[14:15], v[4:5], v[14:15]
	s_branch .LBB192_12
.LBB192_10:                             ;   in Loop: Header=BB192_12 Depth=2
	s_or_b32 exec_lo, exec_lo, s22
.LBB192_11:                             ;   in Loop: Header=BB192_12 Depth=2
	s_delay_alu instid0(SALU_CYCLE_1) | instskip(SKIP_4) | instid1(VALU_DEP_1)
	s_or_b32 exec_lo, exec_lo, s21
	s_wait_loadcnt 0x0
	v_mul_f64_e32 v[16:17], v[14:15], v[16:17]
	v_lshl_add_u32 v1, v1, 3, 0
	v_add_nc_u64_e32 v[12:13], 64, v[12:13]
	v_cmp_ge_i64_e32 vcc_lo, v[12:13], v[10:11]
	s_or_b32 s20, vcc_lo, s20
	ds_add_f64 v1, v[16:17] offset:32768
	s_and_not1_b32 exec_lo, exec_lo, s20
	s_cbranch_execz .LBB192_7
.LBB192_12:                             ;   Parent Loop BB192_8 Depth=1
                                        ; =>  This Loop Header: Depth=2
                                        ;       Child Loop BB192_15 Depth 3
	v_lshl_add_u64 v[16:17], v[12:13], 2, s[10:11]
	s_mov_b32 s21, exec_lo
	global_load_b32 v1, v[16:17], off
	s_wait_xcnt 0x0
	v_lshl_add_u64 v[16:17], v[12:13], 3, s[12:13]
	global_load_b64 v[16:17], v[16:17], off
	s_wait_loadcnt 0x1
	v_subrev_nc_u32_e32 v20, s37, v1
	s_delay_alu instid0(VALU_DEP_1) | instskip(NEXT) | instid1(VALU_DEP_1)
	v_mul_lo_u32 v1, 0x89, v20
	v_and_b32_e32 v1, 0x1fff, v1
	s_delay_alu instid0(VALU_DEP_1)
	v_lshl_add_u32 v21, v1, 2, 0
	ds_load_b32 v22, v21
	s_wait_dscnt 0x0
	s_wait_xcnt 0x0
	v_cmpx_ne_u32_e64 v22, v20
	s_cbranch_execz .LBB192_11
; %bb.13:                               ;   in Loop: Header=BB192_12 Depth=2
	s_mov_b32 s22, 0
	s_branch .LBB192_15
.LBB192_14:                             ;   in Loop: Header=BB192_15 Depth=3
	s_or_b32 exec_lo, exec_lo, s25
	s_delay_alu instid0(SALU_CYCLE_1) | instskip(NEXT) | instid1(SALU_CYCLE_1)
	s_and_b32 s23, exec_lo, s24
	s_or_b32 s22, s23, s22
	s_delay_alu instid0(SALU_CYCLE_1)
	s_and_not1_b32 exec_lo, exec_lo, s22
	s_cbranch_execz .LBB192_10
.LBB192_15:                             ;   Parent Loop BB192_8 Depth=1
                                        ;     Parent Loop BB192_12 Depth=2
                                        ; =>    This Inner Loop Header: Depth=3
	s_mov_b32 s23, 0
	s_mov_b32 s24, exec_lo
	v_cmpx_ne_u32_e64 s33, v22
	s_xor_b32 s24, exec_lo, s24
	s_cbranch_execz .LBB192_17
; %bb.16:                               ;   in Loop: Header=BB192_15 Depth=3
	v_add_nc_u32_e32 v1, 1, v1
	s_mov_b32 s23, exec_lo
                                        ; implicit-def: $vgpr21
	s_delay_alu instid0(VALU_DEP_1)
	v_and_b32_e32 v1, 0x1fff, v1
	s_and_not1_saveexec_b32 s24, s24
	s_cbranch_execz .LBB192_19
	s_branch .LBB192_18
.LBB192_17:                             ;   in Loop: Header=BB192_15 Depth=3
	s_and_not1_saveexec_b32 s24, s24
	s_cbranch_execz .LBB192_19
.LBB192_18:                             ;   in Loop: Header=BB192_15 Depth=3
	v_mov_b32_e32 v22, s33
	s_and_not1_b32 s23, s23, exec_lo
	ds_cmpstore_rtn_b32 v21, v21, v20, v22
	s_wait_dscnt 0x0
	v_cmp_ne_u32_e32 vcc_lo, s33, v21
	s_and_b32 s25, vcc_lo, exec_lo
	s_delay_alu instid0(SALU_CYCLE_1)
	s_or_b32 s23, s23, s25
.LBB192_19:                             ;   in Loop: Header=BB192_15 Depth=3
	s_or_b32 exec_lo, exec_lo, s24
	s_mov_b32 s24, -1
                                        ; implicit-def: $vgpr21
                                        ; implicit-def: $vgpr22
	s_and_saveexec_b32 s25, s23
	s_cbranch_execz .LBB192_14
; %bb.20:                               ;   in Loop: Header=BB192_15 Depth=3
	v_lshl_add_u32 v21, v1, 2, 0
	ds_load_b32 v22, v21
	s_wait_dscnt 0x0
	v_cmp_eq_u32_e32 vcc_lo, v22, v20
	s_or_not1_b32 s24, vcc_lo, exec_lo
	s_branch .LBB192_14
.LBB192_21:
	s_or_b32 exec_lo, exec_lo, s17
.LBB192_22:
	s_delay_alu instid0(SALU_CYCLE_1)
	s_and_not1_b32 vcc_lo, exec_lo, s16
	s_cbranch_vccnz .LBB192_37
; %bb.23:
	s_wait_xcnt 0x0
	s_load_b64 s[2:3], s[0:1], 0x58
	s_wait_kmcnt 0x0
	s_ashr_i32 s35, s34, 31
	v_mov_b32_e32 v1, 0
	s_lshl_b64 s[4:5], s[34:35], 3
	s_delay_alu instid0(SALU_CYCLE_1) | instskip(SKIP_4) | instid1(SALU_CYCLE_1)
	s_add_nc_u64 s[2:3], s[2:3], s[4:5]
	s_load_b128 s[4:7], s[2:3], 0x0
	s_wait_xcnt 0x0
	s_mov_b32 s3, 0
	s_mov_b32 s2, s39
	v_sub_nc_u64_e64 v[4:5], v[0:1], s[2:3]
	s_wait_kmcnt 0x0
	s_delay_alu instid0(VALU_DEP_1) | instskip(SKIP_2) | instid1(VALU_DEP_1)
	v_add_nc_u64_e32 v[4:5], s[4:5], v[4:5]
	s_sub_nc_u64 s[8:9], s[6:7], s[2:3]
	s_mov_b32 s2, exec_lo
	v_cmpx_gt_i64_e64 s[8:9], v[4:5]
	s_cbranch_execz .LBB192_36
; %bb.24:
	s_load_b128 s[4:7], s[0:1], 0x60
	s_branch .LBB192_27
.LBB192_25:                             ;   in Loop: Header=BB192_27 Depth=1
	s_or_b32 exec_lo, exec_lo, s11
.LBB192_26:                             ;   in Loop: Header=BB192_27 Depth=1
	s_delay_alu instid0(SALU_CYCLE_1) | instskip(SKIP_4) | instid1(VALU_DEP_1)
	s_or_b32 exec_lo, exec_lo, s10
	s_wait_loadcnt 0x0
	v_mul_f64_e32 v[6:7], v[2:3], v[6:7]
	v_lshl_add_u32 v1, v1, 3, 0
	v_add_nc_u64_e32 v[4:5], 0x400, v[4:5]
	v_cmp_le_i64_e32 vcc_lo, s[8:9], v[4:5]
	s_or_b32 s3, vcc_lo, s3
	ds_add_f64 v1, v[6:7] offset:32768
	s_and_not1_b32 exec_lo, exec_lo, s3
	s_cbranch_execz .LBB192_36
.LBB192_27:                             ; =>This Loop Header: Depth=1
                                        ;     Child Loop BB192_30 Depth 2
	s_wait_kmcnt 0x0
	v_lshl_add_u64 v[6:7], v[4:5], 2, s[4:5]
	s_mov_b32 s10, exec_lo
	global_load_b32 v1, v[6:7], off
	s_wait_xcnt 0x0
	v_lshl_add_u64 v[6:7], v[4:5], 3, s[6:7]
	global_load_b64 v[6:7], v[6:7], off
	s_wait_loadcnt 0x1
	v_subrev_nc_u32_e32 v8, s39, v1
	s_delay_alu instid0(VALU_DEP_1) | instskip(NEXT) | instid1(VALU_DEP_1)
	v_mul_lo_u32 v1, 0x89, v8
	v_and_b32_e32 v1, 0x1fff, v1
	s_delay_alu instid0(VALU_DEP_1)
	v_lshl_add_u32 v9, v1, 2, 0
	ds_load_b32 v10, v9
	s_wait_dscnt 0x0
	s_wait_xcnt 0x0
	v_cmpx_ne_u32_e64 v10, v8
	s_cbranch_execz .LBB192_26
; %bb.28:                               ;   in Loop: Header=BB192_27 Depth=1
	s_mov_b32 s11, 0
	s_branch .LBB192_30
.LBB192_29:                             ;   in Loop: Header=BB192_30 Depth=2
	s_or_b32 exec_lo, exec_lo, s14
	s_delay_alu instid0(SALU_CYCLE_1) | instskip(NEXT) | instid1(SALU_CYCLE_1)
	s_and_b32 s12, exec_lo, s13
	s_or_b32 s11, s12, s11
	s_delay_alu instid0(SALU_CYCLE_1)
	s_and_not1_b32 exec_lo, exec_lo, s11
	s_cbranch_execz .LBB192_25
.LBB192_30:                             ;   Parent Loop BB192_27 Depth=1
                                        ; =>  This Inner Loop Header: Depth=2
	s_mov_b32 s12, 0
	s_mov_b32 s13, exec_lo
	v_cmpx_ne_u32_e64 s33, v10
	s_xor_b32 s13, exec_lo, s13
	s_cbranch_execz .LBB192_32
; %bb.31:                               ;   in Loop: Header=BB192_30 Depth=2
	v_add_nc_u32_e32 v1, 1, v1
	s_mov_b32 s12, exec_lo
                                        ; implicit-def: $vgpr9
	s_delay_alu instid0(VALU_DEP_1)
	v_and_b32_e32 v1, 0x1fff, v1
	s_and_not1_saveexec_b32 s13, s13
	s_cbranch_execz .LBB192_34
	s_branch .LBB192_33
.LBB192_32:                             ;   in Loop: Header=BB192_30 Depth=2
	s_and_not1_saveexec_b32 s13, s13
	s_cbranch_execz .LBB192_34
.LBB192_33:                             ;   in Loop: Header=BB192_30 Depth=2
	v_mov_b32_e32 v10, s33
	s_and_not1_b32 s12, s12, exec_lo
	ds_cmpstore_rtn_b32 v9, v9, v8, v10
	s_wait_dscnt 0x0
	v_cmp_ne_u32_e32 vcc_lo, s33, v9
	s_and_b32 s14, vcc_lo, exec_lo
	s_delay_alu instid0(SALU_CYCLE_1)
	s_or_b32 s12, s12, s14
.LBB192_34:                             ;   in Loop: Header=BB192_30 Depth=2
	s_or_b32 exec_lo, exec_lo, s13
	s_mov_b32 s13, -1
                                        ; implicit-def: $vgpr9
                                        ; implicit-def: $vgpr10
	s_and_saveexec_b32 s14, s12
	s_cbranch_execz .LBB192_29
; %bb.35:                               ;   in Loop: Header=BB192_30 Depth=2
	v_lshl_add_u32 v9, v1, 2, 0
	ds_load_b32 v10, v9
	s_wait_dscnt 0x0
	v_cmp_eq_u32_e32 vcc_lo, v10, v8
	s_or_not1_b32 s13, vcc_lo, exec_lo
	s_branch .LBB192_29
.LBB192_36:
	s_or_b32 exec_lo, exec_lo, s2
.LBB192_37:
	s_clause 0x1
	s_load_b64 s[36:37], s[0:1], 0x80
	s_load_b64 s[40:41], s[0:1], 0x70
	v_mbcnt_lo_u32_b32 v1, -1, 0
	v_lshrrev_b32_e32 v2, 3, v0
	s_wait_xcnt 0x0
	v_cmp_lt_u32_e64 s0, 31, v0
	v_cmp_lt_u32_e64 s1, 63, v0
	;; [unrolled: 1-line block ×3, first 2 shown]
	v_xor_b32_e32 v1, 31, v1
	v_and_b32_e32 v3, 0x7c, v2
	v_cmp_lt_u32_e64 s3, 0x7f, v0
	v_cmp_lt_u32_e64 s4, 0x9f, v0
	;; [unrolled: 1-line block ×3, first 2 shown]
	v_lshrrev_b32_e64 v2, v1, -1
	v_mov_b32_e32 v1, 0
	v_add3_u32 v3, 0x18000, 0, v3
	v_cmp_lt_u32_e64 s6, 0xdf, v0
	v_cmp_lt_u32_e64 s7, 0xff, v0
	;; [unrolled: 1-line block ×25, first 2 shown]
	v_add3_u32 v6, v19, 0, 0x8000
	v_or_b32_e32 v7, 0xfffffc00, v0
	s_mov_b32 s35, 0
	s_add_co_i32 s39, 0, 0x18000
	s_add_co_i32 s42, 0, 0x18004
	;; [unrolled: 1-line block ×32, first 2 shown]
	s_wait_dscnt 0x0
	s_barrier_signal -1
	s_barrier_wait -1
	v_cmp_eq_u32_e32 vcc_lo, 0x3ff, v0
	s_branch .LBB192_39
.LBB192_38:                             ;   in Loop: Header=BB192_39 Depth=1
	s_or_b32 exec_lo, exec_lo, s31
	v_dual_mov_b32 v4, s72 :: v_dual_add_nc_u32 v7, 0x400, v7
	s_wait_dscnt 0x0
	s_barrier_signal -1
	s_barrier_wait -1
	ds_load_b32 v4, v4
	v_cmp_lt_u32_e64 s31, 0x1bff, v7
	v_add_nc_u32_e32 v6, 0x2000, v6
	v_add_nc_u32_e32 v18, 0x1000, v18
	s_or_b32 s35, s31, s35
	s_wait_dscnt 0x0
	v_add_nc_u32_e32 v1, v4, v1
	s_and_not1_b32 exec_lo, exec_lo, s35
	s_cbranch_execz .LBB192_105
.LBB192_39:                             ; =>This Inner Loop Header: Depth=1
	ds_load_b32 v8, v18
	ds_load_b64 v[4:5], v6
	s_wait_dscnt 0x0
	s_barrier_signal -1
	s_barrier_wait -1
	v_cmp_gt_i32_e64 s31, s33, v8
	s_bcnt1_i32_b32 s73, s31
	s_delay_alu instid0(SALU_CYCLE_1) | instskip(NEXT) | instid1(VALU_DEP_1)
	v_dual_mov_b32 v10, s73 :: v_dual_bitop2_b32 v9, s31, v2 bitop3:0x40
	v_bcnt_u32_b32 v9, v9, 0
	ds_store_b32 v3, v10
	s_wait_dscnt 0x0
	s_barrier_signal -1
	s_barrier_wait -1
	s_and_saveexec_b32 s73, s0
	s_cbranch_execz .LBB192_72
; %bb.40:                               ;   in Loop: Header=BB192_39 Depth=1
	v_mov_b32_e32 v10, s39
	ds_load_b32 v10, v10
	s_wait_dscnt 0x0
	v_add_nc_u32_e32 v9, v10, v9
	s_or_b32 exec_lo, exec_lo, s73
	s_and_saveexec_b32 s73, s1
	s_cbranch_execnz .LBB192_73
.LBB192_41:                             ;   in Loop: Header=BB192_39 Depth=1
	s_or_b32 exec_lo, exec_lo, s73
	s_and_saveexec_b32 s73, s2
	s_cbranch_execz .LBB192_74
.LBB192_42:                             ;   in Loop: Header=BB192_39 Depth=1
	v_mov_b32_e32 v10, s43
	ds_load_b32 v10, v10
	s_wait_dscnt 0x0
	v_add_nc_u32_e32 v9, v10, v9
	s_or_b32 exec_lo, exec_lo, s73
	s_and_saveexec_b32 s73, s3
	s_cbranch_execnz .LBB192_75
.LBB192_43:                             ;   in Loop: Header=BB192_39 Depth=1
	s_or_b32 exec_lo, exec_lo, s73
	s_and_saveexec_b32 s73, s4
	s_cbranch_execz .LBB192_76
.LBB192_44:                             ;   in Loop: Header=BB192_39 Depth=1
	v_mov_b32_e32 v10, s45
	ds_load_b32 v10, v10
	s_wait_dscnt 0x0
	v_add_nc_u32_e32 v9, v10, v9
	s_or_b32 exec_lo, exec_lo, s73
	s_and_saveexec_b32 s73, s5
	s_cbranch_execnz .LBB192_77
.LBB192_45:                             ;   in Loop: Header=BB192_39 Depth=1
	s_or_b32 exec_lo, exec_lo, s73
	s_and_saveexec_b32 s73, s6
	s_cbranch_execz .LBB192_78
.LBB192_46:                             ;   in Loop: Header=BB192_39 Depth=1
	v_mov_b32_e32 v10, s47
	ds_load_b32 v10, v10
	s_wait_dscnt 0x0
	v_add_nc_u32_e32 v9, v10, v9
	s_or_b32 exec_lo, exec_lo, s73
	s_and_saveexec_b32 s73, s7
	s_cbranch_execnz .LBB192_79
.LBB192_47:                             ;   in Loop: Header=BB192_39 Depth=1
	s_or_b32 exec_lo, exec_lo, s73
	s_and_saveexec_b32 s73, s8
	s_cbranch_execz .LBB192_80
.LBB192_48:                             ;   in Loop: Header=BB192_39 Depth=1
	v_mov_b32_e32 v10, s49
	ds_load_b32 v10, v10
	s_wait_dscnt 0x0
	v_add_nc_u32_e32 v9, v10, v9
	s_or_b32 exec_lo, exec_lo, s73
	s_and_saveexec_b32 s73, s9
	s_cbranch_execnz .LBB192_81
.LBB192_49:                             ;   in Loop: Header=BB192_39 Depth=1
	s_or_b32 exec_lo, exec_lo, s73
	s_and_saveexec_b32 s73, s10
	s_cbranch_execz .LBB192_82
.LBB192_50:                             ;   in Loop: Header=BB192_39 Depth=1
	v_mov_b32_e32 v10, s51
	ds_load_b32 v10, v10
	s_wait_dscnt 0x0
	v_add_nc_u32_e32 v9, v10, v9
	s_or_b32 exec_lo, exec_lo, s73
	s_and_saveexec_b32 s73, s11
	s_cbranch_execnz .LBB192_83
.LBB192_51:                             ;   in Loop: Header=BB192_39 Depth=1
	s_or_b32 exec_lo, exec_lo, s73
	s_and_saveexec_b32 s73, s12
	s_cbranch_execz .LBB192_84
.LBB192_52:                             ;   in Loop: Header=BB192_39 Depth=1
	v_mov_b32_e32 v10, s53
	ds_load_b32 v10, v10
	s_wait_dscnt 0x0
	v_add_nc_u32_e32 v9, v10, v9
	s_or_b32 exec_lo, exec_lo, s73
	s_and_saveexec_b32 s73, s13
	s_cbranch_execnz .LBB192_85
.LBB192_53:                             ;   in Loop: Header=BB192_39 Depth=1
	s_or_b32 exec_lo, exec_lo, s73
	s_and_saveexec_b32 s73, s14
	s_cbranch_execz .LBB192_86
.LBB192_54:                             ;   in Loop: Header=BB192_39 Depth=1
	v_mov_b32_e32 v10, s55
	ds_load_b32 v10, v10
	s_wait_dscnt 0x0
	v_add_nc_u32_e32 v9, v10, v9
	s_or_b32 exec_lo, exec_lo, s73
	s_and_saveexec_b32 s73, s15
	s_cbranch_execnz .LBB192_87
.LBB192_55:                             ;   in Loop: Header=BB192_39 Depth=1
	s_or_b32 exec_lo, exec_lo, s73
	s_and_saveexec_b32 s73, s16
	s_cbranch_execz .LBB192_88
.LBB192_56:                             ;   in Loop: Header=BB192_39 Depth=1
	v_mov_b32_e32 v10, s57
	ds_load_b32 v10, v10
	s_wait_dscnt 0x0
	v_add_nc_u32_e32 v9, v10, v9
	s_or_b32 exec_lo, exec_lo, s73
	s_and_saveexec_b32 s73, s17
	s_cbranch_execnz .LBB192_89
.LBB192_57:                             ;   in Loop: Header=BB192_39 Depth=1
	s_or_b32 exec_lo, exec_lo, s73
	s_and_saveexec_b32 s73, s18
	s_cbranch_execz .LBB192_90
.LBB192_58:                             ;   in Loop: Header=BB192_39 Depth=1
	v_mov_b32_e32 v10, s59
	ds_load_b32 v10, v10
	s_wait_dscnt 0x0
	v_add_nc_u32_e32 v9, v10, v9
	s_or_b32 exec_lo, exec_lo, s73
	s_and_saveexec_b32 s73, s19
	s_cbranch_execnz .LBB192_91
.LBB192_59:                             ;   in Loop: Header=BB192_39 Depth=1
	s_or_b32 exec_lo, exec_lo, s73
	s_and_saveexec_b32 s73, s20
	s_cbranch_execz .LBB192_92
.LBB192_60:                             ;   in Loop: Header=BB192_39 Depth=1
	v_mov_b32_e32 v10, s61
	ds_load_b32 v10, v10
	s_wait_dscnt 0x0
	v_add_nc_u32_e32 v9, v10, v9
	s_or_b32 exec_lo, exec_lo, s73
	s_and_saveexec_b32 s73, s21
	s_cbranch_execnz .LBB192_93
.LBB192_61:                             ;   in Loop: Header=BB192_39 Depth=1
	s_or_b32 exec_lo, exec_lo, s73
	s_and_saveexec_b32 s73, s22
	s_cbranch_execz .LBB192_94
.LBB192_62:                             ;   in Loop: Header=BB192_39 Depth=1
	v_mov_b32_e32 v10, s63
	ds_load_b32 v10, v10
	s_wait_dscnt 0x0
	v_add_nc_u32_e32 v9, v10, v9
	s_or_b32 exec_lo, exec_lo, s73
	s_and_saveexec_b32 s73, s23
	s_cbranch_execnz .LBB192_95
.LBB192_63:                             ;   in Loop: Header=BB192_39 Depth=1
	s_or_b32 exec_lo, exec_lo, s73
	s_and_saveexec_b32 s73, s24
	s_cbranch_execz .LBB192_96
.LBB192_64:                             ;   in Loop: Header=BB192_39 Depth=1
	v_mov_b32_e32 v10, s65
	ds_load_b32 v10, v10
	s_wait_dscnt 0x0
	v_add_nc_u32_e32 v9, v10, v9
	s_or_b32 exec_lo, exec_lo, s73
	s_and_saveexec_b32 s73, s25
	s_cbranch_execnz .LBB192_97
.LBB192_65:                             ;   in Loop: Header=BB192_39 Depth=1
	s_or_b32 exec_lo, exec_lo, s73
	s_and_saveexec_b32 s73, s26
	s_cbranch_execz .LBB192_98
.LBB192_66:                             ;   in Loop: Header=BB192_39 Depth=1
	v_mov_b32_e32 v10, s67
	ds_load_b32 v10, v10
	s_wait_dscnt 0x0
	v_add_nc_u32_e32 v9, v10, v9
	s_or_b32 exec_lo, exec_lo, s73
	s_and_saveexec_b32 s73, s27
	s_cbranch_execnz .LBB192_99
.LBB192_67:                             ;   in Loop: Header=BB192_39 Depth=1
	s_or_b32 exec_lo, exec_lo, s73
	s_and_saveexec_b32 s73, s28
	s_cbranch_execz .LBB192_100
.LBB192_68:                             ;   in Loop: Header=BB192_39 Depth=1
	v_mov_b32_e32 v10, s69
	ds_load_b32 v10, v10
	s_wait_dscnt 0x0
	v_add_nc_u32_e32 v9, v10, v9
	s_or_b32 exec_lo, exec_lo, s73
	s_and_saveexec_b32 s73, s29
	s_cbranch_execnz .LBB192_101
.LBB192_69:                             ;   in Loop: Header=BB192_39 Depth=1
	s_or_b32 exec_lo, exec_lo, s73
	s_and_saveexec_b32 s73, s30
	s_cbranch_execz .LBB192_102
.LBB192_70:                             ;   in Loop: Header=BB192_39 Depth=1
	v_mov_b32_e32 v10, s71
	ds_load_b32 v10, v10
	s_wait_dscnt 0x0
	v_add_nc_u32_e32 v9, v10, v9
	s_or_b32 exec_lo, exec_lo, s73
	s_and_saveexec_b32 s73, s31
	s_cbranch_execnz .LBB192_103
.LBB192_71:                             ;   in Loop: Header=BB192_39 Depth=1
	s_or_b32 exec_lo, exec_lo, s73
	s_and_saveexec_b32 s31, vcc_lo
	s_cbranch_execz .LBB192_38
	s_branch .LBB192_104
.LBB192_72:                             ;   in Loop: Header=BB192_39 Depth=1
	s_or_b32 exec_lo, exec_lo, s73
	s_and_saveexec_b32 s73, s1
	s_cbranch_execz .LBB192_41
.LBB192_73:                             ;   in Loop: Header=BB192_39 Depth=1
	v_mov_b32_e32 v10, s42
	ds_load_b32 v10, v10
	s_wait_dscnt 0x0
	v_add_nc_u32_e32 v9, v10, v9
	s_or_b32 exec_lo, exec_lo, s73
	s_and_saveexec_b32 s73, s2
	s_cbranch_execnz .LBB192_42
.LBB192_74:                             ;   in Loop: Header=BB192_39 Depth=1
	s_or_b32 exec_lo, exec_lo, s73
	s_and_saveexec_b32 s73, s3
	s_cbranch_execz .LBB192_43
.LBB192_75:                             ;   in Loop: Header=BB192_39 Depth=1
	v_mov_b32_e32 v10, s44
	ds_load_b32 v10, v10
	s_wait_dscnt 0x0
	v_add_nc_u32_e32 v9, v10, v9
	s_or_b32 exec_lo, exec_lo, s73
	s_and_saveexec_b32 s73, s4
	s_cbranch_execnz .LBB192_44
.LBB192_76:                             ;   in Loop: Header=BB192_39 Depth=1
	s_or_b32 exec_lo, exec_lo, s73
	s_and_saveexec_b32 s73, s5
	s_cbranch_execz .LBB192_45
.LBB192_77:                             ;   in Loop: Header=BB192_39 Depth=1
	v_mov_b32_e32 v10, s46
	ds_load_b32 v10, v10
	s_wait_dscnt 0x0
	v_add_nc_u32_e32 v9, v10, v9
	s_or_b32 exec_lo, exec_lo, s73
	s_and_saveexec_b32 s73, s6
	s_cbranch_execnz .LBB192_46
.LBB192_78:                             ;   in Loop: Header=BB192_39 Depth=1
	s_or_b32 exec_lo, exec_lo, s73
	s_and_saveexec_b32 s73, s7
	s_cbranch_execz .LBB192_47
.LBB192_79:                             ;   in Loop: Header=BB192_39 Depth=1
	v_mov_b32_e32 v10, s48
	ds_load_b32 v10, v10
	s_wait_dscnt 0x0
	v_add_nc_u32_e32 v9, v10, v9
	s_or_b32 exec_lo, exec_lo, s73
	s_and_saveexec_b32 s73, s8
	s_cbranch_execnz .LBB192_48
.LBB192_80:                             ;   in Loop: Header=BB192_39 Depth=1
	s_or_b32 exec_lo, exec_lo, s73
	s_and_saveexec_b32 s73, s9
	s_cbranch_execz .LBB192_49
.LBB192_81:                             ;   in Loop: Header=BB192_39 Depth=1
	v_mov_b32_e32 v10, s50
	ds_load_b32 v10, v10
	s_wait_dscnt 0x0
	v_add_nc_u32_e32 v9, v10, v9
	s_or_b32 exec_lo, exec_lo, s73
	s_and_saveexec_b32 s73, s10
	s_cbranch_execnz .LBB192_50
.LBB192_82:                             ;   in Loop: Header=BB192_39 Depth=1
	s_or_b32 exec_lo, exec_lo, s73
	s_and_saveexec_b32 s73, s11
	s_cbranch_execz .LBB192_51
.LBB192_83:                             ;   in Loop: Header=BB192_39 Depth=1
	v_mov_b32_e32 v10, s52
	ds_load_b32 v10, v10
	s_wait_dscnt 0x0
	v_add_nc_u32_e32 v9, v10, v9
	s_or_b32 exec_lo, exec_lo, s73
	s_and_saveexec_b32 s73, s12
	s_cbranch_execnz .LBB192_52
.LBB192_84:                             ;   in Loop: Header=BB192_39 Depth=1
	s_or_b32 exec_lo, exec_lo, s73
	s_and_saveexec_b32 s73, s13
	s_cbranch_execz .LBB192_53
.LBB192_85:                             ;   in Loop: Header=BB192_39 Depth=1
	v_mov_b32_e32 v10, s54
	ds_load_b32 v10, v10
	s_wait_dscnt 0x0
	v_add_nc_u32_e32 v9, v10, v9
	s_or_b32 exec_lo, exec_lo, s73
	s_and_saveexec_b32 s73, s14
	s_cbranch_execnz .LBB192_54
.LBB192_86:                             ;   in Loop: Header=BB192_39 Depth=1
	s_or_b32 exec_lo, exec_lo, s73
	s_and_saveexec_b32 s73, s15
	s_cbranch_execz .LBB192_55
.LBB192_87:                             ;   in Loop: Header=BB192_39 Depth=1
	v_mov_b32_e32 v10, s56
	ds_load_b32 v10, v10
	s_wait_dscnt 0x0
	v_add_nc_u32_e32 v9, v10, v9
	s_or_b32 exec_lo, exec_lo, s73
	s_and_saveexec_b32 s73, s16
	s_cbranch_execnz .LBB192_56
.LBB192_88:                             ;   in Loop: Header=BB192_39 Depth=1
	s_or_b32 exec_lo, exec_lo, s73
	s_and_saveexec_b32 s73, s17
	s_cbranch_execz .LBB192_57
.LBB192_89:                             ;   in Loop: Header=BB192_39 Depth=1
	v_mov_b32_e32 v10, s58
	ds_load_b32 v10, v10
	s_wait_dscnt 0x0
	v_add_nc_u32_e32 v9, v10, v9
	s_or_b32 exec_lo, exec_lo, s73
	s_and_saveexec_b32 s73, s18
	s_cbranch_execnz .LBB192_58
.LBB192_90:                             ;   in Loop: Header=BB192_39 Depth=1
	s_or_b32 exec_lo, exec_lo, s73
	s_and_saveexec_b32 s73, s19
	s_cbranch_execz .LBB192_59
.LBB192_91:                             ;   in Loop: Header=BB192_39 Depth=1
	v_mov_b32_e32 v10, s60
	ds_load_b32 v10, v10
	s_wait_dscnt 0x0
	v_add_nc_u32_e32 v9, v10, v9
	s_or_b32 exec_lo, exec_lo, s73
	s_and_saveexec_b32 s73, s20
	s_cbranch_execnz .LBB192_60
.LBB192_92:                             ;   in Loop: Header=BB192_39 Depth=1
	s_or_b32 exec_lo, exec_lo, s73
	s_and_saveexec_b32 s73, s21
	s_cbranch_execz .LBB192_61
.LBB192_93:                             ;   in Loop: Header=BB192_39 Depth=1
	v_mov_b32_e32 v10, s62
	ds_load_b32 v10, v10
	s_wait_dscnt 0x0
	v_add_nc_u32_e32 v9, v10, v9
	s_or_b32 exec_lo, exec_lo, s73
	s_and_saveexec_b32 s73, s22
	s_cbranch_execnz .LBB192_62
.LBB192_94:                             ;   in Loop: Header=BB192_39 Depth=1
	s_or_b32 exec_lo, exec_lo, s73
	s_and_saveexec_b32 s73, s23
	s_cbranch_execz .LBB192_63
.LBB192_95:                             ;   in Loop: Header=BB192_39 Depth=1
	v_mov_b32_e32 v10, s64
	ds_load_b32 v10, v10
	s_wait_dscnt 0x0
	v_add_nc_u32_e32 v9, v10, v9
	s_or_b32 exec_lo, exec_lo, s73
	s_and_saveexec_b32 s73, s24
	s_cbranch_execnz .LBB192_64
.LBB192_96:                             ;   in Loop: Header=BB192_39 Depth=1
	s_or_b32 exec_lo, exec_lo, s73
	s_and_saveexec_b32 s73, s25
	s_cbranch_execz .LBB192_65
.LBB192_97:                             ;   in Loop: Header=BB192_39 Depth=1
	v_mov_b32_e32 v10, s66
	ds_load_b32 v10, v10
	s_wait_dscnt 0x0
	v_add_nc_u32_e32 v9, v10, v9
	s_or_b32 exec_lo, exec_lo, s73
	s_and_saveexec_b32 s73, s26
	s_cbranch_execnz .LBB192_66
.LBB192_98:                             ;   in Loop: Header=BB192_39 Depth=1
	s_or_b32 exec_lo, exec_lo, s73
	s_and_saveexec_b32 s73, s27
	s_cbranch_execz .LBB192_67
.LBB192_99:                             ;   in Loop: Header=BB192_39 Depth=1
	v_mov_b32_e32 v10, s68
	ds_load_b32 v10, v10
	s_wait_dscnt 0x0
	v_add_nc_u32_e32 v9, v10, v9
	s_or_b32 exec_lo, exec_lo, s73
	s_and_saveexec_b32 s73, s28
	s_cbranch_execnz .LBB192_68
.LBB192_100:                            ;   in Loop: Header=BB192_39 Depth=1
	s_or_b32 exec_lo, exec_lo, s73
	s_and_saveexec_b32 s73, s29
	s_cbranch_execz .LBB192_69
.LBB192_101:                            ;   in Loop: Header=BB192_39 Depth=1
	v_mov_b32_e32 v10, s70
	ds_load_b32 v10, v10
	s_wait_dscnt 0x0
	v_add_nc_u32_e32 v9, v10, v9
	s_or_b32 exec_lo, exec_lo, s73
	s_and_saveexec_b32 s73, s30
	s_cbranch_execnz .LBB192_70
.LBB192_102:                            ;   in Loop: Header=BB192_39 Depth=1
	s_or_b32 exec_lo, exec_lo, s73
	s_and_saveexec_b32 s73, s31
	s_cbranch_execz .LBB192_71
.LBB192_103:                            ;   in Loop: Header=BB192_39 Depth=1
	s_delay_alu instid0(VALU_DEP_1) | instskip(SKIP_1) | instid1(VALU_DEP_2)
	v_add3_u32 v10, v1, -1, v9
	v_add_nc_u32_e32 v11, v1, v9
	v_lshl_add_u32 v10, v10, 2, 0
	s_delay_alu instid0(VALU_DEP_2)
	v_lshl_add_u32 v11, v11, 3, 0
	ds_store_b32 v10, v8
	ds_store_b64 v11, v[4:5] offset:32760
	s_or_b32 exec_lo, exec_lo, s73
	s_and_saveexec_b32 s31, vcc_lo
	s_cbranch_execz .LBB192_38
.LBB192_104:                            ;   in Loop: Header=BB192_39 Depth=1
	v_mov_b32_e32 v4, s72
	ds_store_b32 v4, v9
	s_branch .LBB192_38
.LBB192_105:
	s_or_b32 exec_lo, exec_lo, s35
	s_wait_kmcnt 0x0
	s_ashr_i32 s35, s34, 31
	s_delay_alu instid0(SALU_CYCLE_1) | instskip(NEXT) | instid1(SALU_CYCLE_1)
	s_lshl_b64 s[0:1], s[34:35], 3
	s_add_nc_u64 s[4:5], s[40:41], s[0:1]
	s_load_b128 s[0:3], s[4:5], 0x0
	s_wait_xcnt 0x0
	s_mov_b32 s4, exec_lo
	s_wait_kmcnt 0x0
	s_sub_co_i32 s3, s2, s0
	s_delay_alu instid0(SALU_CYCLE_1)
	v_cmpx_gt_i32_e64 s3, v0
	s_cbranch_execz .LBB192_115
; %bb.106:
	s_sub_co_i32 s4, s0, s2
	s_and_b32 s2, s3, 7
	s_cmp_lt_u32 s4, -7
	s_mov_b32 s39, 0
	s_cselect_b32 s4, -1, 0
	s_and_b32 s5, s3, -8
	s_cmp_lg_u32 s2, 0
	s_sub_nc_u64 s[0:1], s[0:1], s[38:39]
	s_cselect_b32 s6, -1, 0
	s_mov_b32 s7, 0
	s_branch .LBB192_108
.LBB192_107:                            ;   in Loop: Header=BB192_108 Depth=1
	v_add_nc_u32_e32 v0, 0x400, v0
	s_delay_alu instid0(VALU_DEP_2) | instskip(NEXT) | instid1(VALU_DEP_2)
	v_lshl_add_u64 v[4:5], v[4:5], 3, s[36:37]
	v_cmp_le_i32_e32 vcc_lo, s3, v0
	s_wait_dscnt 0x0
	global_store_b64 v[4:5], v[2:3], off
	s_or_b32 s7, vcc_lo, s7
	s_wait_xcnt 0x0
	s_and_not1_b32 exec_lo, exec_lo, s7
	s_cbranch_execz .LBB192_115
.LBB192_108:                            ; =>This Loop Header: Depth=1
                                        ;     Child Loop BB192_110 Depth 2
                                        ;     Child Loop BB192_114 Depth 2
	v_lshlrev_b32_e32 v1, 2, v0
	v_mov_b64_e32 v[4:5], s[0:1]
	s_and_not1_b32 vcc_lo, exec_lo, s4
	s_mov_b32 s8, 0
	s_delay_alu instid0(VALU_DEP_2) | instskip(NEXT) | instid1(VALU_DEP_1)
	v_add_nc_u32_e32 v2, 0, v1
	v_add_nc_u32_e32 v3, v2, v1
	ds_load_b32 v1, v2
	ds_load_b64 v[2:3], v3 offset:32768
	s_cbranch_vccnz .LBB192_112
; %bb.109:                              ;   in Loop: Header=BB192_108 Depth=1
	v_mov_b64_e32 v[4:5], s[0:1]
	s_mov_b32 s9, 0
.LBB192_110:                            ;   Parent Loop BB192_108 Depth=1
                                        ; =>  This Inner Loop Header: Depth=2
	s_delay_alu instid0(SALU_CYCLE_1)
	v_dual_mov_b32 v10, s9 :: v_dual_mov_b32 v11, s39
	v_mov_b32_e32 v17, s39
	s_add_co_i32 s8, s8, 8
	s_add_co_i32 s9, s9, 32
	ds_load_2addr_b32 v[6:7], v10 offset1:1
	ds_load_2addr_b32 v[8:9], v10 offset0:2 offset1:3
	ds_load_2addr_b32 v[12:13], v10 offset0:4 offset1:5
	;; [unrolled: 1-line block ×3, first 2 shown]
	s_cmp_eq_u32 s5, s8
	s_wait_dscnt 0x3
	v_cmp_gt_i32_e32 vcc_lo, v1, v6
	v_cndmask_b32_e64 v10, 0, 1, vcc_lo
	v_cmp_gt_i32_e32 vcc_lo, v1, v7
	v_mov_b32_e32 v7, s39
	s_delay_alu instid0(VALU_DEP_3) | instskip(SKIP_4) | instid1(VALU_DEP_3)
	v_add_nc_u64_e32 v[4:5], v[4:5], v[10:11]
	v_cndmask_b32_e64 v16, 0, 1, vcc_lo
	s_wait_dscnt 0x2
	v_cmp_gt_i32_e32 vcc_lo, v1, v8
	v_cndmask_b32_e64 v6, 0, 1, vcc_lo
	v_add_nc_u64_e32 v[4:5], v[4:5], v[16:17]
	v_cmp_gt_i32_e32 vcc_lo, v1, v9
	v_mov_b32_e32 v9, s39
	v_cndmask_b32_e64 v10, 0, 1, vcc_lo
	s_delay_alu instid0(VALU_DEP_4) | instskip(SKIP_3) | instid1(VALU_DEP_3)
	v_add_nc_u64_e32 v[4:5], v[4:5], v[6:7]
	s_wait_dscnt 0x1
	v_cmp_gt_i32_e32 vcc_lo, v1, v12
	v_cndmask_b32_e64 v6, 0, 1, vcc_lo
	v_add_nc_u64_e32 v[4:5], v[4:5], v[10:11]
	v_cmp_gt_i32_e32 vcc_lo, v1, v13
	v_cndmask_b32_e64 v8, 0, 1, vcc_lo
	s_delay_alu instid0(VALU_DEP_3) | instskip(SKIP_3) | instid1(VALU_DEP_3)
	v_add_nc_u64_e32 v[4:5], v[4:5], v[6:7]
	s_wait_dscnt 0x0
	v_cmp_gt_i32_e32 vcc_lo, v1, v14
	v_cndmask_b32_e64 v6, 0, 1, vcc_lo
	v_add_nc_u64_e32 v[4:5], v[4:5], v[8:9]
	v_cmp_gt_i32_e32 vcc_lo, v1, v15
	v_cndmask_b32_e64 v8, 0, 1, vcc_lo
	s_delay_alu instid0(VALU_DEP_3) | instskip(NEXT) | instid1(VALU_DEP_1)
	v_add_nc_u64_e32 v[4:5], v[4:5], v[6:7]
	v_add_nc_u64_e32 v[4:5], v[4:5], v[8:9]
	s_cbranch_scc0 .LBB192_110
; %bb.111:                              ;   in Loop: Header=BB192_108 Depth=1
	s_mov_b32 s8, s5
.LBB192_112:                            ;   in Loop: Header=BB192_108 Depth=1
	s_and_not1_b32 vcc_lo, exec_lo, s6
	s_cbranch_vccnz .LBB192_107
; %bb.113:                              ;   in Loop: Header=BB192_108 Depth=1
	s_lshl_b32 s8, s8, 2
	s_mov_b32 s9, s2
	s_add_co_i32 s8, s8, 0
.LBB192_114:                            ;   Parent Loop BB192_108 Depth=1
                                        ; =>  This Inner Loop Header: Depth=2
	s_delay_alu instid0(SALU_CYCLE_1)
	v_dual_mov_b32 v6, s8 :: v_dual_mov_b32 v7, s39
	s_add_co_i32 s9, s9, -1
	s_add_co_i32 s8, s8, 4
	s_cmp_lg_u32 s9, 0
	ds_load_b32 v6, v6
	s_wait_dscnt 0x0
	v_cmp_gt_i32_e32 vcc_lo, v1, v6
	v_cndmask_b32_e64 v6, 0, 1, vcc_lo
	s_delay_alu instid0(VALU_DEP_1)
	v_add_nc_u64_e32 v[4:5], v[4:5], v[6:7]
	s_cbranch_scc1 .LBB192_114
	s_branch .LBB192_107
.LBB192_115:
	s_endpgm
	.section	.rodata,"a",@progbits
	.p2align	6, 0x0
	.amdhsa_kernel _ZN9rocsparseL41csrgemm_numeric_fill_block_per_row_kernelILj1024ELj64ELj8192ELj137ELj32ElidEEvT5_PKS1_S3_NS_24const_host_device_scalarIT6_EEPKT4_S3_PKS5_S9_S3_SB_S6_S9_S3_SB_S9_S3_PS5_21rocsparse_index_base_SD_SD_SD_bbb
		.amdhsa_group_segment_fixed_size 0
		.amdhsa_private_segment_fixed_size 0
		.amdhsa_kernarg_size 156
		.amdhsa_user_sgpr_count 2
		.amdhsa_user_sgpr_dispatch_ptr 0
		.amdhsa_user_sgpr_queue_ptr 0
		.amdhsa_user_sgpr_kernarg_segment_ptr 1
		.amdhsa_user_sgpr_dispatch_id 0
		.amdhsa_user_sgpr_kernarg_preload_length 0
		.amdhsa_user_sgpr_kernarg_preload_offset 0
		.amdhsa_user_sgpr_private_segment_size 0
		.amdhsa_wavefront_size32 1
		.amdhsa_uses_dynamic_stack 0
		.amdhsa_enable_private_segment 0
		.amdhsa_system_sgpr_workgroup_id_x 1
		.amdhsa_system_sgpr_workgroup_id_y 0
		.amdhsa_system_sgpr_workgroup_id_z 0
		.amdhsa_system_sgpr_workgroup_info 0
		.amdhsa_system_vgpr_workitem_id 0
		.amdhsa_next_free_vgpr 23
		.amdhsa_next_free_sgpr 74
		.amdhsa_named_barrier_count 0
		.amdhsa_reserve_vcc 1
		.amdhsa_float_round_mode_32 0
		.amdhsa_float_round_mode_16_64 0
		.amdhsa_float_denorm_mode_32 3
		.amdhsa_float_denorm_mode_16_64 3
		.amdhsa_fp16_overflow 0
		.amdhsa_memory_ordered 1
		.amdhsa_forward_progress 1
		.amdhsa_inst_pref_size 36
		.amdhsa_round_robin_scheduling 0
		.amdhsa_exception_fp_ieee_invalid_op 0
		.amdhsa_exception_fp_denorm_src 0
		.amdhsa_exception_fp_ieee_div_zero 0
		.amdhsa_exception_fp_ieee_overflow 0
		.amdhsa_exception_fp_ieee_underflow 0
		.amdhsa_exception_fp_ieee_inexact 0
		.amdhsa_exception_int_div_zero 0
	.end_amdhsa_kernel
	.section	.text._ZN9rocsparseL41csrgemm_numeric_fill_block_per_row_kernelILj1024ELj64ELj8192ELj137ELj32ElidEEvT5_PKS1_S3_NS_24const_host_device_scalarIT6_EEPKT4_S3_PKS5_S9_S3_SB_S6_S9_S3_SB_S9_S3_PS5_21rocsparse_index_base_SD_SD_SD_bbb,"axG",@progbits,_ZN9rocsparseL41csrgemm_numeric_fill_block_per_row_kernelILj1024ELj64ELj8192ELj137ELj32ElidEEvT5_PKS1_S3_NS_24const_host_device_scalarIT6_EEPKT4_S3_PKS5_S9_S3_SB_S6_S9_S3_SB_S9_S3_PS5_21rocsparse_index_base_SD_SD_SD_bbb,comdat
.Lfunc_end192:
	.size	_ZN9rocsparseL41csrgemm_numeric_fill_block_per_row_kernelILj1024ELj64ELj8192ELj137ELj32ElidEEvT5_PKS1_S3_NS_24const_host_device_scalarIT6_EEPKT4_S3_PKS5_S9_S3_SB_S6_S9_S3_SB_S9_S3_PS5_21rocsparse_index_base_SD_SD_SD_bbb, .Lfunc_end192-_ZN9rocsparseL41csrgemm_numeric_fill_block_per_row_kernelILj1024ELj64ELj8192ELj137ELj32ElidEEvT5_PKS1_S3_NS_24const_host_device_scalarIT6_EEPKT4_S3_PKS5_S9_S3_SB_S6_S9_S3_SB_S9_S3_PS5_21rocsparse_index_base_SD_SD_SD_bbb
                                        ; -- End function
	.set _ZN9rocsparseL41csrgemm_numeric_fill_block_per_row_kernelILj1024ELj64ELj8192ELj137ELj32ElidEEvT5_PKS1_S3_NS_24const_host_device_scalarIT6_EEPKT4_S3_PKS5_S9_S3_SB_S6_S9_S3_SB_S9_S3_PS5_21rocsparse_index_base_SD_SD_SD_bbb.num_vgpr, 23
	.set _ZN9rocsparseL41csrgemm_numeric_fill_block_per_row_kernelILj1024ELj64ELj8192ELj137ELj32ElidEEvT5_PKS1_S3_NS_24const_host_device_scalarIT6_EEPKT4_S3_PKS5_S9_S3_SB_S6_S9_S3_SB_S9_S3_PS5_21rocsparse_index_base_SD_SD_SD_bbb.num_agpr, 0
	.set _ZN9rocsparseL41csrgemm_numeric_fill_block_per_row_kernelILj1024ELj64ELj8192ELj137ELj32ElidEEvT5_PKS1_S3_NS_24const_host_device_scalarIT6_EEPKT4_S3_PKS5_S9_S3_SB_S6_S9_S3_SB_S9_S3_PS5_21rocsparse_index_base_SD_SD_SD_bbb.numbered_sgpr, 74
	.set _ZN9rocsparseL41csrgemm_numeric_fill_block_per_row_kernelILj1024ELj64ELj8192ELj137ELj32ElidEEvT5_PKS1_S3_NS_24const_host_device_scalarIT6_EEPKT4_S3_PKS5_S9_S3_SB_S6_S9_S3_SB_S9_S3_PS5_21rocsparse_index_base_SD_SD_SD_bbb.num_named_barrier, 0
	.set _ZN9rocsparseL41csrgemm_numeric_fill_block_per_row_kernelILj1024ELj64ELj8192ELj137ELj32ElidEEvT5_PKS1_S3_NS_24const_host_device_scalarIT6_EEPKT4_S3_PKS5_S9_S3_SB_S6_S9_S3_SB_S9_S3_PS5_21rocsparse_index_base_SD_SD_SD_bbb.private_seg_size, 0
	.set _ZN9rocsparseL41csrgemm_numeric_fill_block_per_row_kernelILj1024ELj64ELj8192ELj137ELj32ElidEEvT5_PKS1_S3_NS_24const_host_device_scalarIT6_EEPKT4_S3_PKS5_S9_S3_SB_S6_S9_S3_SB_S9_S3_PS5_21rocsparse_index_base_SD_SD_SD_bbb.uses_vcc, 1
	.set _ZN9rocsparseL41csrgemm_numeric_fill_block_per_row_kernelILj1024ELj64ELj8192ELj137ELj32ElidEEvT5_PKS1_S3_NS_24const_host_device_scalarIT6_EEPKT4_S3_PKS5_S9_S3_SB_S6_S9_S3_SB_S9_S3_PS5_21rocsparse_index_base_SD_SD_SD_bbb.uses_flat_scratch, 0
	.set _ZN9rocsparseL41csrgemm_numeric_fill_block_per_row_kernelILj1024ELj64ELj8192ELj137ELj32ElidEEvT5_PKS1_S3_NS_24const_host_device_scalarIT6_EEPKT4_S3_PKS5_S9_S3_SB_S6_S9_S3_SB_S9_S3_PS5_21rocsparse_index_base_SD_SD_SD_bbb.has_dyn_sized_stack, 0
	.set _ZN9rocsparseL41csrgemm_numeric_fill_block_per_row_kernelILj1024ELj64ELj8192ELj137ELj32ElidEEvT5_PKS1_S3_NS_24const_host_device_scalarIT6_EEPKT4_S3_PKS5_S9_S3_SB_S6_S9_S3_SB_S9_S3_PS5_21rocsparse_index_base_SD_SD_SD_bbb.has_recursion, 0
	.set _ZN9rocsparseL41csrgemm_numeric_fill_block_per_row_kernelILj1024ELj64ELj8192ELj137ELj32ElidEEvT5_PKS1_S3_NS_24const_host_device_scalarIT6_EEPKT4_S3_PKS5_S9_S3_SB_S6_S9_S3_SB_S9_S3_PS5_21rocsparse_index_base_SD_SD_SD_bbb.has_indirect_call, 0
	.section	.AMDGPU.csdata,"",@progbits
; Kernel info:
; codeLenInByte = 4512
; TotalNumSgprs: 76
; NumVgprs: 23
; ScratchSize: 0
; MemoryBound: 0
; FloatMode: 240
; IeeeMode: 1
; LDSByteSize: 0 bytes/workgroup (compile time only)
; SGPRBlocks: 0
; VGPRBlocks: 1
; NumSGPRsForWavesPerEU: 76
; NumVGPRsForWavesPerEU: 23
; NamedBarCnt: 0
; Occupancy: 16
; WaveLimiterHint : 1
; COMPUTE_PGM_RSRC2:SCRATCH_EN: 0
; COMPUTE_PGM_RSRC2:USER_SGPR: 2
; COMPUTE_PGM_RSRC2:TRAP_HANDLER: 0
; COMPUTE_PGM_RSRC2:TGID_X_EN: 1
; COMPUTE_PGM_RSRC2:TGID_Y_EN: 0
; COMPUTE_PGM_RSRC2:TGID_Z_EN: 0
; COMPUTE_PGM_RSRC2:TIDIG_COMP_CNT: 0
	.section	.text._ZN9rocsparseL41csrgemm_numeric_fill_block_per_row_kernelILj1024ELj64ELj8192ELj137ELj64ElidEEvT5_PKS1_S3_NS_24const_host_device_scalarIT6_EEPKT4_S3_PKS5_S9_S3_SB_S6_S9_S3_SB_S9_S3_PS5_21rocsparse_index_base_SD_SD_SD_bbb,"axG",@progbits,_ZN9rocsparseL41csrgemm_numeric_fill_block_per_row_kernelILj1024ELj64ELj8192ELj137ELj64ElidEEvT5_PKS1_S3_NS_24const_host_device_scalarIT6_EEPKT4_S3_PKS5_S9_S3_SB_S6_S9_S3_SB_S9_S3_PS5_21rocsparse_index_base_SD_SD_SD_bbb,comdat
	.globl	_ZN9rocsparseL41csrgemm_numeric_fill_block_per_row_kernelILj1024ELj64ELj8192ELj137ELj64ElidEEvT5_PKS1_S3_NS_24const_host_device_scalarIT6_EEPKT4_S3_PKS5_S9_S3_SB_S6_S9_S3_SB_S9_S3_PS5_21rocsparse_index_base_SD_SD_SD_bbb ; -- Begin function _ZN9rocsparseL41csrgemm_numeric_fill_block_per_row_kernelILj1024ELj64ELj8192ELj137ELj64ElidEEvT5_PKS1_S3_NS_24const_host_device_scalarIT6_EEPKT4_S3_PKS5_S9_S3_SB_S6_S9_S3_SB_S9_S3_PS5_21rocsparse_index_base_SD_SD_SD_bbb
	.p2align	8
	.type	_ZN9rocsparseL41csrgemm_numeric_fill_block_per_row_kernelILj1024ELj64ELj8192ELj137ELj64ElidEEvT5_PKS1_S3_NS_24const_host_device_scalarIT6_EEPKT4_S3_PKS5_S9_S3_SB_S6_S9_S3_SB_S9_S3_PS5_21rocsparse_index_base_SD_SD_SD_bbb,@function
_ZN9rocsparseL41csrgemm_numeric_fill_block_per_row_kernelILj1024ELj64ELj8192ELj137ELj64ElidEEvT5_PKS1_S3_NS_24const_host_device_scalarIT6_EEPKT4_S3_PKS5_S9_S3_SB_S6_S9_S3_SB_S9_S3_PS5_21rocsparse_index_base_SD_SD_SD_bbb: ; @_ZN9rocsparseL41csrgemm_numeric_fill_block_per_row_kernelILj1024ELj64ELj8192ELj137ELj64ElidEEvT5_PKS1_S3_NS_24const_host_device_scalarIT6_EEPKT4_S3_PKS5_S9_S3_SB_S6_S9_S3_SB_S9_S3_PS5_21rocsparse_index_base_SD_SD_SD_bbb
; %bb.0:
	s_clause 0x4
	s_load_b32 s11, s[0:1], 0x98
	s_load_b64 s[8:9], s[0:1], 0x18
	s_load_b128 s[4:7], s[0:1], 0x8
	s_load_b128 s[16:19], s[0:1], 0x88
	s_load_b64 s[2:3], s[0:1], 0x50
	s_wait_kmcnt 0x0
	s_bitcmp1_b32 s11, 0
	s_cselect_b32 s10, -1, 0
	s_bitcmp1_b32 s11, 16
	s_cselect_b32 s12, -1, 0
	s_xor_b32 s13, s10, -1
	s_delay_alu instid0(SALU_CYCLE_1)
	s_or_b32 s13, s12, s13
	s_and_b32 s14, s10, exec_lo
	s_cselect_b32 s15, s9, 0
	s_cselect_b32 s14, s8, 0
	s_and_b32 vcc_lo, exec_lo, s13
	v_mov_b64_e32 v[6:7], s[14:15]
	s_cbranch_vccnz .LBB193_2
; %bb.1:
	v_mov_b32_e32 v1, 0
	flat_load_b64 v[6:7], v1, s[8:9]
.LBB193_2:
	s_bitcmp1_b32 s11, 8
	s_cselect_b32 s22, -1, 0
	s_wait_xcnt 0x0
	s_xor_b32 s8, s22, -1
	s_delay_alu instid0(SALU_CYCLE_1)
	s_or_b32 s11, s12, s8
	s_and_b32 s8, s22, exec_lo
	s_cselect_b32 s9, s3, 0
	s_cselect_b32 s8, s2, 0
	s_and_b32 vcc_lo, exec_lo, s11
	v_mov_b64_e32 v[2:3], s[8:9]
	s_cbranch_vccnz .LBB193_4
; %bb.3:
	v_mov_b32_e32 v1, 0
	flat_load_b64 v[2:3], v1, s[2:3]
.LBB193_4:
	s_load_b32 s24, s[0:1], 0x0
	v_dual_lshlrev_b32 v1, 2, v0 :: v_dual_lshlrev_b32 v21, 3, v0
	v_mov_b64_e32 v[4:5], 0
	s_bfe_u32 s3, ttmp6, 0x4000c
	s_delay_alu instid0(VALU_DEP_2) | instskip(NEXT) | instid1(VALU_DEP_3)
	v_add_nc_u32_e32 v20, 0, v1
	v_add3_u32 v8, 0x8000, 0, v21
	s_add_co_i32 s3, s3, 1
	s_delay_alu instid0(SALU_CYCLE_1)
	s_mul_i32 s3, ttmp9, s3
	s_wait_kmcnt 0x0
	v_dual_add_nc_u32 v1, v20, v1 :: v_dual_mov_b32 v9, s24
	ds_store_2addr_stride64_b64 v1, v[4:5], v[4:5] offset0:64 offset1:80
	ds_store_2addr_stride64_b64 v1, v[4:5], v[4:5] offset0:96 offset1:112
	;; [unrolled: 1-line block ×3, first 2 shown]
	v_dual_mov_b32 v1, s24 :: v_dual_mov_b32 v10, s24
	v_dual_mov_b32 v11, s24 :: v_dual_mov_b32 v12, s24
	;; [unrolled: 1-line block ×3, first 2 shown]
	v_mov_b32_e32 v15, s24
	ds_store_2addr_stride64_b64 v8, v[4:5], v[4:5] offset0:96 offset1:112
	ds_store_2addr_stride64_b32 v20, v1, v9 offset1:16
	ds_store_2addr_stride64_b32 v20, v10, v11 offset0:32 offset1:48
	ds_store_2addr_stride64_b32 v20, v12, v13 offset0:64 offset1:80
	;; [unrolled: 1-line block ×3, first 2 shown]
	s_wait_loadcnt_dscnt 0x0
	s_barrier_signal -1
	s_barrier_wait -1
	s_load_b32 s2, s[4:5], 0x0
	s_wait_xcnt 0x0
	s_and_b32 s4, ttmp6, 15
	s_getreg_b32 s5, hwreg(HW_REG_IB_STS2, 6, 4)
	s_add_co_i32 s4, s4, s3
	s_cmp_eq_u32 s5, 0
	v_lshrrev_b32_e32 v4, 6, v0
	s_cselect_b32 s3, ttmp9, s4
	s_and_not1_b32 vcc_lo, exec_lo, s10
	s_wait_kmcnt 0x0
	s_add_co_i32 s2, s2, s3
	s_mov_b32 s3, 0
	s_load_b32 s20, s[6:7], s2 offset:0x0 scale_offset
	s_cbranch_vccnz .LBB193_22
; %bb.5:
	s_load_b64 s[4:5], s[0:1], 0x20
	s_wait_kmcnt 0x0
	s_ashr_i32 s21, s20, 31
	v_mov_b32_e32 v5, 0
	s_lshl_b64 s[6:7], s[20:21], 3
	s_mov_b32 s2, s16
	s_mov_b32 s21, exec_lo
	s_delay_alu instid0(VALU_DEP_1) | instskip(SKIP_3) | instid1(VALU_DEP_1)
	v_sub_nc_u64_e64 v[8:9], v[4:5], s[2:3]
	s_add_nc_u64 s[8:9], s[4:5], s[6:7]
	s_load_b128 s[4:7], s[8:9], 0x0
	s_wait_kmcnt 0x0
	v_add_nc_u64_e32 v[8:9], s[4:5], v[8:9]
	s_sub_nc_u64 s[2:3], s[6:7], s[2:3]
	s_delay_alu instid0(VALU_DEP_1) | instid1(SALU_CYCLE_1)
	v_cmpx_gt_i64_e64 s[2:3], v[8:9]
	s_cbranch_execz .LBB193_21
; %bb.6:
	s_clause 0x1
	s_load_b64 s[12:13], s[0:1], 0x48
	s_load_b256 s[4:11], s[0:1], 0x28
	v_dual_mov_b32 v11, v5 :: v_dual_bitop2_b32 v10, 63, v0 bitop3:0x40
	s_mov_b32 s15, 0
	s_mov_b32 s14, s17
	;; [unrolled: 1-line block ×3, first 2 shown]
	s_delay_alu instid0(VALU_DEP_1)
	v_sub_nc_u64_e64 v[10:11], v[10:11], s[14:15]
	s_branch .LBB193_8
.LBB193_7:                              ;   in Loop: Header=BB193_8 Depth=1
	s_or_b32 exec_lo, exec_lo, s25
	v_add_nc_u64_e32 v[8:9], 16, v[8:9]
	s_delay_alu instid0(VALU_DEP_1) | instskip(SKIP_1) | instid1(SALU_CYCLE_1)
	v_cmp_le_i64_e32 vcc_lo, s[2:3], v[8:9]
	s_or_b32 s23, vcc_lo, s23
	s_and_not1_b32 exec_lo, exec_lo, s23
	s_cbranch_execz .LBB193_21
.LBB193_8:                              ; =>This Loop Header: Depth=1
                                        ;     Child Loop BB193_12 Depth 2
                                        ;       Child Loop BB193_15 Depth 3
	s_wait_kmcnt 0x0
	v_lshl_add_u64 v[12:13], v[8:9], 2, s[4:5]
	s_mov_b32 s25, exec_lo
	global_load_b32 v1, v[12:13], off
	s_wait_loadcnt 0x0
	s_wait_xcnt 0x0
	v_subrev_nc_u32_e32 v12, s16, v1
	s_delay_alu instid0(VALU_DEP_1) | instskip(NEXT) | instid1(VALU_DEP_1)
	v_ashrrev_i32_e32 v13, 31, v12
	v_lshl_add_u64 v[12:13], v[12:13], 3, s[8:9]
	global_load_b128 v[14:17], v[12:13], off
	s_wait_loadcnt 0x0
	s_wait_xcnt 0x0
	v_sub_nc_u64_e64 v[12:13], v[16:17], s[14:15]
	v_add_nc_u64_e32 v[14:15], v[14:15], v[10:11]
	s_delay_alu instid0(VALU_DEP_1)
	v_cmpx_lt_i64_e64 v[14:15], v[12:13]
	s_cbranch_execz .LBB193_7
; %bb.9:                                ;   in Loop: Header=BB193_8 Depth=1
	v_lshl_add_u64 v[16:17], v[8:9], 3, s[6:7]
	s_mov_b32 s26, 0
	global_load_b64 v[16:17], v[16:17], off
	s_wait_loadcnt 0x0
	s_wait_xcnt 0x0
	v_mul_f64_e32 v[16:17], v[6:7], v[16:17]
	s_branch .LBB193_12
.LBB193_10:                             ;   in Loop: Header=BB193_12 Depth=2
	s_or_b32 exec_lo, exec_lo, s28
.LBB193_11:                             ;   in Loop: Header=BB193_12 Depth=2
	s_delay_alu instid0(SALU_CYCLE_1) | instskip(SKIP_4) | instid1(VALU_DEP_1)
	s_or_b32 exec_lo, exec_lo, s27
	s_wait_loadcnt 0x0
	v_mul_f64_e32 v[18:19], v[16:17], v[18:19]
	v_lshl_add_u32 v1, v1, 3, 0
	v_add_nc_u64_e32 v[14:15], 64, v[14:15]
	v_cmp_ge_i64_e32 vcc_lo, v[14:15], v[12:13]
	s_or_b32 s26, vcc_lo, s26
	ds_add_f64 v1, v[18:19] offset:32768
	s_and_not1_b32 exec_lo, exec_lo, s26
	s_cbranch_execz .LBB193_7
.LBB193_12:                             ;   Parent Loop BB193_8 Depth=1
                                        ; =>  This Loop Header: Depth=2
                                        ;       Child Loop BB193_15 Depth 3
	v_lshl_add_u64 v[18:19], v[14:15], 2, s[10:11]
	s_mov_b32 s27, exec_lo
	global_load_b32 v1, v[18:19], off
	s_wait_xcnt 0x0
	v_lshl_add_u64 v[18:19], v[14:15], 3, s[12:13]
	global_load_b64 v[18:19], v[18:19], off
	s_wait_loadcnt 0x1
	v_subrev_nc_u32_e32 v5, s17, v1
	s_delay_alu instid0(VALU_DEP_1) | instskip(NEXT) | instid1(VALU_DEP_1)
	v_mul_lo_u32 v1, 0x89, v5
	v_and_b32_e32 v1, 0x1fff, v1
	s_delay_alu instid0(VALU_DEP_1)
	v_lshl_add_u32 v22, v1, 2, 0
	ds_load_b32 v23, v22
	s_wait_dscnt 0x0
	s_wait_xcnt 0x0
	v_cmpx_ne_u32_e64 v23, v5
	s_cbranch_execz .LBB193_11
; %bb.13:                               ;   in Loop: Header=BB193_12 Depth=2
	s_mov_b32 s28, 0
	s_branch .LBB193_15
.LBB193_14:                             ;   in Loop: Header=BB193_15 Depth=3
	s_or_b32 exec_lo, exec_lo, s31
	s_delay_alu instid0(SALU_CYCLE_1) | instskip(NEXT) | instid1(SALU_CYCLE_1)
	s_and_b32 s29, exec_lo, s30
	s_or_b32 s28, s29, s28
	s_delay_alu instid0(SALU_CYCLE_1)
	s_and_not1_b32 exec_lo, exec_lo, s28
	s_cbranch_execz .LBB193_10
.LBB193_15:                             ;   Parent Loop BB193_8 Depth=1
                                        ;     Parent Loop BB193_12 Depth=2
                                        ; =>    This Inner Loop Header: Depth=3
	s_mov_b32 s29, 0
	s_mov_b32 s30, exec_lo
	v_cmpx_ne_u32_e64 s24, v23
	s_xor_b32 s30, exec_lo, s30
	s_cbranch_execz .LBB193_17
; %bb.16:                               ;   in Loop: Header=BB193_15 Depth=3
	v_add_nc_u32_e32 v1, 1, v1
	s_mov_b32 s29, exec_lo
                                        ; implicit-def: $vgpr22
	s_delay_alu instid0(VALU_DEP_1)
	v_and_b32_e32 v1, 0x1fff, v1
	s_and_not1_saveexec_b32 s30, s30
	s_cbranch_execz .LBB193_19
	s_branch .LBB193_18
.LBB193_17:                             ;   in Loop: Header=BB193_15 Depth=3
	s_and_not1_saveexec_b32 s30, s30
	s_cbranch_execz .LBB193_19
.LBB193_18:                             ;   in Loop: Header=BB193_15 Depth=3
	v_mov_b32_e32 v23, s24
	s_and_not1_b32 s29, s29, exec_lo
	ds_cmpstore_rtn_b32 v22, v22, v5, v23
	s_wait_dscnt 0x0
	v_cmp_ne_u32_e32 vcc_lo, s24, v22
	s_and_b32 s31, vcc_lo, exec_lo
	s_delay_alu instid0(SALU_CYCLE_1)
	s_or_b32 s29, s29, s31
.LBB193_19:                             ;   in Loop: Header=BB193_15 Depth=3
	s_or_b32 exec_lo, exec_lo, s30
	s_mov_b32 s30, -1
                                        ; implicit-def: $vgpr22
                                        ; implicit-def: $vgpr23
	s_and_saveexec_b32 s31, s29
	s_cbranch_execz .LBB193_14
; %bb.20:                               ;   in Loop: Header=BB193_15 Depth=3
	v_lshl_add_u32 v22, v1, 2, 0
	ds_load_b32 v23, v22
	s_wait_dscnt 0x0
	v_cmp_eq_u32_e32 vcc_lo, v23, v5
	s_or_not1_b32 s30, vcc_lo, exec_lo
	s_branch .LBB193_14
.LBB193_21:
	s_or_b32 exec_lo, exec_lo, s21
.LBB193_22:
	s_delay_alu instid0(SALU_CYCLE_1)
	s_and_not1_b32 vcc_lo, exec_lo, s22
	s_cbranch_vccnz .LBB193_37
; %bb.23:
	s_wait_xcnt 0x0
	s_load_b64 s[2:3], s[0:1], 0x58
	s_wait_kmcnt 0x0
	s_ashr_i32 s21, s20, 31
	v_mov_b32_e32 v1, 0
	s_lshl_b64 s[4:5], s[20:21], 3
	s_delay_alu instid0(SALU_CYCLE_1) | instskip(SKIP_4) | instid1(SALU_CYCLE_1)
	s_add_nc_u64 s[2:3], s[2:3], s[4:5]
	s_load_b128 s[4:7], s[2:3], 0x0
	s_wait_xcnt 0x0
	s_mov_b32 s3, 0
	s_mov_b32 s2, s19
	v_sub_nc_u64_e64 v[6:7], v[0:1], s[2:3]
	s_wait_kmcnt 0x0
	s_delay_alu instid0(VALU_DEP_1) | instskip(SKIP_2) | instid1(VALU_DEP_1)
	v_add_nc_u64_e32 v[6:7], s[4:5], v[6:7]
	s_sub_nc_u64 s[8:9], s[6:7], s[2:3]
	s_mov_b32 s2, exec_lo
	v_cmpx_gt_i64_e64 s[8:9], v[6:7]
	s_cbranch_execz .LBB193_36
; %bb.24:
	s_load_b128 s[4:7], s[0:1], 0x60
	s_branch .LBB193_27
.LBB193_25:                             ;   in Loop: Header=BB193_27 Depth=1
	s_or_b32 exec_lo, exec_lo, s11
.LBB193_26:                             ;   in Loop: Header=BB193_27 Depth=1
	s_delay_alu instid0(SALU_CYCLE_1) | instskip(SKIP_4) | instid1(VALU_DEP_1)
	s_or_b32 exec_lo, exec_lo, s10
	s_wait_loadcnt 0x0
	v_mul_f64_e32 v[8:9], v[2:3], v[8:9]
	v_lshl_add_u32 v1, v1, 3, 0
	v_add_nc_u64_e32 v[6:7], 0x400, v[6:7]
	v_cmp_le_i64_e32 vcc_lo, s[8:9], v[6:7]
	s_or_b32 s3, vcc_lo, s3
	ds_add_f64 v1, v[8:9] offset:32768
	s_and_not1_b32 exec_lo, exec_lo, s3
	s_cbranch_execz .LBB193_36
.LBB193_27:                             ; =>This Loop Header: Depth=1
                                        ;     Child Loop BB193_30 Depth 2
	s_wait_kmcnt 0x0
	v_lshl_add_u64 v[8:9], v[6:7], 2, s[4:5]
	s_mov_b32 s10, exec_lo
	global_load_b32 v1, v[8:9], off
	s_wait_xcnt 0x0
	v_lshl_add_u64 v[8:9], v[6:7], 3, s[6:7]
	global_load_b64 v[8:9], v[8:9], off
	s_wait_loadcnt 0x1
	v_subrev_nc_u32_e32 v5, s19, v1
	s_delay_alu instid0(VALU_DEP_1) | instskip(NEXT) | instid1(VALU_DEP_1)
	v_mul_lo_u32 v1, 0x89, v5
	v_and_b32_e32 v1, 0x1fff, v1
	s_delay_alu instid0(VALU_DEP_1)
	v_lshl_add_u32 v10, v1, 2, 0
	ds_load_b32 v11, v10
	s_wait_dscnt 0x0
	s_wait_xcnt 0x0
	v_cmpx_ne_u32_e64 v11, v5
	s_cbranch_execz .LBB193_26
; %bb.28:                               ;   in Loop: Header=BB193_27 Depth=1
	s_mov_b32 s11, 0
	s_branch .LBB193_30
.LBB193_29:                             ;   in Loop: Header=BB193_30 Depth=2
	s_or_b32 exec_lo, exec_lo, s14
	s_delay_alu instid0(SALU_CYCLE_1) | instskip(NEXT) | instid1(SALU_CYCLE_1)
	s_and_b32 s12, exec_lo, s13
	s_or_b32 s11, s12, s11
	s_delay_alu instid0(SALU_CYCLE_1)
	s_and_not1_b32 exec_lo, exec_lo, s11
	s_cbranch_execz .LBB193_25
.LBB193_30:                             ;   Parent Loop BB193_27 Depth=1
                                        ; =>  This Inner Loop Header: Depth=2
	s_mov_b32 s12, 0
	s_mov_b32 s13, exec_lo
	v_cmpx_ne_u32_e64 s24, v11
	s_xor_b32 s13, exec_lo, s13
	s_cbranch_execz .LBB193_32
; %bb.31:                               ;   in Loop: Header=BB193_30 Depth=2
	v_add_nc_u32_e32 v1, 1, v1
	s_mov_b32 s12, exec_lo
                                        ; implicit-def: $vgpr10
	s_delay_alu instid0(VALU_DEP_1)
	v_and_b32_e32 v1, 0x1fff, v1
	s_and_not1_saveexec_b32 s13, s13
	s_cbranch_execz .LBB193_34
	s_branch .LBB193_33
.LBB193_32:                             ;   in Loop: Header=BB193_30 Depth=2
	s_and_not1_saveexec_b32 s13, s13
	s_cbranch_execz .LBB193_34
.LBB193_33:                             ;   in Loop: Header=BB193_30 Depth=2
	v_mov_b32_e32 v11, s24
	s_and_not1_b32 s12, s12, exec_lo
	ds_cmpstore_rtn_b32 v10, v10, v5, v11
	s_wait_dscnt 0x0
	v_cmp_ne_u32_e32 vcc_lo, s24, v10
	s_and_b32 s14, vcc_lo, exec_lo
	s_delay_alu instid0(SALU_CYCLE_1)
	s_or_b32 s12, s12, s14
.LBB193_34:                             ;   in Loop: Header=BB193_30 Depth=2
	s_or_b32 exec_lo, exec_lo, s13
	s_mov_b32 s13, -1
                                        ; implicit-def: $vgpr10
                                        ; implicit-def: $vgpr11
	s_and_saveexec_b32 s14, s12
	s_cbranch_execz .LBB193_29
; %bb.35:                               ;   in Loop: Header=BB193_30 Depth=2
	v_lshl_add_u32 v10, v1, 2, 0
	ds_load_b32 v11, v10
	s_wait_dscnt 0x0
	v_cmp_eq_u32_e32 vcc_lo, v11, v5
	s_or_not1_b32 s13, vcc_lo, exec_lo
	s_branch .LBB193_29
.LBB193_36:
	s_or_b32 exec_lo, exec_lo, s2
.LBB193_37:
	s_clause 0x1
	s_load_b64 s[16:17], s[0:1], 0x80
	s_load_b64 s[22:23], s[0:1], 0x70
	v_mbcnt_lo_u32_b32 v1, -1, 0
	s_add_co_i32 s36, 0, 0x1803c
	s_wait_xcnt 0x0
	v_cmp_lt_u32_e64 s0, 63, v0
	v_cmp_lt_u32_e64 s1, 0x7f, v0
	v_dual_lshlrev_b32 v3, 2, v4 :: v_dual_bitop2_b32 v2, 31, v1 bitop3:0x14
	v_dual_mov_b32 v1, 0 :: v_dual_mov_b32 v8, s36
	v_cmp_lt_u32_e64 s2, 0xbf, v0
	s_delay_alu instid0(VALU_DEP_3) | instskip(NEXT) | instid1(VALU_DEP_4)
	v_add3_u32 v3, 0x18000, 0, v3
	v_lshrrev_b32_e64 v2, v2, -1
	v_cmp_lt_u32_e64 s3, 0xff, v0
	v_cmp_lt_u32_e64 s4, 0x13f, v0
	;; [unrolled: 1-line block ×12, first 2 shown]
	v_add3_u32 v6, v21, 0, 0x8000
	v_or_b32_e32 v7, 0xfffffc00, v0
	s_mov_b32 s19, 0
	s_add_co_i32 s21, 0, 0x18000
	s_add_co_i32 s25, 0, 0x18004
	;; [unrolled: 1-line block ×15, first 2 shown]
	s_wait_dscnt 0x0
	s_barrier_signal -1
	s_barrier_wait -1
	v_cmp_eq_u32_e32 vcc_lo, 0x3ff, v0
	s_branch .LBB193_39
.LBB193_38:                             ;   in Loop: Header=BB193_39 Depth=1
	s_or_b32 exec_lo, exec_lo, s15
	s_wait_dscnt 0x0
	s_barrier_signal -1
	s_barrier_wait -1
	ds_load_b32 v4, v8
	v_add_nc_u32_e32 v7, 0x400, v7
	v_add_nc_u32_e32 v6, 0x2000, v6
	;; [unrolled: 1-line block ×3, first 2 shown]
	s_delay_alu instid0(VALU_DEP_3)
	v_cmp_lt_u32_e64 s15, 0x1bff, v7
	s_or_b32 s19, s15, s19
	s_wait_dscnt 0x0
	v_add_nc_u32_e32 v1, v4, v1
	s_and_not1_b32 exec_lo, exec_lo, s19
	s_cbranch_execz .LBB193_73
.LBB193_39:                             ; =>This Inner Loop Header: Depth=1
	ds_load_b32 v9, v20
	ds_load_b64 v[4:5], v6
	s_wait_dscnt 0x0
	s_barrier_signal -1
	s_barrier_wait -1
	v_cmp_gt_i32_e64 s15, s24, v9
	s_bcnt1_i32_b32 s41, s15
	s_delay_alu instid0(SALU_CYCLE_1) | instskip(NEXT) | instid1(VALU_DEP_1)
	v_dual_mov_b32 v11, s41 :: v_dual_bitop2_b32 v10, s15, v2 bitop3:0x40
	v_bcnt_u32_b32 v10, v10, 0
	ds_store_b32 v3, v11
	s_wait_dscnt 0x0
	s_barrier_signal -1
	s_barrier_wait -1
	s_and_saveexec_b32 s41, s0
	s_cbranch_execz .LBB193_56
; %bb.40:                               ;   in Loop: Header=BB193_39 Depth=1
	v_mov_b32_e32 v11, s21
	ds_load_b32 v11, v11
	s_wait_dscnt 0x0
	v_add_nc_u32_e32 v10, v11, v10
	s_or_b32 exec_lo, exec_lo, s41
	s_and_saveexec_b32 s41, s1
	s_cbranch_execnz .LBB193_57
.LBB193_41:                             ;   in Loop: Header=BB193_39 Depth=1
	s_or_b32 exec_lo, exec_lo, s41
	s_and_saveexec_b32 s41, s2
	s_cbranch_execz .LBB193_58
.LBB193_42:                             ;   in Loop: Header=BB193_39 Depth=1
	v_mov_b32_e32 v11, s26
	ds_load_b32 v11, v11
	s_wait_dscnt 0x0
	v_add_nc_u32_e32 v10, v11, v10
	s_or_b32 exec_lo, exec_lo, s41
	s_and_saveexec_b32 s41, s3
	s_cbranch_execnz .LBB193_59
.LBB193_43:                             ;   in Loop: Header=BB193_39 Depth=1
	s_or_b32 exec_lo, exec_lo, s41
	s_and_saveexec_b32 s41, s4
	s_cbranch_execz .LBB193_60
.LBB193_44:                             ;   in Loop: Header=BB193_39 Depth=1
	v_mov_b32_e32 v11, s28
	ds_load_b32 v11, v11
	s_wait_dscnt 0x0
	v_add_nc_u32_e32 v10, v11, v10
	s_or_b32 exec_lo, exec_lo, s41
	s_and_saveexec_b32 s41, s5
	s_cbranch_execnz .LBB193_61
.LBB193_45:                             ;   in Loop: Header=BB193_39 Depth=1
	s_or_b32 exec_lo, exec_lo, s41
	s_and_saveexec_b32 s41, s6
	s_cbranch_execz .LBB193_62
.LBB193_46:                             ;   in Loop: Header=BB193_39 Depth=1
	v_mov_b32_e32 v11, s30
	ds_load_b32 v11, v11
	s_wait_dscnt 0x0
	v_add_nc_u32_e32 v10, v11, v10
	s_or_b32 exec_lo, exec_lo, s41
	s_and_saveexec_b32 s41, s7
	s_cbranch_execnz .LBB193_63
.LBB193_47:                             ;   in Loop: Header=BB193_39 Depth=1
	s_or_b32 exec_lo, exec_lo, s41
	s_and_saveexec_b32 s41, s8
	s_cbranch_execz .LBB193_64
.LBB193_48:                             ;   in Loop: Header=BB193_39 Depth=1
	v_mov_b32_e32 v11, s33
	ds_load_b32 v11, v11
	s_wait_dscnt 0x0
	v_add_nc_u32_e32 v10, v11, v10
	s_or_b32 exec_lo, exec_lo, s41
	s_and_saveexec_b32 s41, s9
	s_cbranch_execnz .LBB193_65
.LBB193_49:                             ;   in Loop: Header=BB193_39 Depth=1
	s_or_b32 exec_lo, exec_lo, s41
	s_and_saveexec_b32 s41, s10
	s_cbranch_execz .LBB193_66
.LBB193_50:                             ;   in Loop: Header=BB193_39 Depth=1
	v_mov_b32_e32 v11, s35
	ds_load_b32 v11, v11
	s_wait_dscnt 0x0
	v_add_nc_u32_e32 v10, v11, v10
	s_or_b32 exec_lo, exec_lo, s41
	s_and_saveexec_b32 s41, s11
	s_cbranch_execnz .LBB193_67
.LBB193_51:                             ;   in Loop: Header=BB193_39 Depth=1
	s_or_b32 exec_lo, exec_lo, s41
	s_and_saveexec_b32 s41, s12
	s_cbranch_execz .LBB193_68
.LBB193_52:                             ;   in Loop: Header=BB193_39 Depth=1
	v_mov_b32_e32 v11, s38
	ds_load_b32 v11, v11
	s_wait_dscnt 0x0
	v_add_nc_u32_e32 v10, v11, v10
	s_or_b32 exec_lo, exec_lo, s41
	s_and_saveexec_b32 s41, s13
	s_cbranch_execnz .LBB193_69
.LBB193_53:                             ;   in Loop: Header=BB193_39 Depth=1
	s_or_b32 exec_lo, exec_lo, s41
	s_and_saveexec_b32 s41, s14
	s_cbranch_execz .LBB193_70
.LBB193_54:                             ;   in Loop: Header=BB193_39 Depth=1
	v_mov_b32_e32 v11, s40
	ds_load_b32 v11, v11
	s_wait_dscnt 0x0
	v_add_nc_u32_e32 v10, v11, v10
	s_or_b32 exec_lo, exec_lo, s41
	s_and_saveexec_b32 s41, s15
	s_cbranch_execnz .LBB193_71
.LBB193_55:                             ;   in Loop: Header=BB193_39 Depth=1
	s_or_b32 exec_lo, exec_lo, s41
	s_and_saveexec_b32 s15, vcc_lo
	s_cbranch_execz .LBB193_38
	s_branch .LBB193_72
.LBB193_56:                             ;   in Loop: Header=BB193_39 Depth=1
	s_or_b32 exec_lo, exec_lo, s41
	s_and_saveexec_b32 s41, s1
	s_cbranch_execz .LBB193_41
.LBB193_57:                             ;   in Loop: Header=BB193_39 Depth=1
	v_mov_b32_e32 v11, s25
	ds_load_b32 v11, v11
	s_wait_dscnt 0x0
	v_add_nc_u32_e32 v10, v11, v10
	s_or_b32 exec_lo, exec_lo, s41
	s_and_saveexec_b32 s41, s2
	s_cbranch_execnz .LBB193_42
.LBB193_58:                             ;   in Loop: Header=BB193_39 Depth=1
	s_or_b32 exec_lo, exec_lo, s41
	s_and_saveexec_b32 s41, s3
	s_cbranch_execz .LBB193_43
.LBB193_59:                             ;   in Loop: Header=BB193_39 Depth=1
	v_mov_b32_e32 v11, s27
	ds_load_b32 v11, v11
	s_wait_dscnt 0x0
	v_add_nc_u32_e32 v10, v11, v10
	s_or_b32 exec_lo, exec_lo, s41
	s_and_saveexec_b32 s41, s4
	s_cbranch_execnz .LBB193_44
.LBB193_60:                             ;   in Loop: Header=BB193_39 Depth=1
	s_or_b32 exec_lo, exec_lo, s41
	s_and_saveexec_b32 s41, s5
	s_cbranch_execz .LBB193_45
.LBB193_61:                             ;   in Loop: Header=BB193_39 Depth=1
	v_mov_b32_e32 v11, s29
	ds_load_b32 v11, v11
	s_wait_dscnt 0x0
	v_add_nc_u32_e32 v10, v11, v10
	s_or_b32 exec_lo, exec_lo, s41
	s_and_saveexec_b32 s41, s6
	s_cbranch_execnz .LBB193_46
.LBB193_62:                             ;   in Loop: Header=BB193_39 Depth=1
	s_or_b32 exec_lo, exec_lo, s41
	s_and_saveexec_b32 s41, s7
	s_cbranch_execz .LBB193_47
.LBB193_63:                             ;   in Loop: Header=BB193_39 Depth=1
	v_mov_b32_e32 v11, s31
	ds_load_b32 v11, v11
	s_wait_dscnt 0x0
	v_add_nc_u32_e32 v10, v11, v10
	s_or_b32 exec_lo, exec_lo, s41
	s_and_saveexec_b32 s41, s8
	s_cbranch_execnz .LBB193_48
.LBB193_64:                             ;   in Loop: Header=BB193_39 Depth=1
	s_or_b32 exec_lo, exec_lo, s41
	s_and_saveexec_b32 s41, s9
	s_cbranch_execz .LBB193_49
.LBB193_65:                             ;   in Loop: Header=BB193_39 Depth=1
	v_mov_b32_e32 v11, s34
	ds_load_b32 v11, v11
	s_wait_dscnt 0x0
	v_add_nc_u32_e32 v10, v11, v10
	s_or_b32 exec_lo, exec_lo, s41
	s_and_saveexec_b32 s41, s10
	s_cbranch_execnz .LBB193_50
.LBB193_66:                             ;   in Loop: Header=BB193_39 Depth=1
	s_or_b32 exec_lo, exec_lo, s41
	s_and_saveexec_b32 s41, s11
	s_cbranch_execz .LBB193_51
.LBB193_67:                             ;   in Loop: Header=BB193_39 Depth=1
	v_mov_b32_e32 v11, s37
	ds_load_b32 v11, v11
	s_wait_dscnt 0x0
	v_add_nc_u32_e32 v10, v11, v10
	s_or_b32 exec_lo, exec_lo, s41
	s_and_saveexec_b32 s41, s12
	s_cbranch_execnz .LBB193_52
.LBB193_68:                             ;   in Loop: Header=BB193_39 Depth=1
	s_or_b32 exec_lo, exec_lo, s41
	s_and_saveexec_b32 s41, s13
	s_cbranch_execz .LBB193_53
.LBB193_69:                             ;   in Loop: Header=BB193_39 Depth=1
	v_mov_b32_e32 v11, s39
	ds_load_b32 v11, v11
	s_wait_dscnt 0x0
	v_add_nc_u32_e32 v10, v11, v10
	s_or_b32 exec_lo, exec_lo, s41
	s_and_saveexec_b32 s41, s14
	s_cbranch_execnz .LBB193_54
.LBB193_70:                             ;   in Loop: Header=BB193_39 Depth=1
	s_or_b32 exec_lo, exec_lo, s41
	s_and_saveexec_b32 s41, s15
	s_cbranch_execz .LBB193_55
.LBB193_71:                             ;   in Loop: Header=BB193_39 Depth=1
	s_delay_alu instid0(VALU_DEP_1) | instskip(SKIP_1) | instid1(VALU_DEP_2)
	v_add3_u32 v11, v1, -1, v10
	v_add_nc_u32_e32 v12, v1, v10
	v_lshl_add_u32 v11, v11, 2, 0
	s_delay_alu instid0(VALU_DEP_2)
	v_lshl_add_u32 v12, v12, 3, 0
	ds_store_b32 v11, v9
	ds_store_b64 v12, v[4:5] offset:32760
	s_or_b32 exec_lo, exec_lo, s41
	s_and_saveexec_b32 s15, vcc_lo
	s_cbranch_execz .LBB193_38
.LBB193_72:                             ;   in Loop: Header=BB193_39 Depth=1
	v_mov_b32_e32 v4, s36
	ds_store_b32 v4, v10
	s_branch .LBB193_38
.LBB193_73:
	s_or_b32 exec_lo, exec_lo, s19
	s_wait_kmcnt 0x0
	s_ashr_i32 s21, s20, 31
	s_delay_alu instid0(SALU_CYCLE_1) | instskip(NEXT) | instid1(SALU_CYCLE_1)
	s_lshl_b64 s[0:1], s[20:21], 3
	s_add_nc_u64 s[4:5], s[22:23], s[0:1]
	s_load_b128 s[0:3], s[4:5], 0x0
	s_wait_xcnt 0x0
	s_mov_b32 s4, exec_lo
	s_wait_kmcnt 0x0
	s_sub_co_i32 s3, s2, s0
	s_delay_alu instid0(SALU_CYCLE_1)
	v_cmpx_gt_i32_e64 s3, v0
	s_cbranch_execz .LBB193_83
; %bb.74:
	s_sub_co_i32 s4, s0, s2
	s_and_b32 s2, s3, 7
	s_cmp_lt_u32 s4, -7
	s_mov_b32 s19, 0
	s_cselect_b32 s4, -1, 0
	s_and_b32 s5, s3, -8
	s_cmp_lg_u32 s2, 0
	s_sub_nc_u64 s[0:1], s[0:1], s[18:19]
	s_cselect_b32 s6, -1, 0
	s_mov_b32 s7, 0
	s_branch .LBB193_76
.LBB193_75:                             ;   in Loop: Header=BB193_76 Depth=1
	v_add_nc_u32_e32 v0, 0x400, v0
	s_delay_alu instid0(VALU_DEP_2) | instskip(NEXT) | instid1(VALU_DEP_2)
	v_lshl_add_u64 v[4:5], v[4:5], 3, s[16:17]
	v_cmp_le_i32_e32 vcc_lo, s3, v0
	s_wait_dscnt 0x0
	global_store_b64 v[4:5], v[2:3], off
	s_or_b32 s7, vcc_lo, s7
	s_wait_xcnt 0x0
	s_and_not1_b32 exec_lo, exec_lo, s7
	s_cbranch_execz .LBB193_83
.LBB193_76:                             ; =>This Loop Header: Depth=1
                                        ;     Child Loop BB193_78 Depth 2
                                        ;     Child Loop BB193_82 Depth 2
	v_lshlrev_b32_e32 v1, 2, v0
	v_mov_b64_e32 v[4:5], s[0:1]
	s_and_not1_b32 vcc_lo, exec_lo, s4
	s_mov_b32 s8, 0
	s_delay_alu instid0(VALU_DEP_2) | instskip(NEXT) | instid1(VALU_DEP_1)
	v_add_nc_u32_e32 v2, 0, v1
	v_add_nc_u32_e32 v3, v2, v1
	ds_load_b32 v1, v2
	ds_load_b64 v[2:3], v3 offset:32768
	s_cbranch_vccnz .LBB193_80
; %bb.77:                               ;   in Loop: Header=BB193_76 Depth=1
	v_mov_b64_e32 v[4:5], s[0:1]
	s_mov_b32 s9, 0
.LBB193_78:                             ;   Parent Loop BB193_76 Depth=1
                                        ; =>  This Inner Loop Header: Depth=2
	s_delay_alu instid0(SALU_CYCLE_1)
	v_dual_mov_b32 v10, s9 :: v_dual_mov_b32 v11, s19
	v_mov_b32_e32 v17, s19
	s_add_co_i32 s8, s8, 8
	s_add_co_i32 s9, s9, 32
	ds_load_2addr_b32 v[6:7], v10 offset1:1
	ds_load_2addr_b32 v[8:9], v10 offset0:2 offset1:3
	ds_load_2addr_b32 v[12:13], v10 offset0:4 offset1:5
	;; [unrolled: 1-line block ×3, first 2 shown]
	s_cmp_eq_u32 s5, s8
	s_wait_dscnt 0x3
	v_cmp_gt_i32_e32 vcc_lo, v1, v6
	v_cndmask_b32_e64 v10, 0, 1, vcc_lo
	v_cmp_gt_i32_e32 vcc_lo, v1, v7
	v_mov_b32_e32 v7, s19
	s_delay_alu instid0(VALU_DEP_3) | instskip(SKIP_4) | instid1(VALU_DEP_3)
	v_add_nc_u64_e32 v[4:5], v[4:5], v[10:11]
	v_cndmask_b32_e64 v16, 0, 1, vcc_lo
	s_wait_dscnt 0x2
	v_cmp_gt_i32_e32 vcc_lo, v1, v8
	v_cndmask_b32_e64 v6, 0, 1, vcc_lo
	v_add_nc_u64_e32 v[4:5], v[4:5], v[16:17]
	v_cmp_gt_i32_e32 vcc_lo, v1, v9
	v_mov_b32_e32 v9, s19
	v_cndmask_b32_e64 v10, 0, 1, vcc_lo
	s_delay_alu instid0(VALU_DEP_4) | instskip(SKIP_3) | instid1(VALU_DEP_3)
	v_add_nc_u64_e32 v[4:5], v[4:5], v[6:7]
	s_wait_dscnt 0x1
	v_cmp_gt_i32_e32 vcc_lo, v1, v12
	v_cndmask_b32_e64 v6, 0, 1, vcc_lo
	v_add_nc_u64_e32 v[4:5], v[4:5], v[10:11]
	v_cmp_gt_i32_e32 vcc_lo, v1, v13
	v_cndmask_b32_e64 v8, 0, 1, vcc_lo
	s_delay_alu instid0(VALU_DEP_3) | instskip(SKIP_3) | instid1(VALU_DEP_3)
	v_add_nc_u64_e32 v[4:5], v[4:5], v[6:7]
	s_wait_dscnt 0x0
	v_cmp_gt_i32_e32 vcc_lo, v1, v14
	v_cndmask_b32_e64 v6, 0, 1, vcc_lo
	v_add_nc_u64_e32 v[4:5], v[4:5], v[8:9]
	v_cmp_gt_i32_e32 vcc_lo, v1, v15
	v_cndmask_b32_e64 v8, 0, 1, vcc_lo
	s_delay_alu instid0(VALU_DEP_3) | instskip(NEXT) | instid1(VALU_DEP_1)
	v_add_nc_u64_e32 v[4:5], v[4:5], v[6:7]
	v_add_nc_u64_e32 v[4:5], v[4:5], v[8:9]
	s_cbranch_scc0 .LBB193_78
; %bb.79:                               ;   in Loop: Header=BB193_76 Depth=1
	s_mov_b32 s8, s5
.LBB193_80:                             ;   in Loop: Header=BB193_76 Depth=1
	s_and_not1_b32 vcc_lo, exec_lo, s6
	s_cbranch_vccnz .LBB193_75
; %bb.81:                               ;   in Loop: Header=BB193_76 Depth=1
	s_lshl_b32 s8, s8, 2
	s_mov_b32 s9, s2
	s_add_co_i32 s8, s8, 0
.LBB193_82:                             ;   Parent Loop BB193_76 Depth=1
                                        ; =>  This Inner Loop Header: Depth=2
	s_delay_alu instid0(SALU_CYCLE_1)
	v_dual_mov_b32 v6, s8 :: v_dual_mov_b32 v7, s19
	s_add_co_i32 s9, s9, -1
	s_add_co_i32 s8, s8, 4
	s_cmp_lg_u32 s9, 0
	ds_load_b32 v6, v6
	s_wait_dscnt 0x0
	v_cmp_gt_i32_e32 vcc_lo, v1, v6
	v_cndmask_b32_e64 v6, 0, 1, vcc_lo
	s_delay_alu instid0(VALU_DEP_1)
	v_add_nc_u64_e32 v[4:5], v[4:5], v[6:7]
	s_cbranch_scc1 .LBB193_82
	s_branch .LBB193_75
.LBB193_83:
	s_endpgm
	.section	.rodata,"a",@progbits
	.p2align	6, 0x0
	.amdhsa_kernel _ZN9rocsparseL41csrgemm_numeric_fill_block_per_row_kernelILj1024ELj64ELj8192ELj137ELj64ElidEEvT5_PKS1_S3_NS_24const_host_device_scalarIT6_EEPKT4_S3_PKS5_S9_S3_SB_S6_S9_S3_SB_S9_S3_PS5_21rocsparse_index_base_SD_SD_SD_bbb
		.amdhsa_group_segment_fixed_size 0
		.amdhsa_private_segment_fixed_size 0
		.amdhsa_kernarg_size 156
		.amdhsa_user_sgpr_count 2
		.amdhsa_user_sgpr_dispatch_ptr 0
		.amdhsa_user_sgpr_queue_ptr 0
		.amdhsa_user_sgpr_kernarg_segment_ptr 1
		.amdhsa_user_sgpr_dispatch_id 0
		.amdhsa_user_sgpr_kernarg_preload_length 0
		.amdhsa_user_sgpr_kernarg_preload_offset 0
		.amdhsa_user_sgpr_private_segment_size 0
		.amdhsa_wavefront_size32 1
		.amdhsa_uses_dynamic_stack 0
		.amdhsa_enable_private_segment 0
		.amdhsa_system_sgpr_workgroup_id_x 1
		.amdhsa_system_sgpr_workgroup_id_y 0
		.amdhsa_system_sgpr_workgroup_id_z 0
		.amdhsa_system_sgpr_workgroup_info 0
		.amdhsa_system_vgpr_workitem_id 0
		.amdhsa_next_free_vgpr 24
		.amdhsa_next_free_sgpr 42
		.amdhsa_named_barrier_count 0
		.amdhsa_reserve_vcc 1
		.amdhsa_float_round_mode_32 0
		.amdhsa_float_round_mode_16_64 0
		.amdhsa_float_denorm_mode_32 3
		.amdhsa_float_denorm_mode_16_64 3
		.amdhsa_fp16_overflow 0
		.amdhsa_memory_ordered 1
		.amdhsa_forward_progress 1
		.amdhsa_inst_pref_size 28
		.amdhsa_round_robin_scheduling 0
		.amdhsa_exception_fp_ieee_invalid_op 0
		.amdhsa_exception_fp_denorm_src 0
		.amdhsa_exception_fp_ieee_div_zero 0
		.amdhsa_exception_fp_ieee_overflow 0
		.amdhsa_exception_fp_ieee_underflow 0
		.amdhsa_exception_fp_ieee_inexact 0
		.amdhsa_exception_int_div_zero 0
	.end_amdhsa_kernel
	.section	.text._ZN9rocsparseL41csrgemm_numeric_fill_block_per_row_kernelILj1024ELj64ELj8192ELj137ELj64ElidEEvT5_PKS1_S3_NS_24const_host_device_scalarIT6_EEPKT4_S3_PKS5_S9_S3_SB_S6_S9_S3_SB_S9_S3_PS5_21rocsparse_index_base_SD_SD_SD_bbb,"axG",@progbits,_ZN9rocsparseL41csrgemm_numeric_fill_block_per_row_kernelILj1024ELj64ELj8192ELj137ELj64ElidEEvT5_PKS1_S3_NS_24const_host_device_scalarIT6_EEPKT4_S3_PKS5_S9_S3_SB_S6_S9_S3_SB_S9_S3_PS5_21rocsparse_index_base_SD_SD_SD_bbb,comdat
.Lfunc_end193:
	.size	_ZN9rocsparseL41csrgemm_numeric_fill_block_per_row_kernelILj1024ELj64ELj8192ELj137ELj64ElidEEvT5_PKS1_S3_NS_24const_host_device_scalarIT6_EEPKT4_S3_PKS5_S9_S3_SB_S6_S9_S3_SB_S9_S3_PS5_21rocsparse_index_base_SD_SD_SD_bbb, .Lfunc_end193-_ZN9rocsparseL41csrgemm_numeric_fill_block_per_row_kernelILj1024ELj64ELj8192ELj137ELj64ElidEEvT5_PKS1_S3_NS_24const_host_device_scalarIT6_EEPKT4_S3_PKS5_S9_S3_SB_S6_S9_S3_SB_S9_S3_PS5_21rocsparse_index_base_SD_SD_SD_bbb
                                        ; -- End function
	.set _ZN9rocsparseL41csrgemm_numeric_fill_block_per_row_kernelILj1024ELj64ELj8192ELj137ELj64ElidEEvT5_PKS1_S3_NS_24const_host_device_scalarIT6_EEPKT4_S3_PKS5_S9_S3_SB_S6_S9_S3_SB_S9_S3_PS5_21rocsparse_index_base_SD_SD_SD_bbb.num_vgpr, 24
	.set _ZN9rocsparseL41csrgemm_numeric_fill_block_per_row_kernelILj1024ELj64ELj8192ELj137ELj64ElidEEvT5_PKS1_S3_NS_24const_host_device_scalarIT6_EEPKT4_S3_PKS5_S9_S3_SB_S6_S9_S3_SB_S9_S3_PS5_21rocsparse_index_base_SD_SD_SD_bbb.num_agpr, 0
	.set _ZN9rocsparseL41csrgemm_numeric_fill_block_per_row_kernelILj1024ELj64ELj8192ELj137ELj64ElidEEvT5_PKS1_S3_NS_24const_host_device_scalarIT6_EEPKT4_S3_PKS5_S9_S3_SB_S6_S9_S3_SB_S9_S3_PS5_21rocsparse_index_base_SD_SD_SD_bbb.numbered_sgpr, 42
	.set _ZN9rocsparseL41csrgemm_numeric_fill_block_per_row_kernelILj1024ELj64ELj8192ELj137ELj64ElidEEvT5_PKS1_S3_NS_24const_host_device_scalarIT6_EEPKT4_S3_PKS5_S9_S3_SB_S6_S9_S3_SB_S9_S3_PS5_21rocsparse_index_base_SD_SD_SD_bbb.num_named_barrier, 0
	.set _ZN9rocsparseL41csrgemm_numeric_fill_block_per_row_kernelILj1024ELj64ELj8192ELj137ELj64ElidEEvT5_PKS1_S3_NS_24const_host_device_scalarIT6_EEPKT4_S3_PKS5_S9_S3_SB_S6_S9_S3_SB_S9_S3_PS5_21rocsparse_index_base_SD_SD_SD_bbb.private_seg_size, 0
	.set _ZN9rocsparseL41csrgemm_numeric_fill_block_per_row_kernelILj1024ELj64ELj8192ELj137ELj64ElidEEvT5_PKS1_S3_NS_24const_host_device_scalarIT6_EEPKT4_S3_PKS5_S9_S3_SB_S6_S9_S3_SB_S9_S3_PS5_21rocsparse_index_base_SD_SD_SD_bbb.uses_vcc, 1
	.set _ZN9rocsparseL41csrgemm_numeric_fill_block_per_row_kernelILj1024ELj64ELj8192ELj137ELj64ElidEEvT5_PKS1_S3_NS_24const_host_device_scalarIT6_EEPKT4_S3_PKS5_S9_S3_SB_S6_S9_S3_SB_S9_S3_PS5_21rocsparse_index_base_SD_SD_SD_bbb.uses_flat_scratch, 0
	.set _ZN9rocsparseL41csrgemm_numeric_fill_block_per_row_kernelILj1024ELj64ELj8192ELj137ELj64ElidEEvT5_PKS1_S3_NS_24const_host_device_scalarIT6_EEPKT4_S3_PKS5_S9_S3_SB_S6_S9_S3_SB_S9_S3_PS5_21rocsparse_index_base_SD_SD_SD_bbb.has_dyn_sized_stack, 0
	.set _ZN9rocsparseL41csrgemm_numeric_fill_block_per_row_kernelILj1024ELj64ELj8192ELj137ELj64ElidEEvT5_PKS1_S3_NS_24const_host_device_scalarIT6_EEPKT4_S3_PKS5_S9_S3_SB_S6_S9_S3_SB_S9_S3_PS5_21rocsparse_index_base_SD_SD_SD_bbb.has_recursion, 0
	.set _ZN9rocsparseL41csrgemm_numeric_fill_block_per_row_kernelILj1024ELj64ELj8192ELj137ELj64ElidEEvT5_PKS1_S3_NS_24const_host_device_scalarIT6_EEPKT4_S3_PKS5_S9_S3_SB_S6_S9_S3_SB_S9_S3_PS5_21rocsparse_index_base_SD_SD_SD_bbb.has_indirect_call, 0
	.section	.AMDGPU.csdata,"",@progbits
; Kernel info:
; codeLenInByte = 3504
; TotalNumSgprs: 44
; NumVgprs: 24
; ScratchSize: 0
; MemoryBound: 0
; FloatMode: 240
; IeeeMode: 1
; LDSByteSize: 0 bytes/workgroup (compile time only)
; SGPRBlocks: 0
; VGPRBlocks: 1
; NumSGPRsForWavesPerEU: 44
; NumVGPRsForWavesPerEU: 24
; NamedBarCnt: 0
; Occupancy: 16
; WaveLimiterHint : 1
; COMPUTE_PGM_RSRC2:SCRATCH_EN: 0
; COMPUTE_PGM_RSRC2:USER_SGPR: 2
; COMPUTE_PGM_RSRC2:TRAP_HANDLER: 0
; COMPUTE_PGM_RSRC2:TGID_X_EN: 1
; COMPUTE_PGM_RSRC2:TGID_Y_EN: 0
; COMPUTE_PGM_RSRC2:TGID_Z_EN: 0
; COMPUTE_PGM_RSRC2:TIDIG_COMP_CNT: 0
	.section	.text._ZN9rocsparseL41csrgemm_numeric_fill_block_per_row_kernelILj1024ELj64ELj16384ELj137ELj32ElidEEvT5_PKS1_S3_NS_24const_host_device_scalarIT6_EEPKT4_S3_PKS5_S9_S3_SB_S6_S9_S3_SB_S9_S3_PS5_21rocsparse_index_base_SD_SD_SD_bbb,"axG",@progbits,_ZN9rocsparseL41csrgemm_numeric_fill_block_per_row_kernelILj1024ELj64ELj16384ELj137ELj32ElidEEvT5_PKS1_S3_NS_24const_host_device_scalarIT6_EEPKT4_S3_PKS5_S9_S3_SB_S6_S9_S3_SB_S9_S3_PS5_21rocsparse_index_base_SD_SD_SD_bbb,comdat
	.globl	_ZN9rocsparseL41csrgemm_numeric_fill_block_per_row_kernelILj1024ELj64ELj16384ELj137ELj32ElidEEvT5_PKS1_S3_NS_24const_host_device_scalarIT6_EEPKT4_S3_PKS5_S9_S3_SB_S6_S9_S3_SB_S9_S3_PS5_21rocsparse_index_base_SD_SD_SD_bbb ; -- Begin function _ZN9rocsparseL41csrgemm_numeric_fill_block_per_row_kernelILj1024ELj64ELj16384ELj137ELj32ElidEEvT5_PKS1_S3_NS_24const_host_device_scalarIT6_EEPKT4_S3_PKS5_S9_S3_SB_S6_S9_S3_SB_S9_S3_PS5_21rocsparse_index_base_SD_SD_SD_bbb
	.p2align	8
	.type	_ZN9rocsparseL41csrgemm_numeric_fill_block_per_row_kernelILj1024ELj64ELj16384ELj137ELj32ElidEEvT5_PKS1_S3_NS_24const_host_device_scalarIT6_EEPKT4_S3_PKS5_S9_S3_SB_S6_S9_S3_SB_S9_S3_PS5_21rocsparse_index_base_SD_SD_SD_bbb,@function
_ZN9rocsparseL41csrgemm_numeric_fill_block_per_row_kernelILj1024ELj64ELj16384ELj137ELj32ElidEEvT5_PKS1_S3_NS_24const_host_device_scalarIT6_EEPKT4_S3_PKS5_S9_S3_SB_S6_S9_S3_SB_S9_S3_PS5_21rocsparse_index_base_SD_SD_SD_bbb: ; @_ZN9rocsparseL41csrgemm_numeric_fill_block_per_row_kernelILj1024ELj64ELj16384ELj137ELj32ElidEEvT5_PKS1_S3_NS_24const_host_device_scalarIT6_EEPKT4_S3_PKS5_S9_S3_SB_S6_S9_S3_SB_S9_S3_PS5_21rocsparse_index_base_SD_SD_SD_bbb
; %bb.0:
	s_clause 0x3
	s_load_b32 s6, s[0:1], 0x98
	s_load_b64 s[4:5], s[0:1], 0x18
	s_load_b128 s[44:47], s[0:1], 0x88
	s_load_b64 s[2:3], s[0:1], 0x50
	s_wait_kmcnt 0x0
	s_bitcmp1_b32 s6, 0
	s_cselect_b32 s21, -1, 0
	s_bitcmp1_b32 s6, 16
	s_cselect_b32 s7, -1, 0
	s_xor_b32 s8, s21, -1
	s_delay_alu instid0(SALU_CYCLE_1)
	s_or_b32 s10, s7, s8
	s_and_b32 s8, s21, exec_lo
	s_cselect_b32 s9, s5, 0
	s_cselect_b32 s8, s4, 0
	s_and_b32 vcc_lo, exec_lo, s10
	v_mov_b64_e32 v[4:5], s[8:9]
	s_cbranch_vccnz .LBB194_2
; %bb.1:
	v_mov_b32_e32 v1, 0
	flat_load_b64 v[4:5], v1, s[4:5]
.LBB194_2:
	s_load_b128 s[16:19], s[0:1], 0x8
	s_bitcmp1_b32 s6, 8
	s_cselect_b32 s20, -1, 0
	s_delay_alu instid0(SALU_CYCLE_1) | instskip(NEXT) | instid1(SALU_CYCLE_1)
	s_xor_b32 s4, s20, -1
	s_or_b32 s6, s7, s4
	s_and_b32 s4, s20, exec_lo
	s_cselect_b32 s5, s3, 0
	s_cselect_b32 s4, s2, 0
	s_and_b32 vcc_lo, exec_lo, s6
	v_mov_b64_e32 v[2:3], s[4:5]
	s_cbranch_vccnz .LBB194_4
; %bb.3:
	v_mov_b32_e32 v1, 0
	flat_load_b64 v[2:3], v1, s[2:3]
.LBB194_4:
	s_clause 0x4
	s_load_b32 s33, s[0:1], 0x0
	s_load_b64 s[34:35], s[0:1], 0x80
	s_load_b256 s[36:43], s[0:1], 0x58
	s_load_b128 s[12:15], s[0:1], 0x40
	s_load_b256 s[4:11], s[0:1], 0x20
	v_lshlrev_b32_e32 v1, 3, v0
	v_lshl_add_u32 v18, v0, 2, 0
	v_or_b32_e32 v20, 0xfffffc00, v0
	v_mov_b64_e32 v[6:7], 0
	s_wait_xcnt 0x0
	s_mov_b32 s0, 0
	v_add3_u32 v19, v1, 0, 0x10000
	v_dual_mov_b32 v1, v18 :: v_dual_mov_b32 v10, v20
	s_wait_kmcnt 0x0
	s_delay_alu instid0(VALU_DEP_2)
	v_dual_mov_b32 v8, v19 :: v_dual_mov_b32 v9, s33
.LBB194_5:                              ; =>This Inner Loop Header: Depth=1
	s_delay_alu instid0(VALU_DEP_2)
	v_add_nc_u32_e32 v10, 0x400, v10
	ds_store_b32 v1, v9
	ds_store_b64 v8, v[6:7]
	v_add_nc_u32_e32 v8, 0x2000, v8
	v_add_nc_u32_e32 v1, 0x1000, v1
	v_cmp_lt_u32_e32 vcc_lo, 0x3bff, v10
	s_or_b32 s0, vcc_lo, s0
	s_delay_alu instid0(SALU_CYCLE_1)
	s_and_not1_b32 exec_lo, exec_lo, s0
	s_cbranch_execnz .LBB194_5
; %bb.6:
	s_or_b32 exec_lo, exec_lo, s0
	s_wait_loadcnt_dscnt 0x0
	s_barrier_signal -1
	s_barrier_wait -1
	s_load_b32 s0, s[16:17], 0x0
	s_bfe_u32 s1, ttmp6, 0x4000c
	s_and_b32 s2, ttmp6, 15
	s_add_co_i32 s1, s1, 1
	s_getreg_b32 s3, hwreg(HW_REG_IB_STS2, 6, 4)
	s_mul_i32 s1, ttmp9, s1
	s_delay_alu instid0(SALU_CYCLE_1)
	s_add_co_i32 s2, s2, s1
	s_cmp_eq_u32 s3, 0
	s_cselect_b32 s1, ttmp9, s2
	s_and_b32 vcc_lo, s21, exec_lo
	s_wait_kmcnt 0x0
	s_add_co_i32 s0, s0, s1
	s_mov_b32 s1, 0
	s_load_b32 s48, s[18:19], s0 offset:0x0 scale_offset
	s_cbranch_vccz .LBB194_24
; %bb.7:
	s_wait_kmcnt 0x0
	s_ashr_i32 s49, s48, 31
	v_dual_mov_b32 v9, 0 :: v_dual_lshrrev_b32 v8, 6, v0
	s_lshl_b64 s[2:3], s[48:49], 3
	s_mov_b32 s0, s44
	s_add_nc_u64 s[2:3], s[4:5], s[2:3]
	s_mov_b32 s4, exec_lo
	s_load_b128 s[16:19], s[2:3], 0x0
	v_sub_nc_u64_e64 v[6:7], v[8:9], s[0:1]
	s_wait_kmcnt 0x0
	s_delay_alu instid0(VALU_DEP_1)
	v_add_nc_u64_e32 v[6:7], s[16:17], v[6:7]
	s_sub_nc_u64 s[0:1], s[18:19], s[0:1]
	s_delay_alu instid0(VALU_DEP_1) | instid1(SALU_CYCLE_1)
	v_cmpx_gt_i64_e64 s[0:1], v[6:7]
	s_cbranch_execz .LBB194_23
; %bb.8:
	v_and_b32_e32 v8, 63, v0
	s_mov_b32 s3, 0
	s_mov_b32 s2, s45
	;; [unrolled: 1-line block ×3, first 2 shown]
	s_delay_alu instid0(VALU_DEP_1)
	v_sub_nc_u64_e64 v[8:9], v[8:9], s[2:3]
	s_branch .LBB194_10
.LBB194_9:                              ;   in Loop: Header=BB194_10 Depth=1
	s_or_b32 exec_lo, exec_lo, s16
	v_add_nc_u64_e32 v[6:7], 16, v[6:7]
	s_delay_alu instid0(VALU_DEP_1) | instskip(SKIP_1) | instid1(SALU_CYCLE_1)
	v_cmp_le_i64_e32 vcc_lo, s[0:1], v[6:7]
	s_or_b32 s5, vcc_lo, s5
	s_and_not1_b32 exec_lo, exec_lo, s5
	s_cbranch_execz .LBB194_23
.LBB194_10:                             ; =>This Loop Header: Depth=1
                                        ;     Child Loop BB194_14 Depth 2
                                        ;       Child Loop BB194_17 Depth 3
	v_lshl_add_u64 v[10:11], v[6:7], 2, s[6:7]
	s_mov_b32 s16, exec_lo
	global_load_b32 v1, v[10:11], off
	s_wait_loadcnt 0x0
	s_wait_xcnt 0x0
	v_subrev_nc_u32_e32 v10, s44, v1
	s_delay_alu instid0(VALU_DEP_1) | instskip(NEXT) | instid1(VALU_DEP_1)
	v_ashrrev_i32_e32 v11, 31, v10
	v_lshl_add_u64 v[10:11], v[10:11], 3, s[10:11]
	global_load_b128 v[12:15], v[10:11], off
	s_wait_loadcnt 0x0
	s_wait_xcnt 0x0
	v_sub_nc_u64_e64 v[10:11], v[14:15], s[2:3]
	v_add_nc_u64_e32 v[12:13], v[12:13], v[8:9]
	s_delay_alu instid0(VALU_DEP_1)
	v_cmpx_lt_i64_e64 v[12:13], v[10:11]
	s_cbranch_execz .LBB194_9
; %bb.11:                               ;   in Loop: Header=BB194_10 Depth=1
	v_lshl_add_u64 v[14:15], v[6:7], 3, s[8:9]
	s_mov_b32 s17, 0
	global_load_b64 v[14:15], v[14:15], off
	s_wait_loadcnt 0x0
	s_wait_xcnt 0x0
	v_mul_f64_e32 v[14:15], v[4:5], v[14:15]
	s_branch .LBB194_14
.LBB194_12:                             ;   in Loop: Header=BB194_14 Depth=2
	s_or_b32 exec_lo, exec_lo, s19
.LBB194_13:                             ;   in Loop: Header=BB194_14 Depth=2
	s_delay_alu instid0(SALU_CYCLE_1) | instskip(SKIP_4) | instid1(VALU_DEP_2)
	s_or_b32 exec_lo, exec_lo, s18
	s_wait_loadcnt 0x0
	v_mul_f64_e32 v[16:17], v[14:15], v[16:17]
	v_lshlrev_b32_e32 v1, 3, v1
	v_add_nc_u64_e32 v[12:13], 64, v[12:13]
	v_add3_u32 v1, 0, v1, 0x10000
	s_delay_alu instid0(VALU_DEP_2)
	v_cmp_ge_i64_e32 vcc_lo, v[12:13], v[10:11]
	s_or_b32 s17, vcc_lo, s17
	ds_add_f64 v1, v[16:17]
	s_and_not1_b32 exec_lo, exec_lo, s17
	s_cbranch_execz .LBB194_9
.LBB194_14:                             ;   Parent Loop BB194_10 Depth=1
                                        ; =>  This Loop Header: Depth=2
                                        ;       Child Loop BB194_17 Depth 3
	v_lshl_add_u64 v[16:17], v[12:13], 2, s[12:13]
	s_mov_b32 s18, exec_lo
	global_load_b32 v1, v[16:17], off
	s_wait_xcnt 0x0
	v_lshl_add_u64 v[16:17], v[12:13], 3, s[14:15]
	global_load_b64 v[16:17], v[16:17], off
	s_wait_loadcnt 0x1
	v_subrev_nc_u32_e32 v21, s45, v1
	s_delay_alu instid0(VALU_DEP_1) | instskip(NEXT) | instid1(VALU_DEP_1)
	v_mul_lo_u32 v1, 0x89, v21
	v_and_b32_e32 v1, 0x3fff, v1
	s_delay_alu instid0(VALU_DEP_1)
	v_lshl_add_u32 v22, v1, 2, 0
	ds_load_b32 v23, v22
	s_wait_dscnt 0x0
	s_wait_xcnt 0x0
	v_cmpx_ne_u32_e64 v23, v21
	s_cbranch_execz .LBB194_13
; %bb.15:                               ;   in Loop: Header=BB194_14 Depth=2
	s_mov_b32 s19, 0
	s_branch .LBB194_17
.LBB194_16:                             ;   in Loop: Header=BB194_17 Depth=3
	s_or_b32 exec_lo, exec_lo, s23
	s_delay_alu instid0(SALU_CYCLE_1) | instskip(NEXT) | instid1(SALU_CYCLE_1)
	s_and_b32 s21, exec_lo, s22
	s_or_b32 s19, s21, s19
	s_delay_alu instid0(SALU_CYCLE_1)
	s_and_not1_b32 exec_lo, exec_lo, s19
	s_cbranch_execz .LBB194_12
.LBB194_17:                             ;   Parent Loop BB194_10 Depth=1
                                        ;     Parent Loop BB194_14 Depth=2
                                        ; =>    This Inner Loop Header: Depth=3
	s_mov_b32 s21, 0
	s_mov_b32 s22, exec_lo
	v_cmpx_ne_u32_e64 s33, v23
	s_xor_b32 s22, exec_lo, s22
	s_cbranch_execz .LBB194_19
; %bb.18:                               ;   in Loop: Header=BB194_17 Depth=3
	v_add_nc_u32_e32 v1, 1, v1
	s_mov_b32 s21, exec_lo
                                        ; implicit-def: $vgpr22
	s_delay_alu instid0(VALU_DEP_1)
	v_and_b32_e32 v1, 0x3fff, v1
	s_and_not1_saveexec_b32 s22, s22
	s_cbranch_execz .LBB194_21
	s_branch .LBB194_20
.LBB194_19:                             ;   in Loop: Header=BB194_17 Depth=3
	s_and_not1_saveexec_b32 s22, s22
	s_cbranch_execz .LBB194_21
.LBB194_20:                             ;   in Loop: Header=BB194_17 Depth=3
	v_mov_b32_e32 v23, s33
	s_and_not1_b32 s21, s21, exec_lo
	ds_cmpstore_rtn_b32 v22, v22, v21, v23
	s_wait_dscnt 0x0
	v_cmp_ne_u32_e32 vcc_lo, s33, v22
	s_and_b32 s23, vcc_lo, exec_lo
	s_delay_alu instid0(SALU_CYCLE_1)
	s_or_b32 s21, s21, s23
.LBB194_21:                             ;   in Loop: Header=BB194_17 Depth=3
	s_or_b32 exec_lo, exec_lo, s22
	s_mov_b32 s22, -1
                                        ; implicit-def: $vgpr22
                                        ; implicit-def: $vgpr23
	s_and_saveexec_b32 s23, s21
	s_cbranch_execz .LBB194_16
; %bb.22:                               ;   in Loop: Header=BB194_17 Depth=3
	v_lshl_add_u32 v22, v1, 2, 0
	ds_load_b32 v23, v22
	s_wait_dscnt 0x0
	v_cmp_eq_u32_e32 vcc_lo, v23, v21
	s_or_not1_b32 s22, vcc_lo, exec_lo
	s_branch .LBB194_16
.LBB194_23:
	s_or_b32 exec_lo, exec_lo, s4
.LBB194_24:
	s_delay_alu instid0(SALU_CYCLE_1)
	s_and_not1_b32 vcc_lo, exec_lo, s20
	s_cbranch_vccnz .LBB194_27
; %bb.25:
	s_wait_kmcnt 0x0
	s_ashr_i32 s49, s48, 31
	v_mov_b32_e32 v1, 0
	s_lshl_b64 s[0:1], s[48:49], 3
	s_delay_alu instid0(SALU_CYCLE_1) | instskip(SKIP_4) | instid1(SALU_CYCLE_1)
	s_add_nc_u64 s[0:1], s[36:37], s[0:1]
	s_load_b128 s[4:7], s[0:1], 0x0
	s_wait_xcnt 0x0
	s_mov_b32 s1, 0
	s_mov_b32 s0, s47
	v_sub_nc_u64_e64 v[4:5], v[0:1], s[0:1]
	s_wait_kmcnt 0x0
	s_delay_alu instid0(VALU_DEP_1) | instskip(SKIP_2) | instid1(VALU_DEP_1)
	v_add_nc_u64_e32 v[4:5], s[4:5], v[4:5]
	s_sub_nc_u64 s[2:3], s[6:7], s[0:1]
	s_mov_b32 s0, exec_lo
	v_cmpx_gt_i64_e64 s[2:3], v[4:5]
	s_cbranch_execnz .LBB194_97
.LBB194_26:
	s_or_b32 exec_lo, exec_lo, s0
.LBB194_27:
	v_mbcnt_lo_u32_b32 v1, -1, 0
	v_lshrrev_b32_e32 v2, 3, v0
	s_wait_xcnt 0x0
	v_cmp_lt_u32_e64 s0, 31, v0
	v_cmp_lt_u32_e64 s1, 63, v0
	;; [unrolled: 1-line block ×3, first 2 shown]
	v_xor_b32_e32 v3, 31, v1
	v_and_b32_e32 v4, 0x7c, v2
	v_mov_b32_e32 v1, 0
	v_cmp_lt_u32_e64 s3, 0x7f, v0
	v_cmp_lt_u32_e64 s4, 0x9f, v0
	v_lshrrev_b32_e64 v2, v3, -1
	v_add3_u32 v3, 0x30000, 0, v4
	v_cmp_lt_u32_e64 s5, 0xbf, v0
	v_cmp_lt_u32_e64 s6, 0xdf, v0
	;; [unrolled: 1-line block ×26, first 2 shown]
	s_mov_b32 s36, 0
	s_add_co_i32 s37, 0, 0x30000
	s_add_co_i32 s38, 0, 0x30004
	;; [unrolled: 1-line block ×32, first 2 shown]
	s_wait_dscnt 0x0
	s_barrier_signal -1
	s_barrier_wait -1
	v_cmp_eq_u32_e32 vcc_lo, 0x3ff, v0
	s_branch .LBB194_29
.LBB194_28:                             ;   in Loop: Header=BB194_29 Depth=1
	s_or_b32 exec_lo, exec_lo, s31
	v_dual_mov_b32 v4, s72 :: v_dual_add_nc_u32 v19, 0x2000, v19
	s_wait_dscnt 0x0
	s_barrier_signal -1
	s_barrier_wait -1
	ds_load_b32 v4, v4
	v_add_nc_u32_e32 v20, 0x400, v20
	v_add_nc_u32_e32 v18, 0x1000, v18
	s_delay_alu instid0(VALU_DEP_2)
	v_cmp_lt_u32_e64 s31, 0x3bff, v20
	s_or_b32 s36, s31, s36
	s_wait_dscnt 0x0
	v_add_nc_u32_e32 v1, v4, v1
	s_and_not1_b32 exec_lo, exec_lo, s36
	s_cbranch_execz .LBB194_106
.LBB194_29:                             ; =>This Inner Loop Header: Depth=1
	ds_load_b32 v6, v18
	ds_load_b64 v[4:5], v19
	s_wait_dscnt 0x0
	s_barrier_signal -1
	s_barrier_wait -1
	v_cmp_gt_i32_e64 s31, s33, v6
	s_bcnt1_i32_b32 s73, s31
	s_delay_alu instid0(SALU_CYCLE_1) | instskip(NEXT) | instid1(VALU_DEP_1)
	v_dual_mov_b32 v8, s73 :: v_dual_bitop2_b32 v7, s31, v2 bitop3:0x40
	v_bcnt_u32_b32 v7, v7, 0
	ds_store_b32 v3, v8
	s_wait_dscnt 0x0
	s_barrier_signal -1
	s_barrier_wait -1
	s_and_saveexec_b32 s73, s0
	s_cbranch_execz .LBB194_62
; %bb.30:                               ;   in Loop: Header=BB194_29 Depth=1
	v_mov_b32_e32 v8, s37
	ds_load_b32 v8, v8
	s_wait_dscnt 0x0
	v_add_nc_u32_e32 v7, v8, v7
	s_or_b32 exec_lo, exec_lo, s73
	s_and_saveexec_b32 s73, s1
	s_cbranch_execnz .LBB194_63
.LBB194_31:                             ;   in Loop: Header=BB194_29 Depth=1
	s_or_b32 exec_lo, exec_lo, s73
	s_and_saveexec_b32 s73, s2
	s_cbranch_execz .LBB194_64
.LBB194_32:                             ;   in Loop: Header=BB194_29 Depth=1
	v_mov_b32_e32 v8, s39
	ds_load_b32 v8, v8
	s_wait_dscnt 0x0
	v_add_nc_u32_e32 v7, v8, v7
	s_or_b32 exec_lo, exec_lo, s73
	s_and_saveexec_b32 s73, s3
	s_cbranch_execnz .LBB194_65
.LBB194_33:                             ;   in Loop: Header=BB194_29 Depth=1
	s_or_b32 exec_lo, exec_lo, s73
	s_and_saveexec_b32 s73, s4
	s_cbranch_execz .LBB194_66
.LBB194_34:                             ;   in Loop: Header=BB194_29 Depth=1
	v_mov_b32_e32 v8, s41
	ds_load_b32 v8, v8
	s_wait_dscnt 0x0
	v_add_nc_u32_e32 v7, v8, v7
	s_or_b32 exec_lo, exec_lo, s73
	s_and_saveexec_b32 s73, s5
	s_cbranch_execnz .LBB194_67
.LBB194_35:                             ;   in Loop: Header=BB194_29 Depth=1
	s_or_b32 exec_lo, exec_lo, s73
	s_and_saveexec_b32 s73, s6
	s_cbranch_execz .LBB194_68
.LBB194_36:                             ;   in Loop: Header=BB194_29 Depth=1
	v_mov_b32_e32 v8, s45
	ds_load_b32 v8, v8
	s_wait_dscnt 0x0
	v_add_nc_u32_e32 v7, v8, v7
	s_or_b32 exec_lo, exec_lo, s73
	s_and_saveexec_b32 s73, s7
	s_cbranch_execnz .LBB194_69
.LBB194_37:                             ;   in Loop: Header=BB194_29 Depth=1
	s_or_b32 exec_lo, exec_lo, s73
	s_and_saveexec_b32 s73, s8
	s_cbranch_execz .LBB194_70
.LBB194_38:                             ;   in Loop: Header=BB194_29 Depth=1
	v_mov_b32_e32 v8, s49
	ds_load_b32 v8, v8
	s_wait_dscnt 0x0
	v_add_nc_u32_e32 v7, v8, v7
	s_or_b32 exec_lo, exec_lo, s73
	s_and_saveexec_b32 s73, s9
	s_cbranch_execnz .LBB194_71
.LBB194_39:                             ;   in Loop: Header=BB194_29 Depth=1
	s_or_b32 exec_lo, exec_lo, s73
	s_and_saveexec_b32 s73, s10
	s_cbranch_execz .LBB194_72
.LBB194_40:                             ;   in Loop: Header=BB194_29 Depth=1
	v_mov_b32_e32 v8, s51
	ds_load_b32 v8, v8
	s_wait_dscnt 0x0
	v_add_nc_u32_e32 v7, v8, v7
	s_or_b32 exec_lo, exec_lo, s73
	s_and_saveexec_b32 s73, s11
	s_cbranch_execnz .LBB194_73
.LBB194_41:                             ;   in Loop: Header=BB194_29 Depth=1
	s_or_b32 exec_lo, exec_lo, s73
	s_and_saveexec_b32 s73, s12
	s_cbranch_execz .LBB194_74
.LBB194_42:                             ;   in Loop: Header=BB194_29 Depth=1
	v_mov_b32_e32 v8, s53
	ds_load_b32 v8, v8
	s_wait_dscnt 0x0
	v_add_nc_u32_e32 v7, v8, v7
	s_or_b32 exec_lo, exec_lo, s73
	s_and_saveexec_b32 s73, s13
	s_cbranch_execnz .LBB194_75
.LBB194_43:                             ;   in Loop: Header=BB194_29 Depth=1
	s_or_b32 exec_lo, exec_lo, s73
	s_and_saveexec_b32 s73, s14
	s_cbranch_execz .LBB194_76
.LBB194_44:                             ;   in Loop: Header=BB194_29 Depth=1
	v_mov_b32_e32 v8, s55
	ds_load_b32 v8, v8
	s_wait_dscnt 0x0
	v_add_nc_u32_e32 v7, v8, v7
	s_or_b32 exec_lo, exec_lo, s73
	s_and_saveexec_b32 s73, s15
	s_cbranch_execnz .LBB194_77
.LBB194_45:                             ;   in Loop: Header=BB194_29 Depth=1
	s_or_b32 exec_lo, exec_lo, s73
	s_and_saveexec_b32 s73, s16
	s_cbranch_execz .LBB194_78
.LBB194_46:                             ;   in Loop: Header=BB194_29 Depth=1
	v_mov_b32_e32 v8, s57
	ds_load_b32 v8, v8
	s_wait_dscnt 0x0
	v_add_nc_u32_e32 v7, v8, v7
	s_or_b32 exec_lo, exec_lo, s73
	s_and_saveexec_b32 s73, s17
	s_cbranch_execnz .LBB194_79
.LBB194_47:                             ;   in Loop: Header=BB194_29 Depth=1
	s_or_b32 exec_lo, exec_lo, s73
	s_and_saveexec_b32 s73, s18
	s_cbranch_execz .LBB194_80
.LBB194_48:                             ;   in Loop: Header=BB194_29 Depth=1
	v_mov_b32_e32 v8, s59
	ds_load_b32 v8, v8
	s_wait_dscnt 0x0
	v_add_nc_u32_e32 v7, v8, v7
	s_or_b32 exec_lo, exec_lo, s73
	s_and_saveexec_b32 s73, s19
	s_cbranch_execnz .LBB194_81
.LBB194_49:                             ;   in Loop: Header=BB194_29 Depth=1
	s_or_b32 exec_lo, exec_lo, s73
	s_and_saveexec_b32 s73, s20
	s_cbranch_execz .LBB194_82
.LBB194_50:                             ;   in Loop: Header=BB194_29 Depth=1
	v_mov_b32_e32 v8, s61
	ds_load_b32 v8, v8
	s_wait_dscnt 0x0
	v_add_nc_u32_e32 v7, v8, v7
	s_or_b32 exec_lo, exec_lo, s73
	s_and_saveexec_b32 s73, s21
	s_cbranch_execnz .LBB194_83
.LBB194_51:                             ;   in Loop: Header=BB194_29 Depth=1
	s_or_b32 exec_lo, exec_lo, s73
	s_and_saveexec_b32 s73, s22
	s_cbranch_execz .LBB194_84
.LBB194_52:                             ;   in Loop: Header=BB194_29 Depth=1
	v_mov_b32_e32 v8, s63
	ds_load_b32 v8, v8
	s_wait_dscnt 0x0
	v_add_nc_u32_e32 v7, v8, v7
	s_or_b32 exec_lo, exec_lo, s73
	s_and_saveexec_b32 s73, s23
	s_cbranch_execnz .LBB194_85
.LBB194_53:                             ;   in Loop: Header=BB194_29 Depth=1
	s_or_b32 exec_lo, exec_lo, s73
	s_and_saveexec_b32 s73, s24
	s_cbranch_execz .LBB194_86
.LBB194_54:                             ;   in Loop: Header=BB194_29 Depth=1
	v_mov_b32_e32 v8, s65
	ds_load_b32 v8, v8
	s_wait_dscnt 0x0
	v_add_nc_u32_e32 v7, v8, v7
	s_or_b32 exec_lo, exec_lo, s73
	s_and_saveexec_b32 s73, s25
	s_cbranch_execnz .LBB194_87
.LBB194_55:                             ;   in Loop: Header=BB194_29 Depth=1
	s_or_b32 exec_lo, exec_lo, s73
	s_and_saveexec_b32 s73, s26
	s_cbranch_execz .LBB194_88
.LBB194_56:                             ;   in Loop: Header=BB194_29 Depth=1
	v_mov_b32_e32 v8, s67
	ds_load_b32 v8, v8
	s_wait_dscnt 0x0
	v_add_nc_u32_e32 v7, v8, v7
	s_or_b32 exec_lo, exec_lo, s73
	s_and_saveexec_b32 s73, s27
	s_cbranch_execnz .LBB194_89
.LBB194_57:                             ;   in Loop: Header=BB194_29 Depth=1
	s_or_b32 exec_lo, exec_lo, s73
	s_and_saveexec_b32 s73, s28
	s_cbranch_execz .LBB194_90
.LBB194_58:                             ;   in Loop: Header=BB194_29 Depth=1
	v_mov_b32_e32 v8, s69
	ds_load_b32 v8, v8
	s_wait_dscnt 0x0
	v_add_nc_u32_e32 v7, v8, v7
	s_or_b32 exec_lo, exec_lo, s73
	s_and_saveexec_b32 s73, s29
	s_cbranch_execnz .LBB194_91
.LBB194_59:                             ;   in Loop: Header=BB194_29 Depth=1
	s_or_b32 exec_lo, exec_lo, s73
	s_and_saveexec_b32 s73, s30
	s_cbranch_execz .LBB194_92
.LBB194_60:                             ;   in Loop: Header=BB194_29 Depth=1
	v_mov_b32_e32 v8, s71
	ds_load_b32 v8, v8
	s_wait_dscnt 0x0
	v_add_nc_u32_e32 v7, v8, v7
	s_or_b32 exec_lo, exec_lo, s73
	s_and_saveexec_b32 s73, s31
	s_cbranch_execnz .LBB194_93
.LBB194_61:                             ;   in Loop: Header=BB194_29 Depth=1
	s_or_b32 exec_lo, exec_lo, s73
	s_and_saveexec_b32 s31, vcc_lo
	s_cbranch_execz .LBB194_28
	s_branch .LBB194_94
.LBB194_62:                             ;   in Loop: Header=BB194_29 Depth=1
	s_or_b32 exec_lo, exec_lo, s73
	s_and_saveexec_b32 s73, s1
	s_cbranch_execz .LBB194_31
.LBB194_63:                             ;   in Loop: Header=BB194_29 Depth=1
	v_mov_b32_e32 v8, s38
	ds_load_b32 v8, v8
	s_wait_dscnt 0x0
	v_add_nc_u32_e32 v7, v8, v7
	s_or_b32 exec_lo, exec_lo, s73
	s_and_saveexec_b32 s73, s2
	s_cbranch_execnz .LBB194_32
.LBB194_64:                             ;   in Loop: Header=BB194_29 Depth=1
	s_or_b32 exec_lo, exec_lo, s73
	s_and_saveexec_b32 s73, s3
	s_cbranch_execz .LBB194_33
.LBB194_65:                             ;   in Loop: Header=BB194_29 Depth=1
	v_mov_b32_e32 v8, s40
	ds_load_b32 v8, v8
	s_wait_dscnt 0x0
	v_add_nc_u32_e32 v7, v8, v7
	s_or_b32 exec_lo, exec_lo, s73
	s_and_saveexec_b32 s73, s4
	s_cbranch_execnz .LBB194_34
.LBB194_66:                             ;   in Loop: Header=BB194_29 Depth=1
	s_or_b32 exec_lo, exec_lo, s73
	s_and_saveexec_b32 s73, s5
	s_cbranch_execz .LBB194_35
.LBB194_67:                             ;   in Loop: Header=BB194_29 Depth=1
	v_mov_b32_e32 v8, s44
	ds_load_b32 v8, v8
	s_wait_dscnt 0x0
	v_add_nc_u32_e32 v7, v8, v7
	s_or_b32 exec_lo, exec_lo, s73
	s_and_saveexec_b32 s73, s6
	s_cbranch_execnz .LBB194_36
.LBB194_68:                             ;   in Loop: Header=BB194_29 Depth=1
	s_or_b32 exec_lo, exec_lo, s73
	s_and_saveexec_b32 s73, s7
	s_cbranch_execz .LBB194_37
.LBB194_69:                             ;   in Loop: Header=BB194_29 Depth=1
	v_mov_b32_e32 v8, s47
	ds_load_b32 v8, v8
	s_wait_dscnt 0x0
	v_add_nc_u32_e32 v7, v8, v7
	s_or_b32 exec_lo, exec_lo, s73
	s_and_saveexec_b32 s73, s8
	s_cbranch_execnz .LBB194_38
.LBB194_70:                             ;   in Loop: Header=BB194_29 Depth=1
	s_or_b32 exec_lo, exec_lo, s73
	s_and_saveexec_b32 s73, s9
	s_cbranch_execz .LBB194_39
.LBB194_71:                             ;   in Loop: Header=BB194_29 Depth=1
	v_mov_b32_e32 v8, s50
	ds_load_b32 v8, v8
	s_wait_dscnt 0x0
	v_add_nc_u32_e32 v7, v8, v7
	s_or_b32 exec_lo, exec_lo, s73
	s_and_saveexec_b32 s73, s10
	s_cbranch_execnz .LBB194_40
.LBB194_72:                             ;   in Loop: Header=BB194_29 Depth=1
	s_or_b32 exec_lo, exec_lo, s73
	s_and_saveexec_b32 s73, s11
	s_cbranch_execz .LBB194_41
.LBB194_73:                             ;   in Loop: Header=BB194_29 Depth=1
	v_mov_b32_e32 v8, s52
	ds_load_b32 v8, v8
	s_wait_dscnt 0x0
	v_add_nc_u32_e32 v7, v8, v7
	s_or_b32 exec_lo, exec_lo, s73
	s_and_saveexec_b32 s73, s12
	s_cbranch_execnz .LBB194_42
.LBB194_74:                             ;   in Loop: Header=BB194_29 Depth=1
	s_or_b32 exec_lo, exec_lo, s73
	s_and_saveexec_b32 s73, s13
	s_cbranch_execz .LBB194_43
.LBB194_75:                             ;   in Loop: Header=BB194_29 Depth=1
	v_mov_b32_e32 v8, s54
	ds_load_b32 v8, v8
	s_wait_dscnt 0x0
	v_add_nc_u32_e32 v7, v8, v7
	s_or_b32 exec_lo, exec_lo, s73
	s_and_saveexec_b32 s73, s14
	s_cbranch_execnz .LBB194_44
.LBB194_76:                             ;   in Loop: Header=BB194_29 Depth=1
	s_or_b32 exec_lo, exec_lo, s73
	s_and_saveexec_b32 s73, s15
	s_cbranch_execz .LBB194_45
.LBB194_77:                             ;   in Loop: Header=BB194_29 Depth=1
	v_mov_b32_e32 v8, s56
	ds_load_b32 v8, v8
	s_wait_dscnt 0x0
	v_add_nc_u32_e32 v7, v8, v7
	s_or_b32 exec_lo, exec_lo, s73
	s_and_saveexec_b32 s73, s16
	s_cbranch_execnz .LBB194_46
.LBB194_78:                             ;   in Loop: Header=BB194_29 Depth=1
	s_or_b32 exec_lo, exec_lo, s73
	s_and_saveexec_b32 s73, s17
	s_cbranch_execz .LBB194_47
.LBB194_79:                             ;   in Loop: Header=BB194_29 Depth=1
	v_mov_b32_e32 v8, s58
	ds_load_b32 v8, v8
	s_wait_dscnt 0x0
	v_add_nc_u32_e32 v7, v8, v7
	s_or_b32 exec_lo, exec_lo, s73
	s_and_saveexec_b32 s73, s18
	s_cbranch_execnz .LBB194_48
.LBB194_80:                             ;   in Loop: Header=BB194_29 Depth=1
	s_or_b32 exec_lo, exec_lo, s73
	s_and_saveexec_b32 s73, s19
	s_cbranch_execz .LBB194_49
.LBB194_81:                             ;   in Loop: Header=BB194_29 Depth=1
	v_mov_b32_e32 v8, s60
	ds_load_b32 v8, v8
	s_wait_dscnt 0x0
	v_add_nc_u32_e32 v7, v8, v7
	s_or_b32 exec_lo, exec_lo, s73
	s_and_saveexec_b32 s73, s20
	s_cbranch_execnz .LBB194_50
.LBB194_82:                             ;   in Loop: Header=BB194_29 Depth=1
	s_or_b32 exec_lo, exec_lo, s73
	s_and_saveexec_b32 s73, s21
	s_cbranch_execz .LBB194_51
.LBB194_83:                             ;   in Loop: Header=BB194_29 Depth=1
	v_mov_b32_e32 v8, s62
	ds_load_b32 v8, v8
	s_wait_dscnt 0x0
	v_add_nc_u32_e32 v7, v8, v7
	s_or_b32 exec_lo, exec_lo, s73
	s_and_saveexec_b32 s73, s22
	s_cbranch_execnz .LBB194_52
.LBB194_84:                             ;   in Loop: Header=BB194_29 Depth=1
	s_or_b32 exec_lo, exec_lo, s73
	s_and_saveexec_b32 s73, s23
	s_cbranch_execz .LBB194_53
.LBB194_85:                             ;   in Loop: Header=BB194_29 Depth=1
	v_mov_b32_e32 v8, s64
	ds_load_b32 v8, v8
	s_wait_dscnt 0x0
	v_add_nc_u32_e32 v7, v8, v7
	s_or_b32 exec_lo, exec_lo, s73
	s_and_saveexec_b32 s73, s24
	s_cbranch_execnz .LBB194_54
.LBB194_86:                             ;   in Loop: Header=BB194_29 Depth=1
	s_or_b32 exec_lo, exec_lo, s73
	s_and_saveexec_b32 s73, s25
	s_cbranch_execz .LBB194_55
.LBB194_87:                             ;   in Loop: Header=BB194_29 Depth=1
	v_mov_b32_e32 v8, s66
	ds_load_b32 v8, v8
	s_wait_dscnt 0x0
	v_add_nc_u32_e32 v7, v8, v7
	s_or_b32 exec_lo, exec_lo, s73
	s_and_saveexec_b32 s73, s26
	s_cbranch_execnz .LBB194_56
.LBB194_88:                             ;   in Loop: Header=BB194_29 Depth=1
	s_or_b32 exec_lo, exec_lo, s73
	s_and_saveexec_b32 s73, s27
	s_cbranch_execz .LBB194_57
.LBB194_89:                             ;   in Loop: Header=BB194_29 Depth=1
	v_mov_b32_e32 v8, s68
	ds_load_b32 v8, v8
	s_wait_dscnt 0x0
	v_add_nc_u32_e32 v7, v8, v7
	s_or_b32 exec_lo, exec_lo, s73
	s_and_saveexec_b32 s73, s28
	s_cbranch_execnz .LBB194_58
.LBB194_90:                             ;   in Loop: Header=BB194_29 Depth=1
	s_or_b32 exec_lo, exec_lo, s73
	s_and_saveexec_b32 s73, s29
	s_cbranch_execz .LBB194_59
.LBB194_91:                             ;   in Loop: Header=BB194_29 Depth=1
	v_mov_b32_e32 v8, s70
	ds_load_b32 v8, v8
	s_wait_dscnt 0x0
	v_add_nc_u32_e32 v7, v8, v7
	s_or_b32 exec_lo, exec_lo, s73
	s_and_saveexec_b32 s73, s30
	s_cbranch_execnz .LBB194_60
.LBB194_92:                             ;   in Loop: Header=BB194_29 Depth=1
	s_or_b32 exec_lo, exec_lo, s73
	s_and_saveexec_b32 s73, s31
	s_cbranch_execz .LBB194_61
.LBB194_93:                             ;   in Loop: Header=BB194_29 Depth=1
	s_delay_alu instid0(VALU_DEP_1) | instskip(SKIP_1) | instid1(VALU_DEP_2)
	v_add3_u32 v8, v1, -1, v7
	v_add_nc_u32_e32 v9, v1, v7
	v_lshl_add_u32 v8, v8, 2, 0
	s_delay_alu instid0(VALU_DEP_2)
	v_lshl_add_u32 v9, v9, 3, 0
	ds_store_b32 v8, v6
	ds_store_b64 v9, v[4:5] offset:65528
	s_or_b32 exec_lo, exec_lo, s73
	s_and_saveexec_b32 s31, vcc_lo
	s_cbranch_execz .LBB194_28
.LBB194_94:                             ;   in Loop: Header=BB194_29 Depth=1
	v_mov_b32_e32 v4, s72
	ds_store_b32 v4, v7
	s_branch .LBB194_28
.LBB194_95:                             ;   in Loop: Header=BB194_97 Depth=1
	s_or_b32 exec_lo, exec_lo, s5
.LBB194_96:                             ;   in Loop: Header=BB194_97 Depth=1
	s_delay_alu instid0(SALU_CYCLE_1) | instskip(SKIP_3) | instid1(VALU_DEP_2)
	s_or_b32 exec_lo, exec_lo, s4
	s_wait_loadcnt 0x0
	v_dual_mul_f64 v[6:7], v[2:3], v[6:7] :: v_dual_lshlrev_b32 v1, 3, v1
	v_add_nc_u64_e32 v[4:5], 0x400, v[4:5]
	v_add3_u32 v1, 0, v1, 0x10000
	s_delay_alu instid0(VALU_DEP_2)
	v_cmp_le_i64_e32 vcc_lo, s[2:3], v[4:5]
	s_or_b32 s1, vcc_lo, s1
	ds_add_f64 v1, v[6:7]
	s_and_not1_b32 exec_lo, exec_lo, s1
	s_cbranch_execz .LBB194_26
.LBB194_97:                             ; =>This Loop Header: Depth=1
                                        ;     Child Loop BB194_100 Depth 2
	v_lshl_add_u64 v[6:7], v[4:5], 2, s[38:39]
	s_mov_b32 s4, exec_lo
	global_load_b32 v1, v[6:7], off
	s_wait_xcnt 0x0
	v_lshl_add_u64 v[6:7], v[4:5], 3, s[40:41]
	global_load_b64 v[6:7], v[6:7], off
	s_wait_loadcnt 0x1
	v_subrev_nc_u32_e32 v8, s47, v1
	s_delay_alu instid0(VALU_DEP_1) | instskip(NEXT) | instid1(VALU_DEP_1)
	v_mul_lo_u32 v1, 0x89, v8
	v_and_b32_e32 v1, 0x3fff, v1
	s_delay_alu instid0(VALU_DEP_1)
	v_lshl_add_u32 v9, v1, 2, 0
	ds_load_b32 v10, v9
	s_wait_dscnt 0x0
	s_wait_xcnt 0x0
	v_cmpx_ne_u32_e64 v10, v8
	s_cbranch_execz .LBB194_96
; %bb.98:                               ;   in Loop: Header=BB194_97 Depth=1
	s_mov_b32 s5, 0
	s_branch .LBB194_100
.LBB194_99:                             ;   in Loop: Header=BB194_100 Depth=2
	s_or_b32 exec_lo, exec_lo, s8
	s_delay_alu instid0(SALU_CYCLE_1) | instskip(NEXT) | instid1(SALU_CYCLE_1)
	s_and_b32 s6, exec_lo, s7
	s_or_b32 s5, s6, s5
	s_delay_alu instid0(SALU_CYCLE_1)
	s_and_not1_b32 exec_lo, exec_lo, s5
	s_cbranch_execz .LBB194_95
.LBB194_100:                            ;   Parent Loop BB194_97 Depth=1
                                        ; =>  This Inner Loop Header: Depth=2
	s_mov_b32 s6, 0
	s_mov_b32 s7, exec_lo
	v_cmpx_ne_u32_e64 s33, v10
	s_xor_b32 s7, exec_lo, s7
	s_cbranch_execz .LBB194_102
; %bb.101:                              ;   in Loop: Header=BB194_100 Depth=2
	v_add_nc_u32_e32 v1, 1, v1
	s_mov_b32 s6, exec_lo
                                        ; implicit-def: $vgpr9
	s_delay_alu instid0(VALU_DEP_1)
	v_and_b32_e32 v1, 0x3fff, v1
	s_and_not1_saveexec_b32 s7, s7
	s_cbranch_execz .LBB194_104
	s_branch .LBB194_103
.LBB194_102:                            ;   in Loop: Header=BB194_100 Depth=2
	s_and_not1_saveexec_b32 s7, s7
	s_cbranch_execz .LBB194_104
.LBB194_103:                            ;   in Loop: Header=BB194_100 Depth=2
	v_mov_b32_e32 v10, s33
	s_and_not1_b32 s6, s6, exec_lo
	ds_cmpstore_rtn_b32 v9, v9, v8, v10
	s_wait_dscnt 0x0
	v_cmp_ne_u32_e32 vcc_lo, s33, v9
	s_and_b32 s8, vcc_lo, exec_lo
	s_delay_alu instid0(SALU_CYCLE_1)
	s_or_b32 s6, s6, s8
.LBB194_104:                            ;   in Loop: Header=BB194_100 Depth=2
	s_or_b32 exec_lo, exec_lo, s7
	s_mov_b32 s7, -1
                                        ; implicit-def: $vgpr9
                                        ; implicit-def: $vgpr10
	s_and_saveexec_b32 s8, s6
	s_cbranch_execz .LBB194_99
; %bb.105:                              ;   in Loop: Header=BB194_100 Depth=2
	v_lshl_add_u32 v9, v1, 2, 0
	ds_load_b32 v10, v9
	s_wait_dscnt 0x0
	v_cmp_eq_u32_e32 vcc_lo, v10, v8
	s_or_not1_b32 s7, vcc_lo, exec_lo
	s_branch .LBB194_99
.LBB194_106:
	s_or_b32 exec_lo, exec_lo, s36
	s_wait_kmcnt 0x0
	s_ashr_i32 s49, s48, 31
	s_delay_alu instid0(SALU_CYCLE_1) | instskip(NEXT) | instid1(SALU_CYCLE_1)
	s_lshl_b64 s[0:1], s[48:49], 3
	s_add_nc_u64 s[4:5], s[42:43], s[0:1]
	s_load_b128 s[0:3], s[4:5], 0x0
	s_wait_xcnt 0x0
	s_mov_b32 s4, exec_lo
	s_wait_kmcnt 0x0
	s_sub_co_i32 s3, s2, s0
	s_delay_alu instid0(SALU_CYCLE_1)
	v_cmpx_gt_i32_e64 s3, v0
	s_cbranch_execz .LBB194_116
; %bb.107:
	s_sub_co_i32 s4, s0, s2
	s_and_b32 s2, s3, 7
	s_cmp_lt_u32 s4, -7
	s_mov_b32 s47, 0
	s_cselect_b32 s4, -1, 0
	s_and_b32 s5, s3, -8
	s_cmp_lg_u32 s2, 0
	s_sub_nc_u64 s[0:1], s[0:1], s[46:47]
	s_cselect_b32 s6, -1, 0
	s_mov_b32 s7, 0
	s_branch .LBB194_109
.LBB194_108:                            ;   in Loop: Header=BB194_109 Depth=1
	v_add_nc_u32_e32 v0, 0x400, v0
	s_delay_alu instid0(VALU_DEP_2) | instskip(NEXT) | instid1(VALU_DEP_2)
	v_lshl_add_u64 v[4:5], v[4:5], 3, s[34:35]
	v_cmp_le_i32_e32 vcc_lo, s3, v0
	s_wait_dscnt 0x0
	global_store_b64 v[4:5], v[2:3], off
	s_or_b32 s7, vcc_lo, s7
	s_wait_xcnt 0x0
	s_and_not1_b32 exec_lo, exec_lo, s7
	s_cbranch_execz .LBB194_116
.LBB194_109:                            ; =>This Loop Header: Depth=1
                                        ;     Child Loop BB194_111 Depth 2
                                        ;     Child Loop BB194_115 Depth 2
	v_lshlrev_b32_e32 v1, 3, v0
	v_lshl_add_u32 v2, v0, 2, 0
	v_mov_b64_e32 v[4:5], s[0:1]
	s_and_not1_b32 vcc_lo, exec_lo, s4
	s_mov_b32 s8, 0
	v_add3_u32 v3, 0, v1, 0x10000
	ds_load_b32 v1, v2
	ds_load_b64 v[2:3], v3
	s_cbranch_vccnz .LBB194_113
; %bb.110:                              ;   in Loop: Header=BB194_109 Depth=1
	v_mov_b64_e32 v[4:5], s[0:1]
	s_mov_b32 s9, 0
.LBB194_111:                            ;   Parent Loop BB194_109 Depth=1
                                        ; =>  This Inner Loop Header: Depth=2
	s_delay_alu instid0(SALU_CYCLE_1)
	v_dual_mov_b32 v10, s9 :: v_dual_mov_b32 v11, s47
	v_mov_b32_e32 v17, s47
	s_add_co_i32 s8, s8, 8
	s_add_co_i32 s9, s9, 32
	ds_load_2addr_b32 v[6:7], v10 offset1:1
	ds_load_2addr_b32 v[8:9], v10 offset0:2 offset1:3
	ds_load_2addr_b32 v[12:13], v10 offset0:4 offset1:5
	;; [unrolled: 1-line block ×3, first 2 shown]
	s_cmp_eq_u32 s5, s8
	s_wait_dscnt 0x3
	v_cmp_gt_i32_e32 vcc_lo, v1, v6
	v_cndmask_b32_e64 v10, 0, 1, vcc_lo
	v_cmp_gt_i32_e32 vcc_lo, v1, v7
	v_mov_b32_e32 v7, s47
	s_delay_alu instid0(VALU_DEP_3) | instskip(SKIP_4) | instid1(VALU_DEP_3)
	v_add_nc_u64_e32 v[4:5], v[4:5], v[10:11]
	v_cndmask_b32_e64 v16, 0, 1, vcc_lo
	s_wait_dscnt 0x2
	v_cmp_gt_i32_e32 vcc_lo, v1, v8
	v_cndmask_b32_e64 v6, 0, 1, vcc_lo
	v_add_nc_u64_e32 v[4:5], v[4:5], v[16:17]
	v_cmp_gt_i32_e32 vcc_lo, v1, v9
	v_mov_b32_e32 v9, s47
	v_cndmask_b32_e64 v10, 0, 1, vcc_lo
	s_delay_alu instid0(VALU_DEP_4) | instskip(SKIP_3) | instid1(VALU_DEP_3)
	v_add_nc_u64_e32 v[4:5], v[4:5], v[6:7]
	s_wait_dscnt 0x1
	v_cmp_gt_i32_e32 vcc_lo, v1, v12
	v_cndmask_b32_e64 v6, 0, 1, vcc_lo
	v_add_nc_u64_e32 v[4:5], v[4:5], v[10:11]
	v_cmp_gt_i32_e32 vcc_lo, v1, v13
	v_cndmask_b32_e64 v8, 0, 1, vcc_lo
	s_delay_alu instid0(VALU_DEP_3) | instskip(SKIP_3) | instid1(VALU_DEP_3)
	v_add_nc_u64_e32 v[4:5], v[4:5], v[6:7]
	s_wait_dscnt 0x0
	v_cmp_gt_i32_e32 vcc_lo, v1, v14
	v_cndmask_b32_e64 v6, 0, 1, vcc_lo
	v_add_nc_u64_e32 v[4:5], v[4:5], v[8:9]
	v_cmp_gt_i32_e32 vcc_lo, v1, v15
	v_cndmask_b32_e64 v8, 0, 1, vcc_lo
	s_delay_alu instid0(VALU_DEP_3) | instskip(NEXT) | instid1(VALU_DEP_1)
	v_add_nc_u64_e32 v[4:5], v[4:5], v[6:7]
	v_add_nc_u64_e32 v[4:5], v[4:5], v[8:9]
	s_cbranch_scc0 .LBB194_111
; %bb.112:                              ;   in Loop: Header=BB194_109 Depth=1
	s_mov_b32 s8, s5
.LBB194_113:                            ;   in Loop: Header=BB194_109 Depth=1
	s_and_not1_b32 vcc_lo, exec_lo, s6
	s_cbranch_vccnz .LBB194_108
; %bb.114:                              ;   in Loop: Header=BB194_109 Depth=1
	s_lshl_b32 s8, s8, 2
	s_mov_b32 s9, s2
	s_add_co_i32 s8, s8, 0
.LBB194_115:                            ;   Parent Loop BB194_109 Depth=1
                                        ; =>  This Inner Loop Header: Depth=2
	s_delay_alu instid0(SALU_CYCLE_1)
	v_dual_mov_b32 v6, s8 :: v_dual_mov_b32 v7, s47
	s_add_co_i32 s9, s9, -1
	s_add_co_i32 s8, s8, 4
	s_cmp_lg_u32 s9, 0
	ds_load_b32 v6, v6
	s_wait_dscnt 0x0
	v_cmp_gt_i32_e32 vcc_lo, v1, v6
	v_cndmask_b32_e64 v6, 0, 1, vcc_lo
	s_delay_alu instid0(VALU_DEP_1)
	v_add_nc_u64_e32 v[4:5], v[4:5], v[6:7]
	s_cbranch_scc1 .LBB194_115
	s_branch .LBB194_108
.LBB194_116:
	s_endpgm
	.section	.rodata,"a",@progbits
	.p2align	6, 0x0
	.amdhsa_kernel _ZN9rocsparseL41csrgemm_numeric_fill_block_per_row_kernelILj1024ELj64ELj16384ELj137ELj32ElidEEvT5_PKS1_S3_NS_24const_host_device_scalarIT6_EEPKT4_S3_PKS5_S9_S3_SB_S6_S9_S3_SB_S9_S3_PS5_21rocsparse_index_base_SD_SD_SD_bbb
		.amdhsa_group_segment_fixed_size 0
		.amdhsa_private_segment_fixed_size 0
		.amdhsa_kernarg_size 156
		.amdhsa_user_sgpr_count 2
		.amdhsa_user_sgpr_dispatch_ptr 0
		.amdhsa_user_sgpr_queue_ptr 0
		.amdhsa_user_sgpr_kernarg_segment_ptr 1
		.amdhsa_user_sgpr_dispatch_id 0
		.amdhsa_user_sgpr_kernarg_preload_length 0
		.amdhsa_user_sgpr_kernarg_preload_offset 0
		.amdhsa_user_sgpr_private_segment_size 0
		.amdhsa_wavefront_size32 1
		.amdhsa_uses_dynamic_stack 0
		.amdhsa_enable_private_segment 0
		.amdhsa_system_sgpr_workgroup_id_x 1
		.amdhsa_system_sgpr_workgroup_id_y 0
		.amdhsa_system_sgpr_workgroup_id_z 0
		.amdhsa_system_sgpr_workgroup_info 0
		.amdhsa_system_vgpr_workitem_id 0
		.amdhsa_next_free_vgpr 24
		.amdhsa_next_free_sgpr 74
		.amdhsa_named_barrier_count 0
		.amdhsa_reserve_vcc 1
		.amdhsa_float_round_mode_32 0
		.amdhsa_float_round_mode_16_64 0
		.amdhsa_float_denorm_mode_32 3
		.amdhsa_float_denorm_mode_16_64 3
		.amdhsa_fp16_overflow 0
		.amdhsa_memory_ordered 1
		.amdhsa_forward_progress 1
		.amdhsa_inst_pref_size 35
		.amdhsa_round_robin_scheduling 0
		.amdhsa_exception_fp_ieee_invalid_op 0
		.amdhsa_exception_fp_denorm_src 0
		.amdhsa_exception_fp_ieee_div_zero 0
		.amdhsa_exception_fp_ieee_overflow 0
		.amdhsa_exception_fp_ieee_underflow 0
		.amdhsa_exception_fp_ieee_inexact 0
		.amdhsa_exception_int_div_zero 0
	.end_amdhsa_kernel
	.section	.text._ZN9rocsparseL41csrgemm_numeric_fill_block_per_row_kernelILj1024ELj64ELj16384ELj137ELj32ElidEEvT5_PKS1_S3_NS_24const_host_device_scalarIT6_EEPKT4_S3_PKS5_S9_S3_SB_S6_S9_S3_SB_S9_S3_PS5_21rocsparse_index_base_SD_SD_SD_bbb,"axG",@progbits,_ZN9rocsparseL41csrgemm_numeric_fill_block_per_row_kernelILj1024ELj64ELj16384ELj137ELj32ElidEEvT5_PKS1_S3_NS_24const_host_device_scalarIT6_EEPKT4_S3_PKS5_S9_S3_SB_S6_S9_S3_SB_S9_S3_PS5_21rocsparse_index_base_SD_SD_SD_bbb,comdat
.Lfunc_end194:
	.size	_ZN9rocsparseL41csrgemm_numeric_fill_block_per_row_kernelILj1024ELj64ELj16384ELj137ELj32ElidEEvT5_PKS1_S3_NS_24const_host_device_scalarIT6_EEPKT4_S3_PKS5_S9_S3_SB_S6_S9_S3_SB_S9_S3_PS5_21rocsparse_index_base_SD_SD_SD_bbb, .Lfunc_end194-_ZN9rocsparseL41csrgemm_numeric_fill_block_per_row_kernelILj1024ELj64ELj16384ELj137ELj32ElidEEvT5_PKS1_S3_NS_24const_host_device_scalarIT6_EEPKT4_S3_PKS5_S9_S3_SB_S6_S9_S3_SB_S9_S3_PS5_21rocsparse_index_base_SD_SD_SD_bbb
                                        ; -- End function
	.set _ZN9rocsparseL41csrgemm_numeric_fill_block_per_row_kernelILj1024ELj64ELj16384ELj137ELj32ElidEEvT5_PKS1_S3_NS_24const_host_device_scalarIT6_EEPKT4_S3_PKS5_S9_S3_SB_S6_S9_S3_SB_S9_S3_PS5_21rocsparse_index_base_SD_SD_SD_bbb.num_vgpr, 24
	.set _ZN9rocsparseL41csrgemm_numeric_fill_block_per_row_kernelILj1024ELj64ELj16384ELj137ELj32ElidEEvT5_PKS1_S3_NS_24const_host_device_scalarIT6_EEPKT4_S3_PKS5_S9_S3_SB_S6_S9_S3_SB_S9_S3_PS5_21rocsparse_index_base_SD_SD_SD_bbb.num_agpr, 0
	.set _ZN9rocsparseL41csrgemm_numeric_fill_block_per_row_kernelILj1024ELj64ELj16384ELj137ELj32ElidEEvT5_PKS1_S3_NS_24const_host_device_scalarIT6_EEPKT4_S3_PKS5_S9_S3_SB_S6_S9_S3_SB_S9_S3_PS5_21rocsparse_index_base_SD_SD_SD_bbb.numbered_sgpr, 74
	.set _ZN9rocsparseL41csrgemm_numeric_fill_block_per_row_kernelILj1024ELj64ELj16384ELj137ELj32ElidEEvT5_PKS1_S3_NS_24const_host_device_scalarIT6_EEPKT4_S3_PKS5_S9_S3_SB_S6_S9_S3_SB_S9_S3_PS5_21rocsparse_index_base_SD_SD_SD_bbb.num_named_barrier, 0
	.set _ZN9rocsparseL41csrgemm_numeric_fill_block_per_row_kernelILj1024ELj64ELj16384ELj137ELj32ElidEEvT5_PKS1_S3_NS_24const_host_device_scalarIT6_EEPKT4_S3_PKS5_S9_S3_SB_S6_S9_S3_SB_S9_S3_PS5_21rocsparse_index_base_SD_SD_SD_bbb.private_seg_size, 0
	.set _ZN9rocsparseL41csrgemm_numeric_fill_block_per_row_kernelILj1024ELj64ELj16384ELj137ELj32ElidEEvT5_PKS1_S3_NS_24const_host_device_scalarIT6_EEPKT4_S3_PKS5_S9_S3_SB_S6_S9_S3_SB_S9_S3_PS5_21rocsparse_index_base_SD_SD_SD_bbb.uses_vcc, 1
	.set _ZN9rocsparseL41csrgemm_numeric_fill_block_per_row_kernelILj1024ELj64ELj16384ELj137ELj32ElidEEvT5_PKS1_S3_NS_24const_host_device_scalarIT6_EEPKT4_S3_PKS5_S9_S3_SB_S6_S9_S3_SB_S9_S3_PS5_21rocsparse_index_base_SD_SD_SD_bbb.uses_flat_scratch, 0
	.set _ZN9rocsparseL41csrgemm_numeric_fill_block_per_row_kernelILj1024ELj64ELj16384ELj137ELj32ElidEEvT5_PKS1_S3_NS_24const_host_device_scalarIT6_EEPKT4_S3_PKS5_S9_S3_SB_S6_S9_S3_SB_S9_S3_PS5_21rocsparse_index_base_SD_SD_SD_bbb.has_dyn_sized_stack, 0
	.set _ZN9rocsparseL41csrgemm_numeric_fill_block_per_row_kernelILj1024ELj64ELj16384ELj137ELj32ElidEEvT5_PKS1_S3_NS_24const_host_device_scalarIT6_EEPKT4_S3_PKS5_S9_S3_SB_S6_S9_S3_SB_S9_S3_PS5_21rocsparse_index_base_SD_SD_SD_bbb.has_recursion, 0
	.set _ZN9rocsparseL41csrgemm_numeric_fill_block_per_row_kernelILj1024ELj64ELj16384ELj137ELj32ElidEEvT5_PKS1_S3_NS_24const_host_device_scalarIT6_EEPKT4_S3_PKS5_S9_S3_SB_S6_S9_S3_SB_S9_S3_PS5_21rocsparse_index_base_SD_SD_SD_bbb.has_indirect_call, 0
	.section	.AMDGPU.csdata,"",@progbits
; Kernel info:
; codeLenInByte = 4476
; TotalNumSgprs: 76
; NumVgprs: 24
; ScratchSize: 0
; MemoryBound: 0
; FloatMode: 240
; IeeeMode: 1
; LDSByteSize: 0 bytes/workgroup (compile time only)
; SGPRBlocks: 0
; VGPRBlocks: 1
; NumSGPRsForWavesPerEU: 76
; NumVGPRsForWavesPerEU: 24
; NamedBarCnt: 0
; Occupancy: 16
; WaveLimiterHint : 1
; COMPUTE_PGM_RSRC2:SCRATCH_EN: 0
; COMPUTE_PGM_RSRC2:USER_SGPR: 2
; COMPUTE_PGM_RSRC2:TRAP_HANDLER: 0
; COMPUTE_PGM_RSRC2:TGID_X_EN: 1
; COMPUTE_PGM_RSRC2:TGID_Y_EN: 0
; COMPUTE_PGM_RSRC2:TGID_Z_EN: 0
; COMPUTE_PGM_RSRC2:TIDIG_COMP_CNT: 0
	.section	.text._ZN9rocsparseL41csrgemm_numeric_fill_block_per_row_kernelILj1024ELj64ELj16384ELj137ELj64ElidEEvT5_PKS1_S3_NS_24const_host_device_scalarIT6_EEPKT4_S3_PKS5_S9_S3_SB_S6_S9_S3_SB_S9_S3_PS5_21rocsparse_index_base_SD_SD_SD_bbb,"axG",@progbits,_ZN9rocsparseL41csrgemm_numeric_fill_block_per_row_kernelILj1024ELj64ELj16384ELj137ELj64ElidEEvT5_PKS1_S3_NS_24const_host_device_scalarIT6_EEPKT4_S3_PKS5_S9_S3_SB_S6_S9_S3_SB_S9_S3_PS5_21rocsparse_index_base_SD_SD_SD_bbb,comdat
	.globl	_ZN9rocsparseL41csrgemm_numeric_fill_block_per_row_kernelILj1024ELj64ELj16384ELj137ELj64ElidEEvT5_PKS1_S3_NS_24const_host_device_scalarIT6_EEPKT4_S3_PKS5_S9_S3_SB_S6_S9_S3_SB_S9_S3_PS5_21rocsparse_index_base_SD_SD_SD_bbb ; -- Begin function _ZN9rocsparseL41csrgemm_numeric_fill_block_per_row_kernelILj1024ELj64ELj16384ELj137ELj64ElidEEvT5_PKS1_S3_NS_24const_host_device_scalarIT6_EEPKT4_S3_PKS5_S9_S3_SB_S6_S9_S3_SB_S9_S3_PS5_21rocsparse_index_base_SD_SD_SD_bbb
	.p2align	8
	.type	_ZN9rocsparseL41csrgemm_numeric_fill_block_per_row_kernelILj1024ELj64ELj16384ELj137ELj64ElidEEvT5_PKS1_S3_NS_24const_host_device_scalarIT6_EEPKT4_S3_PKS5_S9_S3_SB_S6_S9_S3_SB_S9_S3_PS5_21rocsparse_index_base_SD_SD_SD_bbb,@function
_ZN9rocsparseL41csrgemm_numeric_fill_block_per_row_kernelILj1024ELj64ELj16384ELj137ELj64ElidEEvT5_PKS1_S3_NS_24const_host_device_scalarIT6_EEPKT4_S3_PKS5_S9_S3_SB_S6_S9_S3_SB_S9_S3_PS5_21rocsparse_index_base_SD_SD_SD_bbb: ; @_ZN9rocsparseL41csrgemm_numeric_fill_block_per_row_kernelILj1024ELj64ELj16384ELj137ELj64ElidEEvT5_PKS1_S3_NS_24const_host_device_scalarIT6_EEPKT4_S3_PKS5_S9_S3_SB_S6_S9_S3_SB_S9_S3_PS5_21rocsparse_index_base_SD_SD_SD_bbb
; %bb.0:
	s_clause 0x3
	s_load_b32 s6, s[0:1], 0x98
	s_load_b64 s[4:5], s[0:1], 0x18
	s_load_b128 s[20:23], s[0:1], 0x88
	s_load_b64 s[2:3], s[0:1], 0x50
	s_wait_kmcnt 0x0
	s_bitcmp1_b32 s6, 0
	s_cselect_b32 s37, -1, 0
	s_bitcmp1_b32 s6, 16
	s_cselect_b32 s7, -1, 0
	s_xor_b32 s8, s37, -1
	s_delay_alu instid0(SALU_CYCLE_1)
	s_or_b32 s10, s7, s8
	s_and_b32 s8, s37, exec_lo
	s_cselect_b32 s9, s5, 0
	s_cselect_b32 s8, s4, 0
	s_and_b32 vcc_lo, exec_lo, s10
	v_mov_b64_e32 v[6:7], s[8:9]
	s_cbranch_vccnz .LBB195_2
; %bb.1:
	v_mov_b32_e32 v1, 0
	flat_load_b64 v[6:7], v1, s[4:5]
.LBB195_2:
	s_load_b128 s[28:31], s[0:1], 0x8
	s_bitcmp1_b32 s6, 8
	s_cselect_b32 s36, -1, 0
	s_delay_alu instid0(SALU_CYCLE_1) | instskip(NEXT) | instid1(SALU_CYCLE_1)
	s_xor_b32 s4, s36, -1
	s_or_b32 s6, s7, s4
	s_and_b32 s4, s36, exec_lo
	s_cselect_b32 s5, s3, 0
	s_cselect_b32 s4, s2, 0
	s_and_b32 vcc_lo, exec_lo, s6
	v_mov_b64_e32 v[2:3], s[4:5]
	s_cbranch_vccnz .LBB195_4
; %bb.3:
	v_mov_b32_e32 v1, 0
	flat_load_b64 v[2:3], v1, s[2:3]
.LBB195_4:
	s_clause 0x4
	s_load_b32 s33, s[0:1], 0x0
	s_load_b64 s[34:35], s[0:1], 0x80
	s_load_b256 s[12:19], s[0:1], 0x58
	s_load_b128 s[24:27], s[0:1], 0x40
	s_load_b256 s[4:11], s[0:1], 0x20
	v_lshlrev_b32_e32 v1, 3, v0
	v_lshl_add_u32 v20, v0, 2, 0
	v_or_b32_e32 v22, 0xfffffc00, v0
	v_mov_b64_e32 v[4:5], 0
	s_wait_xcnt 0x0
	s_mov_b32 s0, 0
	v_add3_u32 v21, v1, 0, 0x10000
	v_dual_mov_b32 v1, v20 :: v_dual_mov_b32 v10, v22
	s_wait_kmcnt 0x0
	s_delay_alu instid0(VALU_DEP_2)
	v_dual_mov_b32 v8, v21 :: v_dual_mov_b32 v9, s33
.LBB195_5:                              ; =>This Inner Loop Header: Depth=1
	s_delay_alu instid0(VALU_DEP_2)
	v_add_nc_u32_e32 v10, 0x400, v10
	ds_store_b32 v1, v9
	ds_store_b64 v8, v[4:5]
	v_add_nc_u32_e32 v8, 0x2000, v8
	v_add_nc_u32_e32 v1, 0x1000, v1
	v_cmp_lt_u32_e32 vcc_lo, 0x3bff, v10
	s_or_b32 s0, vcc_lo, s0
	s_delay_alu instid0(SALU_CYCLE_1)
	s_and_not1_b32 exec_lo, exec_lo, s0
	s_cbranch_execnz .LBB195_5
; %bb.6:
	s_or_b32 exec_lo, exec_lo, s0
	s_wait_loadcnt_dscnt 0x0
	s_barrier_signal -1
	s_barrier_wait -1
	s_load_b32 s0, s[28:29], 0x0
	s_bfe_u32 s1, ttmp6, 0x4000c
	s_and_b32 s2, ttmp6, 15
	s_add_co_i32 s1, s1, 1
	s_getreg_b32 s3, hwreg(HW_REG_IB_STS2, 6, 4)
	s_mul_i32 s1, ttmp9, s1
	v_lshrrev_b32_e32 v4, 6, v0
	s_add_co_i32 s2, s2, s1
	s_cmp_eq_u32 s3, 0
	s_cselect_b32 s1, ttmp9, s2
	s_and_b32 vcc_lo, s37, exec_lo
	s_wait_kmcnt 0x0
	s_add_co_i32 s0, s0, s1
	s_mov_b32 s1, 0
	s_load_b32 s28, s[30:31], s0 offset:0x0 scale_offset
	s_cbranch_vccz .LBB195_24
; %bb.7:
	s_wait_kmcnt 0x0
	s_ashr_i32 s29, s28, 31
	v_mov_b32_e32 v5, 0
	s_lshl_b64 s[2:3], s[28:29], 3
	s_mov_b32 s0, s20
	s_add_nc_u64 s[2:3], s[4:5], s[2:3]
	s_mov_b32 s4, exec_lo
	s_load_b128 s[40:43], s[2:3], 0x0
	v_sub_nc_u64_e64 v[8:9], v[4:5], s[0:1]
	s_wait_kmcnt 0x0
	s_delay_alu instid0(VALU_DEP_1)
	v_add_nc_u64_e32 v[8:9], s[40:41], v[8:9]
	s_sub_nc_u64 s[0:1], s[42:43], s[0:1]
	s_delay_alu instid0(VALU_DEP_1) | instid1(SALU_CYCLE_1)
	v_cmpx_gt_i64_e64 s[0:1], v[8:9]
	s_cbranch_execz .LBB195_23
; %bb.8:
	v_dual_mov_b32 v11, v5 :: v_dual_bitop2_b32 v10, 63, v0 bitop3:0x40
	s_mov_b32 s3, 0
	s_mov_b32 s2, s21
	;; [unrolled: 1-line block ×3, first 2 shown]
	s_delay_alu instid0(VALU_DEP_1)
	v_sub_nc_u64_e64 v[10:11], v[10:11], s[2:3]
	s_branch .LBB195_10
.LBB195_9:                              ;   in Loop: Header=BB195_10 Depth=1
	s_or_b32 exec_lo, exec_lo, s29
	v_add_nc_u64_e32 v[8:9], 16, v[8:9]
	s_delay_alu instid0(VALU_DEP_1) | instskip(SKIP_1) | instid1(SALU_CYCLE_1)
	v_cmp_le_i64_e32 vcc_lo, s[0:1], v[8:9]
	s_or_b32 s5, vcc_lo, s5
	s_and_not1_b32 exec_lo, exec_lo, s5
	s_cbranch_execz .LBB195_23
.LBB195_10:                             ; =>This Loop Header: Depth=1
                                        ;     Child Loop BB195_14 Depth 2
                                        ;       Child Loop BB195_17 Depth 3
	v_lshl_add_u64 v[12:13], v[8:9], 2, s[6:7]
	s_mov_b32 s29, exec_lo
	global_load_b32 v1, v[12:13], off
	s_wait_loadcnt 0x0
	s_wait_xcnt 0x0
	v_subrev_nc_u32_e32 v12, s20, v1
	s_delay_alu instid0(VALU_DEP_1) | instskip(NEXT) | instid1(VALU_DEP_1)
	v_ashrrev_i32_e32 v13, 31, v12
	v_lshl_add_u64 v[12:13], v[12:13], 3, s[10:11]
	global_load_b128 v[14:17], v[12:13], off
	s_wait_loadcnt 0x0
	s_wait_xcnt 0x0
	v_sub_nc_u64_e64 v[12:13], v[16:17], s[2:3]
	v_add_nc_u64_e32 v[14:15], v[14:15], v[10:11]
	s_delay_alu instid0(VALU_DEP_1)
	v_cmpx_lt_i64_e64 v[14:15], v[12:13]
	s_cbranch_execz .LBB195_9
; %bb.11:                               ;   in Loop: Header=BB195_10 Depth=1
	v_lshl_add_u64 v[16:17], v[8:9], 3, s[8:9]
	s_mov_b32 s30, 0
	global_load_b64 v[16:17], v[16:17], off
	s_wait_loadcnt 0x0
	s_wait_xcnt 0x0
	v_mul_f64_e32 v[16:17], v[6:7], v[16:17]
	s_branch .LBB195_14
.LBB195_12:                             ;   in Loop: Header=BB195_14 Depth=2
	s_or_b32 exec_lo, exec_lo, s37
.LBB195_13:                             ;   in Loop: Header=BB195_14 Depth=2
	s_delay_alu instid0(SALU_CYCLE_1) | instskip(SKIP_3) | instid1(VALU_DEP_2)
	s_or_b32 exec_lo, exec_lo, s31
	s_wait_loadcnt 0x0
	v_dual_mul_f64 v[18:19], v[16:17], v[18:19] :: v_dual_lshlrev_b32 v1, 3, v1
	v_add_nc_u64_e32 v[14:15], 64, v[14:15]
	v_add3_u32 v1, 0, v1, 0x10000
	s_delay_alu instid0(VALU_DEP_2)
	v_cmp_ge_i64_e32 vcc_lo, v[14:15], v[12:13]
	s_or_b32 s30, vcc_lo, s30
	ds_add_f64 v1, v[18:19]
	s_and_not1_b32 exec_lo, exec_lo, s30
	s_cbranch_execz .LBB195_9
.LBB195_14:                             ;   Parent Loop BB195_10 Depth=1
                                        ; =>  This Loop Header: Depth=2
                                        ;       Child Loop BB195_17 Depth 3
	v_lshl_add_u64 v[18:19], v[14:15], 2, s[24:25]
	s_mov_b32 s31, exec_lo
	global_load_b32 v1, v[18:19], off
	s_wait_xcnt 0x0
	v_lshl_add_u64 v[18:19], v[14:15], 3, s[26:27]
	global_load_b64 v[18:19], v[18:19], off
	s_wait_loadcnt 0x1
	v_subrev_nc_u32_e32 v5, s21, v1
	s_delay_alu instid0(VALU_DEP_1) | instskip(NEXT) | instid1(VALU_DEP_1)
	v_mul_lo_u32 v1, 0x89, v5
	v_and_b32_e32 v1, 0x3fff, v1
	s_delay_alu instid0(VALU_DEP_1)
	v_lshl_add_u32 v23, v1, 2, 0
	ds_load_b32 v24, v23
	s_wait_dscnt 0x0
	s_wait_xcnt 0x0
	v_cmpx_ne_u32_e64 v24, v5
	s_cbranch_execz .LBB195_13
; %bb.15:                               ;   in Loop: Header=BB195_14 Depth=2
	s_mov_b32 s37, 0
	s_branch .LBB195_17
.LBB195_16:                             ;   in Loop: Header=BB195_17 Depth=3
	s_or_b32 exec_lo, exec_lo, s40
	s_delay_alu instid0(SALU_CYCLE_1) | instskip(NEXT) | instid1(SALU_CYCLE_1)
	s_and_b32 s38, exec_lo, s39
	s_or_b32 s37, s38, s37
	s_delay_alu instid0(SALU_CYCLE_1)
	s_and_not1_b32 exec_lo, exec_lo, s37
	s_cbranch_execz .LBB195_12
.LBB195_17:                             ;   Parent Loop BB195_10 Depth=1
                                        ;     Parent Loop BB195_14 Depth=2
                                        ; =>    This Inner Loop Header: Depth=3
	s_mov_b32 s38, 0
	s_mov_b32 s39, exec_lo
	v_cmpx_ne_u32_e64 s33, v24
	s_xor_b32 s39, exec_lo, s39
	s_cbranch_execz .LBB195_19
; %bb.18:                               ;   in Loop: Header=BB195_17 Depth=3
	v_add_nc_u32_e32 v1, 1, v1
	s_mov_b32 s38, exec_lo
                                        ; implicit-def: $vgpr23
	s_delay_alu instid0(VALU_DEP_1)
	v_and_b32_e32 v1, 0x3fff, v1
	s_and_not1_saveexec_b32 s39, s39
	s_cbranch_execz .LBB195_21
	s_branch .LBB195_20
.LBB195_19:                             ;   in Loop: Header=BB195_17 Depth=3
	s_and_not1_saveexec_b32 s39, s39
	s_cbranch_execz .LBB195_21
.LBB195_20:                             ;   in Loop: Header=BB195_17 Depth=3
	v_mov_b32_e32 v24, s33
	s_and_not1_b32 s38, s38, exec_lo
	ds_cmpstore_rtn_b32 v23, v23, v5, v24
	s_wait_dscnt 0x0
	v_cmp_ne_u32_e32 vcc_lo, s33, v23
	s_and_b32 s40, vcc_lo, exec_lo
	s_delay_alu instid0(SALU_CYCLE_1)
	s_or_b32 s38, s38, s40
.LBB195_21:                             ;   in Loop: Header=BB195_17 Depth=3
	s_or_b32 exec_lo, exec_lo, s39
	s_mov_b32 s39, -1
                                        ; implicit-def: $vgpr23
                                        ; implicit-def: $vgpr24
	s_and_saveexec_b32 s40, s38
	s_cbranch_execz .LBB195_16
; %bb.22:                               ;   in Loop: Header=BB195_17 Depth=3
	v_lshl_add_u32 v23, v1, 2, 0
	ds_load_b32 v24, v23
	s_wait_dscnt 0x0
	v_cmp_eq_u32_e32 vcc_lo, v24, v5
	s_or_not1_b32 s39, vcc_lo, exec_lo
	s_branch .LBB195_16
.LBB195_23:
	s_or_b32 exec_lo, exec_lo, s4
.LBB195_24:
	s_delay_alu instid0(SALU_CYCLE_1)
	s_and_not1_b32 vcc_lo, exec_lo, s36
	s_cbranch_vccnz .LBB195_27
; %bb.25:
	s_wait_kmcnt 0x0
	s_ashr_i32 s29, s28, 31
	v_mov_b32_e32 v1, 0
	s_lshl_b64 s[0:1], s[28:29], 3
	s_delay_alu instid0(SALU_CYCLE_1) | instskip(SKIP_4) | instid1(SALU_CYCLE_1)
	s_add_nc_u64 s[0:1], s[12:13], s[0:1]
	s_load_b128 s[4:7], s[0:1], 0x0
	s_wait_xcnt 0x0
	s_mov_b32 s1, 0
	s_mov_b32 s0, s23
	v_sub_nc_u64_e64 v[6:7], v[0:1], s[0:1]
	s_wait_kmcnt 0x0
	s_delay_alu instid0(VALU_DEP_1) | instskip(SKIP_2) | instid1(VALU_DEP_1)
	v_add_nc_u64_e32 v[6:7], s[4:5], v[6:7]
	s_sub_nc_u64 s[2:3], s[6:7], s[0:1]
	s_mov_b32 s0, exec_lo
	v_cmpx_gt_i64_e64 s[2:3], v[6:7]
	s_cbranch_execnz .LBB195_65
.LBB195_26:
	s_or_b32 exec_lo, exec_lo, s0
.LBB195_27:
	v_mbcnt_lo_u32_b32 v1, -1, 0
	v_lshlrev_b32_e32 v2, 2, v4
	s_add_co_i32 s36, 0, 0x3003c
	s_wait_xcnt 0x0
	v_cmp_lt_u32_e64 s0, 63, v0
	v_cmp_lt_u32_e64 s1, 0x7f, v0
	v_dual_mov_b32 v1, 0 :: v_dual_bitop2_b32 v4, 31, v1 bitop3:0x14
	v_mov_b32_e32 v6, s36
	v_add3_u32 v3, 0x30000, 0, v2
	v_cmp_lt_u32_e64 s2, 0xbf, v0
	s_delay_alu instid0(VALU_DEP_4)
	v_lshrrev_b32_e64 v2, v4, -1
	v_cmp_lt_u32_e64 s3, 0xff, v0
	v_cmp_lt_u32_e64 s4, 0x13f, v0
	;; [unrolled: 1-line block ×12, first 2 shown]
	s_mov_b32 s16, 0
	s_add_co_i32 s17, 0, 0x30000
	s_add_co_i32 s20, 0, 0x30004
	;; [unrolled: 1-line block ×15, first 2 shown]
	s_wait_dscnt 0x0
	s_barrier_signal -1
	s_barrier_wait -1
	v_cmp_eq_u32_e32 vcc_lo, 0x3ff, v0
	s_branch .LBB195_29
.LBB195_28:                             ;   in Loop: Header=BB195_29 Depth=1
	s_or_b32 exec_lo, exec_lo, s15
	s_wait_dscnt 0x0
	s_barrier_signal -1
	s_barrier_wait -1
	ds_load_b32 v4, v6
	v_add_nc_u32_e32 v22, 0x400, v22
	v_add_nc_u32_e32 v21, 0x2000, v21
	;; [unrolled: 1-line block ×3, first 2 shown]
	s_delay_alu instid0(VALU_DEP_3)
	v_cmp_lt_u32_e64 s15, 0x3bff, v22
	s_or_b32 s16, s15, s16
	s_wait_dscnt 0x0
	v_add_nc_u32_e32 v1, v4, v1
	s_and_not1_b32 exec_lo, exec_lo, s16
	s_cbranch_execz .LBB195_74
.LBB195_29:                             ; =>This Inner Loop Header: Depth=1
	ds_load_b32 v7, v20
	ds_load_b64 v[4:5], v21
	s_wait_dscnt 0x0
	s_barrier_signal -1
	s_barrier_wait -1
	v_cmp_gt_i32_e64 s15, s33, v7
	s_bcnt1_i32_b32 s41, s15
	s_delay_alu instid0(SALU_CYCLE_1) | instskip(NEXT) | instid1(VALU_DEP_1)
	v_dual_mov_b32 v9, s41 :: v_dual_bitop2_b32 v8, s15, v2 bitop3:0x40
	v_bcnt_u32_b32 v8, v8, 0
	ds_store_b32 v3, v9
	s_wait_dscnt 0x0
	s_barrier_signal -1
	s_barrier_wait -1
	s_and_saveexec_b32 s41, s0
	s_cbranch_execz .LBB195_46
; %bb.30:                               ;   in Loop: Header=BB195_29 Depth=1
	v_mov_b32_e32 v9, s17
	ds_load_b32 v9, v9
	s_wait_dscnt 0x0
	v_add_nc_u32_e32 v8, v9, v8
	s_or_b32 exec_lo, exec_lo, s41
	s_and_saveexec_b32 s41, s1
	s_cbranch_execnz .LBB195_47
.LBB195_31:                             ;   in Loop: Header=BB195_29 Depth=1
	s_or_b32 exec_lo, exec_lo, s41
	s_and_saveexec_b32 s41, s2
	s_cbranch_execz .LBB195_48
.LBB195_32:                             ;   in Loop: Header=BB195_29 Depth=1
	v_mov_b32_e32 v9, s21
	ds_load_b32 v9, v9
	s_wait_dscnt 0x0
	v_add_nc_u32_e32 v8, v9, v8
	s_or_b32 exec_lo, exec_lo, s41
	s_and_saveexec_b32 s41, s3
	s_cbranch_execnz .LBB195_49
.LBB195_33:                             ;   in Loop: Header=BB195_29 Depth=1
	s_or_b32 exec_lo, exec_lo, s41
	s_and_saveexec_b32 s41, s4
	s_cbranch_execz .LBB195_50
.LBB195_34:                             ;   in Loop: Header=BB195_29 Depth=1
	v_mov_b32_e32 v9, s24
	ds_load_b32 v9, v9
	s_wait_dscnt 0x0
	v_add_nc_u32_e32 v8, v9, v8
	s_or_b32 exec_lo, exec_lo, s41
	s_and_saveexec_b32 s41, s5
	s_cbranch_execnz .LBB195_51
.LBB195_35:                             ;   in Loop: Header=BB195_29 Depth=1
	s_or_b32 exec_lo, exec_lo, s41
	s_and_saveexec_b32 s41, s6
	s_cbranch_execz .LBB195_52
.LBB195_36:                             ;   in Loop: Header=BB195_29 Depth=1
	v_mov_b32_e32 v9, s26
	ds_load_b32 v9, v9
	s_wait_dscnt 0x0
	v_add_nc_u32_e32 v8, v9, v8
	s_or_b32 exec_lo, exec_lo, s41
	s_and_saveexec_b32 s41, s7
	s_cbranch_execnz .LBB195_53
.LBB195_37:                             ;   in Loop: Header=BB195_29 Depth=1
	s_or_b32 exec_lo, exec_lo, s41
	s_and_saveexec_b32 s41, s8
	s_cbranch_execz .LBB195_54
.LBB195_38:                             ;   in Loop: Header=BB195_29 Depth=1
	v_mov_b32_e32 v9, s29
	ds_load_b32 v9, v9
	s_wait_dscnt 0x0
	v_add_nc_u32_e32 v8, v9, v8
	s_or_b32 exec_lo, exec_lo, s41
	s_and_saveexec_b32 s41, s9
	s_cbranch_execnz .LBB195_55
.LBB195_39:                             ;   in Loop: Header=BB195_29 Depth=1
	s_or_b32 exec_lo, exec_lo, s41
	s_and_saveexec_b32 s41, s10
	s_cbranch_execz .LBB195_56
.LBB195_40:                             ;   in Loop: Header=BB195_29 Depth=1
	v_mov_b32_e32 v9, s31
	ds_load_b32 v9, v9
	s_wait_dscnt 0x0
	v_add_nc_u32_e32 v8, v9, v8
	s_or_b32 exec_lo, exec_lo, s41
	s_and_saveexec_b32 s41, s11
	s_cbranch_execnz .LBB195_57
.LBB195_41:                             ;   in Loop: Header=BB195_29 Depth=1
	s_or_b32 exec_lo, exec_lo, s41
	s_and_saveexec_b32 s41, s12
	s_cbranch_execz .LBB195_58
.LBB195_42:                             ;   in Loop: Header=BB195_29 Depth=1
	v_mov_b32_e32 v9, s38
	ds_load_b32 v9, v9
	s_wait_dscnt 0x0
	v_add_nc_u32_e32 v8, v9, v8
	s_or_b32 exec_lo, exec_lo, s41
	s_and_saveexec_b32 s41, s13
	s_cbranch_execnz .LBB195_59
.LBB195_43:                             ;   in Loop: Header=BB195_29 Depth=1
	s_or_b32 exec_lo, exec_lo, s41
	s_and_saveexec_b32 s41, s14
	s_cbranch_execz .LBB195_60
.LBB195_44:                             ;   in Loop: Header=BB195_29 Depth=1
	v_mov_b32_e32 v9, s40
	ds_load_b32 v9, v9
	s_wait_dscnt 0x0
	v_add_nc_u32_e32 v8, v9, v8
	s_or_b32 exec_lo, exec_lo, s41
	s_and_saveexec_b32 s41, s15
	s_cbranch_execnz .LBB195_61
.LBB195_45:                             ;   in Loop: Header=BB195_29 Depth=1
	s_or_b32 exec_lo, exec_lo, s41
	s_and_saveexec_b32 s15, vcc_lo
	s_cbranch_execz .LBB195_28
	s_branch .LBB195_62
.LBB195_46:                             ;   in Loop: Header=BB195_29 Depth=1
	s_or_b32 exec_lo, exec_lo, s41
	s_and_saveexec_b32 s41, s1
	s_cbranch_execz .LBB195_31
.LBB195_47:                             ;   in Loop: Header=BB195_29 Depth=1
	v_mov_b32_e32 v9, s20
	ds_load_b32 v9, v9
	s_wait_dscnt 0x0
	v_add_nc_u32_e32 v8, v9, v8
	s_or_b32 exec_lo, exec_lo, s41
	s_and_saveexec_b32 s41, s2
	s_cbranch_execnz .LBB195_32
.LBB195_48:                             ;   in Loop: Header=BB195_29 Depth=1
	s_or_b32 exec_lo, exec_lo, s41
	s_and_saveexec_b32 s41, s3
	s_cbranch_execz .LBB195_33
.LBB195_49:                             ;   in Loop: Header=BB195_29 Depth=1
	v_mov_b32_e32 v9, s23
	ds_load_b32 v9, v9
	s_wait_dscnt 0x0
	v_add_nc_u32_e32 v8, v9, v8
	s_or_b32 exec_lo, exec_lo, s41
	s_and_saveexec_b32 s41, s4
	s_cbranch_execnz .LBB195_34
.LBB195_50:                             ;   in Loop: Header=BB195_29 Depth=1
	s_or_b32 exec_lo, exec_lo, s41
	s_and_saveexec_b32 s41, s5
	s_cbranch_execz .LBB195_35
.LBB195_51:                             ;   in Loop: Header=BB195_29 Depth=1
	v_mov_b32_e32 v9, s25
	ds_load_b32 v9, v9
	s_wait_dscnt 0x0
	v_add_nc_u32_e32 v8, v9, v8
	s_or_b32 exec_lo, exec_lo, s41
	s_and_saveexec_b32 s41, s6
	s_cbranch_execnz .LBB195_36
.LBB195_52:                             ;   in Loop: Header=BB195_29 Depth=1
	s_or_b32 exec_lo, exec_lo, s41
	s_and_saveexec_b32 s41, s7
	s_cbranch_execz .LBB195_37
.LBB195_53:                             ;   in Loop: Header=BB195_29 Depth=1
	v_mov_b32_e32 v9, s27
	ds_load_b32 v9, v9
	s_wait_dscnt 0x0
	v_add_nc_u32_e32 v8, v9, v8
	s_or_b32 exec_lo, exec_lo, s41
	s_and_saveexec_b32 s41, s8
	s_cbranch_execnz .LBB195_38
.LBB195_54:                             ;   in Loop: Header=BB195_29 Depth=1
	s_or_b32 exec_lo, exec_lo, s41
	s_and_saveexec_b32 s41, s9
	s_cbranch_execz .LBB195_39
.LBB195_55:                             ;   in Loop: Header=BB195_29 Depth=1
	v_mov_b32_e32 v9, s30
	ds_load_b32 v9, v9
	s_wait_dscnt 0x0
	v_add_nc_u32_e32 v8, v9, v8
	s_or_b32 exec_lo, exec_lo, s41
	s_and_saveexec_b32 s41, s10
	s_cbranch_execnz .LBB195_40
.LBB195_56:                             ;   in Loop: Header=BB195_29 Depth=1
	s_or_b32 exec_lo, exec_lo, s41
	s_and_saveexec_b32 s41, s11
	s_cbranch_execz .LBB195_41
.LBB195_57:                             ;   in Loop: Header=BB195_29 Depth=1
	v_mov_b32_e32 v9, s37
	ds_load_b32 v9, v9
	s_wait_dscnt 0x0
	v_add_nc_u32_e32 v8, v9, v8
	s_or_b32 exec_lo, exec_lo, s41
	s_and_saveexec_b32 s41, s12
	s_cbranch_execnz .LBB195_42
.LBB195_58:                             ;   in Loop: Header=BB195_29 Depth=1
	s_or_b32 exec_lo, exec_lo, s41
	s_and_saveexec_b32 s41, s13
	s_cbranch_execz .LBB195_43
.LBB195_59:                             ;   in Loop: Header=BB195_29 Depth=1
	v_mov_b32_e32 v9, s39
	ds_load_b32 v9, v9
	s_wait_dscnt 0x0
	v_add_nc_u32_e32 v8, v9, v8
	s_or_b32 exec_lo, exec_lo, s41
	s_and_saveexec_b32 s41, s14
	s_cbranch_execnz .LBB195_44
.LBB195_60:                             ;   in Loop: Header=BB195_29 Depth=1
	s_or_b32 exec_lo, exec_lo, s41
	s_and_saveexec_b32 s41, s15
	s_cbranch_execz .LBB195_45
.LBB195_61:                             ;   in Loop: Header=BB195_29 Depth=1
	s_delay_alu instid0(VALU_DEP_1) | instskip(SKIP_1) | instid1(VALU_DEP_2)
	v_add3_u32 v9, v1, -1, v8
	v_add_nc_u32_e32 v10, v1, v8
	v_lshl_add_u32 v9, v9, 2, 0
	s_delay_alu instid0(VALU_DEP_2)
	v_lshl_add_u32 v10, v10, 3, 0
	ds_store_b32 v9, v7
	ds_store_b64 v10, v[4:5] offset:65528
	s_or_b32 exec_lo, exec_lo, s41
	s_and_saveexec_b32 s15, vcc_lo
	s_cbranch_execz .LBB195_28
.LBB195_62:                             ;   in Loop: Header=BB195_29 Depth=1
	v_mov_b32_e32 v4, s36
	ds_store_b32 v4, v8
	s_branch .LBB195_28
.LBB195_63:                             ;   in Loop: Header=BB195_65 Depth=1
	s_or_b32 exec_lo, exec_lo, s5
.LBB195_64:                             ;   in Loop: Header=BB195_65 Depth=1
	s_delay_alu instid0(SALU_CYCLE_1) | instskip(SKIP_4) | instid1(VALU_DEP_2)
	s_or_b32 exec_lo, exec_lo, s4
	s_wait_loadcnt 0x0
	v_mul_f64_e32 v[8:9], v[2:3], v[8:9]
	v_lshlrev_b32_e32 v1, 3, v1
	v_add_nc_u64_e32 v[6:7], 0x400, v[6:7]
	v_add3_u32 v1, 0, v1, 0x10000
	s_delay_alu instid0(VALU_DEP_2)
	v_cmp_le_i64_e32 vcc_lo, s[2:3], v[6:7]
	s_or_b32 s1, vcc_lo, s1
	ds_add_f64 v1, v[8:9]
	s_and_not1_b32 exec_lo, exec_lo, s1
	s_cbranch_execz .LBB195_26
.LBB195_65:                             ; =>This Loop Header: Depth=1
                                        ;     Child Loop BB195_68 Depth 2
	v_lshl_add_u64 v[8:9], v[6:7], 2, s[14:15]
	s_mov_b32 s4, exec_lo
	global_load_b32 v1, v[8:9], off
	s_wait_xcnt 0x0
	v_lshl_add_u64 v[8:9], v[6:7], 3, s[16:17]
	global_load_b64 v[8:9], v[8:9], off
	s_wait_loadcnt 0x1
	v_subrev_nc_u32_e32 v5, s23, v1
	s_delay_alu instid0(VALU_DEP_1) | instskip(NEXT) | instid1(VALU_DEP_1)
	v_mul_lo_u32 v1, 0x89, v5
	v_and_b32_e32 v1, 0x3fff, v1
	s_delay_alu instid0(VALU_DEP_1)
	v_lshl_add_u32 v10, v1, 2, 0
	ds_load_b32 v11, v10
	s_wait_dscnt 0x0
	s_wait_xcnt 0x0
	v_cmpx_ne_u32_e64 v11, v5
	s_cbranch_execz .LBB195_64
; %bb.66:                               ;   in Loop: Header=BB195_65 Depth=1
	s_mov_b32 s5, 0
	s_branch .LBB195_68
.LBB195_67:                             ;   in Loop: Header=BB195_68 Depth=2
	s_or_b32 exec_lo, exec_lo, s8
	s_delay_alu instid0(SALU_CYCLE_1) | instskip(NEXT) | instid1(SALU_CYCLE_1)
	s_and_b32 s6, exec_lo, s7
	s_or_b32 s5, s6, s5
	s_delay_alu instid0(SALU_CYCLE_1)
	s_and_not1_b32 exec_lo, exec_lo, s5
	s_cbranch_execz .LBB195_63
.LBB195_68:                             ;   Parent Loop BB195_65 Depth=1
                                        ; =>  This Inner Loop Header: Depth=2
	s_mov_b32 s6, 0
	s_mov_b32 s7, exec_lo
	v_cmpx_ne_u32_e64 s33, v11
	s_xor_b32 s7, exec_lo, s7
	s_cbranch_execz .LBB195_70
; %bb.69:                               ;   in Loop: Header=BB195_68 Depth=2
	v_add_nc_u32_e32 v1, 1, v1
	s_mov_b32 s6, exec_lo
                                        ; implicit-def: $vgpr10
	s_delay_alu instid0(VALU_DEP_1)
	v_and_b32_e32 v1, 0x3fff, v1
	s_and_not1_saveexec_b32 s7, s7
	s_cbranch_execz .LBB195_72
	s_branch .LBB195_71
.LBB195_70:                             ;   in Loop: Header=BB195_68 Depth=2
	s_and_not1_saveexec_b32 s7, s7
	s_cbranch_execz .LBB195_72
.LBB195_71:                             ;   in Loop: Header=BB195_68 Depth=2
	v_mov_b32_e32 v11, s33
	s_and_not1_b32 s6, s6, exec_lo
	ds_cmpstore_rtn_b32 v10, v10, v5, v11
	s_wait_dscnt 0x0
	v_cmp_ne_u32_e32 vcc_lo, s33, v10
	s_and_b32 s8, vcc_lo, exec_lo
	s_delay_alu instid0(SALU_CYCLE_1)
	s_or_b32 s6, s6, s8
.LBB195_72:                             ;   in Loop: Header=BB195_68 Depth=2
	s_or_b32 exec_lo, exec_lo, s7
	s_mov_b32 s7, -1
                                        ; implicit-def: $vgpr10
                                        ; implicit-def: $vgpr11
	s_and_saveexec_b32 s8, s6
	s_cbranch_execz .LBB195_67
; %bb.73:                               ;   in Loop: Header=BB195_68 Depth=2
	v_lshl_add_u32 v10, v1, 2, 0
	ds_load_b32 v11, v10
	s_wait_dscnt 0x0
	v_cmp_eq_u32_e32 vcc_lo, v11, v5
	s_or_not1_b32 s7, vcc_lo, exec_lo
	s_branch .LBB195_67
.LBB195_74:
	s_or_b32 exec_lo, exec_lo, s16
	s_wait_kmcnt 0x0
	s_ashr_i32 s29, s28, 31
	s_delay_alu instid0(SALU_CYCLE_1) | instskip(NEXT) | instid1(SALU_CYCLE_1)
	s_lshl_b64 s[0:1], s[28:29], 3
	s_add_nc_u64 s[4:5], s[18:19], s[0:1]
	s_load_b128 s[0:3], s[4:5], 0x0
	s_wait_xcnt 0x0
	s_mov_b32 s4, exec_lo
	s_wait_kmcnt 0x0
	s_sub_co_i32 s3, s2, s0
	s_delay_alu instid0(SALU_CYCLE_1)
	v_cmpx_gt_i32_e64 s3, v0
	s_cbranch_execz .LBB195_84
; %bb.75:
	s_sub_co_i32 s4, s0, s2
	s_and_b32 s2, s3, 7
	s_cmp_lt_u32 s4, -7
	s_mov_b32 s23, 0
	s_cselect_b32 s4, -1, 0
	s_and_b32 s5, s3, -8
	s_cmp_lg_u32 s2, 0
	s_sub_nc_u64 s[0:1], s[0:1], s[22:23]
	s_cselect_b32 s6, -1, 0
	s_mov_b32 s7, 0
	s_branch .LBB195_77
.LBB195_76:                             ;   in Loop: Header=BB195_77 Depth=1
	v_add_nc_u32_e32 v0, 0x400, v0
	s_delay_alu instid0(VALU_DEP_2) | instskip(NEXT) | instid1(VALU_DEP_2)
	v_lshl_add_u64 v[4:5], v[4:5], 3, s[34:35]
	v_cmp_le_i32_e32 vcc_lo, s3, v0
	s_wait_dscnt 0x0
	global_store_b64 v[4:5], v[2:3], off
	s_or_b32 s7, vcc_lo, s7
	s_wait_xcnt 0x0
	s_and_not1_b32 exec_lo, exec_lo, s7
	s_cbranch_execz .LBB195_84
.LBB195_77:                             ; =>This Loop Header: Depth=1
                                        ;     Child Loop BB195_79 Depth 2
                                        ;     Child Loop BB195_83 Depth 2
	v_lshlrev_b32_e32 v1, 3, v0
	v_lshl_add_u32 v2, v0, 2, 0
	v_mov_b64_e32 v[4:5], s[0:1]
	s_and_not1_b32 vcc_lo, exec_lo, s4
	s_mov_b32 s8, 0
	v_add3_u32 v3, 0, v1, 0x10000
	ds_load_b32 v1, v2
	ds_load_b64 v[2:3], v3
	s_cbranch_vccnz .LBB195_81
; %bb.78:                               ;   in Loop: Header=BB195_77 Depth=1
	v_mov_b64_e32 v[4:5], s[0:1]
	s_mov_b32 s9, 0
.LBB195_79:                             ;   Parent Loop BB195_77 Depth=1
                                        ; =>  This Inner Loop Header: Depth=2
	s_delay_alu instid0(SALU_CYCLE_1)
	v_dual_mov_b32 v10, s9 :: v_dual_mov_b32 v11, s23
	v_mov_b32_e32 v17, s23
	s_add_co_i32 s8, s8, 8
	s_add_co_i32 s9, s9, 32
	ds_load_2addr_b32 v[6:7], v10 offset1:1
	ds_load_2addr_b32 v[8:9], v10 offset0:2 offset1:3
	ds_load_2addr_b32 v[12:13], v10 offset0:4 offset1:5
	;; [unrolled: 1-line block ×3, first 2 shown]
	s_cmp_eq_u32 s5, s8
	s_wait_dscnt 0x3
	v_cmp_gt_i32_e32 vcc_lo, v1, v6
	v_cndmask_b32_e64 v10, 0, 1, vcc_lo
	v_cmp_gt_i32_e32 vcc_lo, v1, v7
	v_mov_b32_e32 v7, s23
	s_delay_alu instid0(VALU_DEP_3) | instskip(SKIP_4) | instid1(VALU_DEP_3)
	v_add_nc_u64_e32 v[4:5], v[4:5], v[10:11]
	v_cndmask_b32_e64 v16, 0, 1, vcc_lo
	s_wait_dscnt 0x2
	v_cmp_gt_i32_e32 vcc_lo, v1, v8
	v_cndmask_b32_e64 v6, 0, 1, vcc_lo
	v_add_nc_u64_e32 v[4:5], v[4:5], v[16:17]
	v_cmp_gt_i32_e32 vcc_lo, v1, v9
	v_mov_b32_e32 v9, s23
	v_cndmask_b32_e64 v10, 0, 1, vcc_lo
	s_delay_alu instid0(VALU_DEP_4) | instskip(SKIP_3) | instid1(VALU_DEP_3)
	v_add_nc_u64_e32 v[4:5], v[4:5], v[6:7]
	s_wait_dscnt 0x1
	v_cmp_gt_i32_e32 vcc_lo, v1, v12
	v_cndmask_b32_e64 v6, 0, 1, vcc_lo
	v_add_nc_u64_e32 v[4:5], v[4:5], v[10:11]
	v_cmp_gt_i32_e32 vcc_lo, v1, v13
	v_cndmask_b32_e64 v8, 0, 1, vcc_lo
	s_delay_alu instid0(VALU_DEP_3) | instskip(SKIP_3) | instid1(VALU_DEP_3)
	v_add_nc_u64_e32 v[4:5], v[4:5], v[6:7]
	s_wait_dscnt 0x0
	v_cmp_gt_i32_e32 vcc_lo, v1, v14
	v_cndmask_b32_e64 v6, 0, 1, vcc_lo
	v_add_nc_u64_e32 v[4:5], v[4:5], v[8:9]
	v_cmp_gt_i32_e32 vcc_lo, v1, v15
	v_cndmask_b32_e64 v8, 0, 1, vcc_lo
	s_delay_alu instid0(VALU_DEP_3) | instskip(NEXT) | instid1(VALU_DEP_1)
	v_add_nc_u64_e32 v[4:5], v[4:5], v[6:7]
	v_add_nc_u64_e32 v[4:5], v[4:5], v[8:9]
	s_cbranch_scc0 .LBB195_79
; %bb.80:                               ;   in Loop: Header=BB195_77 Depth=1
	s_mov_b32 s8, s5
.LBB195_81:                             ;   in Loop: Header=BB195_77 Depth=1
	s_and_not1_b32 vcc_lo, exec_lo, s6
	s_cbranch_vccnz .LBB195_76
; %bb.82:                               ;   in Loop: Header=BB195_77 Depth=1
	s_lshl_b32 s8, s8, 2
	s_mov_b32 s9, s2
	s_add_co_i32 s8, s8, 0
.LBB195_83:                             ;   Parent Loop BB195_77 Depth=1
                                        ; =>  This Inner Loop Header: Depth=2
	s_delay_alu instid0(SALU_CYCLE_1)
	v_dual_mov_b32 v6, s8 :: v_dual_mov_b32 v7, s23
	s_add_co_i32 s9, s9, -1
	s_add_co_i32 s8, s8, 4
	s_cmp_lg_u32 s9, 0
	ds_load_b32 v6, v6
	s_wait_dscnt 0x0
	v_cmp_gt_i32_e32 vcc_lo, v1, v6
	v_cndmask_b32_e64 v6, 0, 1, vcc_lo
	s_delay_alu instid0(VALU_DEP_1)
	v_add_nc_u64_e32 v[4:5], v[4:5], v[6:7]
	s_cbranch_scc1 .LBB195_83
	s_branch .LBB195_76
.LBB195_84:
	s_endpgm
	.section	.rodata,"a",@progbits
	.p2align	6, 0x0
	.amdhsa_kernel _ZN9rocsparseL41csrgemm_numeric_fill_block_per_row_kernelILj1024ELj64ELj16384ELj137ELj64ElidEEvT5_PKS1_S3_NS_24const_host_device_scalarIT6_EEPKT4_S3_PKS5_S9_S3_SB_S6_S9_S3_SB_S9_S3_PS5_21rocsparse_index_base_SD_SD_SD_bbb
		.amdhsa_group_segment_fixed_size 0
		.amdhsa_private_segment_fixed_size 0
		.amdhsa_kernarg_size 156
		.amdhsa_user_sgpr_count 2
		.amdhsa_user_sgpr_dispatch_ptr 0
		.amdhsa_user_sgpr_queue_ptr 0
		.amdhsa_user_sgpr_kernarg_segment_ptr 1
		.amdhsa_user_sgpr_dispatch_id 0
		.amdhsa_user_sgpr_kernarg_preload_length 0
		.amdhsa_user_sgpr_kernarg_preload_offset 0
		.amdhsa_user_sgpr_private_segment_size 0
		.amdhsa_wavefront_size32 1
		.amdhsa_uses_dynamic_stack 0
		.amdhsa_enable_private_segment 0
		.amdhsa_system_sgpr_workgroup_id_x 1
		.amdhsa_system_sgpr_workgroup_id_y 0
		.amdhsa_system_sgpr_workgroup_id_z 0
		.amdhsa_system_sgpr_workgroup_info 0
		.amdhsa_system_vgpr_workitem_id 0
		.amdhsa_next_free_vgpr 25
		.amdhsa_next_free_sgpr 44
		.amdhsa_named_barrier_count 0
		.amdhsa_reserve_vcc 1
		.amdhsa_float_round_mode_32 0
		.amdhsa_float_round_mode_16_64 0
		.amdhsa_float_denorm_mode_32 3
		.amdhsa_float_denorm_mode_16_64 3
		.amdhsa_fp16_overflow 0
		.amdhsa_memory_ordered 1
		.amdhsa_forward_progress 1
		.amdhsa_inst_pref_size 28
		.amdhsa_round_robin_scheduling 0
		.amdhsa_exception_fp_ieee_invalid_op 0
		.amdhsa_exception_fp_denorm_src 0
		.amdhsa_exception_fp_ieee_div_zero 0
		.amdhsa_exception_fp_ieee_overflow 0
		.amdhsa_exception_fp_ieee_underflow 0
		.amdhsa_exception_fp_ieee_inexact 0
		.amdhsa_exception_int_div_zero 0
	.end_amdhsa_kernel
	.section	.text._ZN9rocsparseL41csrgemm_numeric_fill_block_per_row_kernelILj1024ELj64ELj16384ELj137ELj64ElidEEvT5_PKS1_S3_NS_24const_host_device_scalarIT6_EEPKT4_S3_PKS5_S9_S3_SB_S6_S9_S3_SB_S9_S3_PS5_21rocsparse_index_base_SD_SD_SD_bbb,"axG",@progbits,_ZN9rocsparseL41csrgemm_numeric_fill_block_per_row_kernelILj1024ELj64ELj16384ELj137ELj64ElidEEvT5_PKS1_S3_NS_24const_host_device_scalarIT6_EEPKT4_S3_PKS5_S9_S3_SB_S6_S9_S3_SB_S9_S3_PS5_21rocsparse_index_base_SD_SD_SD_bbb,comdat
.Lfunc_end195:
	.size	_ZN9rocsparseL41csrgemm_numeric_fill_block_per_row_kernelILj1024ELj64ELj16384ELj137ELj64ElidEEvT5_PKS1_S3_NS_24const_host_device_scalarIT6_EEPKT4_S3_PKS5_S9_S3_SB_S6_S9_S3_SB_S9_S3_PS5_21rocsparse_index_base_SD_SD_SD_bbb, .Lfunc_end195-_ZN9rocsparseL41csrgemm_numeric_fill_block_per_row_kernelILj1024ELj64ELj16384ELj137ELj64ElidEEvT5_PKS1_S3_NS_24const_host_device_scalarIT6_EEPKT4_S3_PKS5_S9_S3_SB_S6_S9_S3_SB_S9_S3_PS5_21rocsparse_index_base_SD_SD_SD_bbb
                                        ; -- End function
	.set _ZN9rocsparseL41csrgemm_numeric_fill_block_per_row_kernelILj1024ELj64ELj16384ELj137ELj64ElidEEvT5_PKS1_S3_NS_24const_host_device_scalarIT6_EEPKT4_S3_PKS5_S9_S3_SB_S6_S9_S3_SB_S9_S3_PS5_21rocsparse_index_base_SD_SD_SD_bbb.num_vgpr, 25
	.set _ZN9rocsparseL41csrgemm_numeric_fill_block_per_row_kernelILj1024ELj64ELj16384ELj137ELj64ElidEEvT5_PKS1_S3_NS_24const_host_device_scalarIT6_EEPKT4_S3_PKS5_S9_S3_SB_S6_S9_S3_SB_S9_S3_PS5_21rocsparse_index_base_SD_SD_SD_bbb.num_agpr, 0
	.set _ZN9rocsparseL41csrgemm_numeric_fill_block_per_row_kernelILj1024ELj64ELj16384ELj137ELj64ElidEEvT5_PKS1_S3_NS_24const_host_device_scalarIT6_EEPKT4_S3_PKS5_S9_S3_SB_S6_S9_S3_SB_S9_S3_PS5_21rocsparse_index_base_SD_SD_SD_bbb.numbered_sgpr, 44
	.set _ZN9rocsparseL41csrgemm_numeric_fill_block_per_row_kernelILj1024ELj64ELj16384ELj137ELj64ElidEEvT5_PKS1_S3_NS_24const_host_device_scalarIT6_EEPKT4_S3_PKS5_S9_S3_SB_S6_S9_S3_SB_S9_S3_PS5_21rocsparse_index_base_SD_SD_SD_bbb.num_named_barrier, 0
	.set _ZN9rocsparseL41csrgemm_numeric_fill_block_per_row_kernelILj1024ELj64ELj16384ELj137ELj64ElidEEvT5_PKS1_S3_NS_24const_host_device_scalarIT6_EEPKT4_S3_PKS5_S9_S3_SB_S6_S9_S3_SB_S9_S3_PS5_21rocsparse_index_base_SD_SD_SD_bbb.private_seg_size, 0
	.set _ZN9rocsparseL41csrgemm_numeric_fill_block_per_row_kernelILj1024ELj64ELj16384ELj137ELj64ElidEEvT5_PKS1_S3_NS_24const_host_device_scalarIT6_EEPKT4_S3_PKS5_S9_S3_SB_S6_S9_S3_SB_S9_S3_PS5_21rocsparse_index_base_SD_SD_SD_bbb.uses_vcc, 1
	.set _ZN9rocsparseL41csrgemm_numeric_fill_block_per_row_kernelILj1024ELj64ELj16384ELj137ELj64ElidEEvT5_PKS1_S3_NS_24const_host_device_scalarIT6_EEPKT4_S3_PKS5_S9_S3_SB_S6_S9_S3_SB_S9_S3_PS5_21rocsparse_index_base_SD_SD_SD_bbb.uses_flat_scratch, 0
	.set _ZN9rocsparseL41csrgemm_numeric_fill_block_per_row_kernelILj1024ELj64ELj16384ELj137ELj64ElidEEvT5_PKS1_S3_NS_24const_host_device_scalarIT6_EEPKT4_S3_PKS5_S9_S3_SB_S6_S9_S3_SB_S9_S3_PS5_21rocsparse_index_base_SD_SD_SD_bbb.has_dyn_sized_stack, 0
	.set _ZN9rocsparseL41csrgemm_numeric_fill_block_per_row_kernelILj1024ELj64ELj16384ELj137ELj64ElidEEvT5_PKS1_S3_NS_24const_host_device_scalarIT6_EEPKT4_S3_PKS5_S9_S3_SB_S6_S9_S3_SB_S9_S3_PS5_21rocsparse_index_base_SD_SD_SD_bbb.has_recursion, 0
	.set _ZN9rocsparseL41csrgemm_numeric_fill_block_per_row_kernelILj1024ELj64ELj16384ELj137ELj64ElidEEvT5_PKS1_S3_NS_24const_host_device_scalarIT6_EEPKT4_S3_PKS5_S9_S3_SB_S6_S9_S3_SB_S9_S3_PS5_21rocsparse_index_base_SD_SD_SD_bbb.has_indirect_call, 0
	.section	.AMDGPU.csdata,"",@progbits
; Kernel info:
; codeLenInByte = 3460
; TotalNumSgprs: 46
; NumVgprs: 25
; ScratchSize: 0
; MemoryBound: 0
; FloatMode: 240
; IeeeMode: 1
; LDSByteSize: 0 bytes/workgroup (compile time only)
; SGPRBlocks: 0
; VGPRBlocks: 1
; NumSGPRsForWavesPerEU: 46
; NumVGPRsForWavesPerEU: 25
; NamedBarCnt: 0
; Occupancy: 16
; WaveLimiterHint : 1
; COMPUTE_PGM_RSRC2:SCRATCH_EN: 0
; COMPUTE_PGM_RSRC2:USER_SGPR: 2
; COMPUTE_PGM_RSRC2:TRAP_HANDLER: 0
; COMPUTE_PGM_RSRC2:TGID_X_EN: 1
; COMPUTE_PGM_RSRC2:TGID_Y_EN: 0
; COMPUTE_PGM_RSRC2:TGID_Z_EN: 0
; COMPUTE_PGM_RSRC2:TIDIG_COMP_CNT: 0
	.section	.text._ZN9rocsparseL41csrgemm_numeric_fill_block_per_row_kernelILj1024ELj64ELj32768ELj137ELj32ElidEEvT5_PKS1_S3_NS_24const_host_device_scalarIT6_EEPKT4_S3_PKS5_S9_S3_SB_S6_S9_S3_SB_S9_S3_PS5_21rocsparse_index_base_SD_SD_SD_bbb,"axG",@progbits,_ZN9rocsparseL41csrgemm_numeric_fill_block_per_row_kernelILj1024ELj64ELj32768ELj137ELj32ElidEEvT5_PKS1_S3_NS_24const_host_device_scalarIT6_EEPKT4_S3_PKS5_S9_S3_SB_S6_S9_S3_SB_S9_S3_PS5_21rocsparse_index_base_SD_SD_SD_bbb,comdat
	.globl	_ZN9rocsparseL41csrgemm_numeric_fill_block_per_row_kernelILj1024ELj64ELj32768ELj137ELj32ElidEEvT5_PKS1_S3_NS_24const_host_device_scalarIT6_EEPKT4_S3_PKS5_S9_S3_SB_S6_S9_S3_SB_S9_S3_PS5_21rocsparse_index_base_SD_SD_SD_bbb ; -- Begin function _ZN9rocsparseL41csrgemm_numeric_fill_block_per_row_kernelILj1024ELj64ELj32768ELj137ELj32ElidEEvT5_PKS1_S3_NS_24const_host_device_scalarIT6_EEPKT4_S3_PKS5_S9_S3_SB_S6_S9_S3_SB_S9_S3_PS5_21rocsparse_index_base_SD_SD_SD_bbb
	.p2align	8
	.type	_ZN9rocsparseL41csrgemm_numeric_fill_block_per_row_kernelILj1024ELj64ELj32768ELj137ELj32ElidEEvT5_PKS1_S3_NS_24const_host_device_scalarIT6_EEPKT4_S3_PKS5_S9_S3_SB_S6_S9_S3_SB_S9_S3_PS5_21rocsparse_index_base_SD_SD_SD_bbb,@function
_ZN9rocsparseL41csrgemm_numeric_fill_block_per_row_kernelILj1024ELj64ELj32768ELj137ELj32ElidEEvT5_PKS1_S3_NS_24const_host_device_scalarIT6_EEPKT4_S3_PKS5_S9_S3_SB_S6_S9_S3_SB_S9_S3_PS5_21rocsparse_index_base_SD_SD_SD_bbb: ; @_ZN9rocsparseL41csrgemm_numeric_fill_block_per_row_kernelILj1024ELj64ELj32768ELj137ELj32ElidEEvT5_PKS1_S3_NS_24const_host_device_scalarIT6_EEPKT4_S3_PKS5_S9_S3_SB_S6_S9_S3_SB_S9_S3_PS5_21rocsparse_index_base_SD_SD_SD_bbb
; %bb.0:
	s_clause 0x3
	s_load_b32 s6, s[0:1], 0x98
	s_load_b64 s[4:5], s[0:1], 0x18
	s_load_b128 s[44:47], s[0:1], 0x88
	s_load_b64 s[2:3], s[0:1], 0x50
	s_wait_kmcnt 0x0
	s_bitcmp1_b32 s6, 0
	s_cselect_b32 s21, -1, 0
	s_bitcmp1_b32 s6, 16
	s_cselect_b32 s7, -1, 0
	s_xor_b32 s8, s21, -1
	s_delay_alu instid0(SALU_CYCLE_1)
	s_or_b32 s10, s7, s8
	s_and_b32 s8, s21, exec_lo
	s_cselect_b32 s9, s5, 0
	s_cselect_b32 s8, s4, 0
	s_and_b32 vcc_lo, exec_lo, s10
	v_mov_b64_e32 v[4:5], s[8:9]
	s_cbranch_vccnz .LBB196_2
; %bb.1:
	v_mov_b32_e32 v1, 0
	flat_load_b64 v[4:5], v1, s[4:5]
.LBB196_2:
	s_load_b128 s[16:19], s[0:1], 0x8
	s_bitcmp1_b32 s6, 8
	s_cselect_b32 s20, -1, 0
	s_delay_alu instid0(SALU_CYCLE_1) | instskip(NEXT) | instid1(SALU_CYCLE_1)
	s_xor_b32 s4, s20, -1
	s_or_b32 s6, s7, s4
	s_and_b32 s4, s20, exec_lo
	s_cselect_b32 s5, s3, 0
	s_cselect_b32 s4, s2, 0
	s_and_b32 vcc_lo, exec_lo, s6
	v_mov_b64_e32 v[2:3], s[4:5]
	s_cbranch_vccnz .LBB196_4
; %bb.3:
	v_mov_b32_e32 v1, 0
	flat_load_b64 v[2:3], v1, s[2:3]
.LBB196_4:
	s_clause 0x4
	s_load_b32 s33, s[0:1], 0x0
	s_load_b64 s[34:35], s[0:1], 0x80
	s_load_b256 s[36:43], s[0:1], 0x58
	s_load_b128 s[12:15], s[0:1], 0x40
	s_load_b256 s[4:11], s[0:1], 0x20
	v_lshlrev_b32_e32 v1, 3, v0
	v_lshl_add_u32 v18, v0, 2, 0
	v_or_b32_e32 v20, 0xfffffc00, v0
	v_mov_b64_e32 v[6:7], 0
	s_wait_xcnt 0x0
	s_mov_b32 s0, 0
	v_add3_u32 v19, v1, 0, 0x20000
	v_dual_mov_b32 v1, v18 :: v_dual_mov_b32 v10, v20
	s_wait_kmcnt 0x0
	s_delay_alu instid0(VALU_DEP_2)
	v_dual_mov_b32 v8, v19 :: v_dual_mov_b32 v9, s33
.LBB196_5:                              ; =>This Inner Loop Header: Depth=1
	s_delay_alu instid0(VALU_DEP_2)
	v_add_nc_u32_e32 v10, 0x400, v10
	ds_store_b32 v1, v9
	ds_store_b64 v8, v[6:7]
	v_add_nc_u32_e32 v8, 0x2000, v8
	v_add_nc_u32_e32 v1, 0x1000, v1
	v_cmp_lt_u32_e32 vcc_lo, 0x7bff, v10
	s_or_b32 s0, vcc_lo, s0
	s_delay_alu instid0(SALU_CYCLE_1)
	s_and_not1_b32 exec_lo, exec_lo, s0
	s_cbranch_execnz .LBB196_5
; %bb.6:
	s_or_b32 exec_lo, exec_lo, s0
	s_wait_loadcnt_dscnt 0x0
	s_barrier_signal -1
	s_barrier_wait -1
	s_load_b32 s0, s[16:17], 0x0
	s_bfe_u32 s1, ttmp6, 0x4000c
	s_and_b32 s2, ttmp6, 15
	s_add_co_i32 s1, s1, 1
	s_getreg_b32 s3, hwreg(HW_REG_IB_STS2, 6, 4)
	s_mul_i32 s1, ttmp9, s1
	s_delay_alu instid0(SALU_CYCLE_1)
	s_add_co_i32 s2, s2, s1
	s_cmp_eq_u32 s3, 0
	s_cselect_b32 s1, ttmp9, s2
	s_and_b32 vcc_lo, s21, exec_lo
	s_wait_kmcnt 0x0
	s_add_co_i32 s0, s0, s1
	s_mov_b32 s1, 0
	s_load_b32 s48, s[18:19], s0 offset:0x0 scale_offset
	s_cbranch_vccz .LBB196_24
; %bb.7:
	s_wait_kmcnt 0x0
	s_ashr_i32 s49, s48, 31
	v_dual_mov_b32 v9, 0 :: v_dual_lshrrev_b32 v8, 6, v0
	s_lshl_b64 s[2:3], s[48:49], 3
	s_mov_b32 s0, s44
	s_add_nc_u64 s[2:3], s[4:5], s[2:3]
	s_mov_b32 s4, exec_lo
	s_load_b128 s[16:19], s[2:3], 0x0
	v_sub_nc_u64_e64 v[6:7], v[8:9], s[0:1]
	s_wait_kmcnt 0x0
	s_delay_alu instid0(VALU_DEP_1)
	v_add_nc_u64_e32 v[6:7], s[16:17], v[6:7]
	s_sub_nc_u64 s[0:1], s[18:19], s[0:1]
	s_delay_alu instid0(VALU_DEP_1) | instid1(SALU_CYCLE_1)
	v_cmpx_gt_i64_e64 s[0:1], v[6:7]
	s_cbranch_execz .LBB196_23
; %bb.8:
	v_and_b32_e32 v8, 63, v0
	s_mov_b32 s3, 0
	s_mov_b32 s2, s45
	;; [unrolled: 1-line block ×3, first 2 shown]
	s_delay_alu instid0(VALU_DEP_1)
	v_sub_nc_u64_e64 v[8:9], v[8:9], s[2:3]
	s_branch .LBB196_10
.LBB196_9:                              ;   in Loop: Header=BB196_10 Depth=1
	s_or_b32 exec_lo, exec_lo, s16
	v_add_nc_u64_e32 v[6:7], 16, v[6:7]
	s_delay_alu instid0(VALU_DEP_1) | instskip(SKIP_1) | instid1(SALU_CYCLE_1)
	v_cmp_le_i64_e32 vcc_lo, s[0:1], v[6:7]
	s_or_b32 s5, vcc_lo, s5
	s_and_not1_b32 exec_lo, exec_lo, s5
	s_cbranch_execz .LBB196_23
.LBB196_10:                             ; =>This Loop Header: Depth=1
                                        ;     Child Loop BB196_14 Depth 2
                                        ;       Child Loop BB196_17 Depth 3
	v_lshl_add_u64 v[10:11], v[6:7], 2, s[6:7]
	s_mov_b32 s16, exec_lo
	global_load_b32 v1, v[10:11], off
	s_wait_loadcnt 0x0
	s_wait_xcnt 0x0
	v_subrev_nc_u32_e32 v10, s44, v1
	s_delay_alu instid0(VALU_DEP_1) | instskip(NEXT) | instid1(VALU_DEP_1)
	v_ashrrev_i32_e32 v11, 31, v10
	v_lshl_add_u64 v[10:11], v[10:11], 3, s[10:11]
	global_load_b128 v[12:15], v[10:11], off
	s_wait_loadcnt 0x0
	s_wait_xcnt 0x0
	v_sub_nc_u64_e64 v[10:11], v[14:15], s[2:3]
	v_add_nc_u64_e32 v[12:13], v[12:13], v[8:9]
	s_delay_alu instid0(VALU_DEP_1)
	v_cmpx_lt_i64_e64 v[12:13], v[10:11]
	s_cbranch_execz .LBB196_9
; %bb.11:                               ;   in Loop: Header=BB196_10 Depth=1
	v_lshl_add_u64 v[14:15], v[6:7], 3, s[8:9]
	s_mov_b32 s17, 0
	global_load_b64 v[14:15], v[14:15], off
	s_wait_loadcnt 0x0
	s_wait_xcnt 0x0
	v_mul_f64_e32 v[14:15], v[4:5], v[14:15]
	s_branch .LBB196_14
.LBB196_12:                             ;   in Loop: Header=BB196_14 Depth=2
	s_or_b32 exec_lo, exec_lo, s19
.LBB196_13:                             ;   in Loop: Header=BB196_14 Depth=2
	s_delay_alu instid0(SALU_CYCLE_1) | instskip(SKIP_4) | instid1(VALU_DEP_2)
	s_or_b32 exec_lo, exec_lo, s18
	s_wait_loadcnt 0x0
	v_mul_f64_e32 v[16:17], v[14:15], v[16:17]
	v_lshlrev_b32_e32 v1, 3, v1
	v_add_nc_u64_e32 v[12:13], 64, v[12:13]
	v_add3_u32 v1, 0, v1, 0x20000
	s_delay_alu instid0(VALU_DEP_2)
	v_cmp_ge_i64_e32 vcc_lo, v[12:13], v[10:11]
	s_or_b32 s17, vcc_lo, s17
	ds_add_f64 v1, v[16:17]
	s_and_not1_b32 exec_lo, exec_lo, s17
	s_cbranch_execz .LBB196_9
.LBB196_14:                             ;   Parent Loop BB196_10 Depth=1
                                        ; =>  This Loop Header: Depth=2
                                        ;       Child Loop BB196_17 Depth 3
	v_lshl_add_u64 v[16:17], v[12:13], 2, s[12:13]
	s_mov_b32 s18, exec_lo
	global_load_b32 v1, v[16:17], off
	s_wait_xcnt 0x0
	v_lshl_add_u64 v[16:17], v[12:13], 3, s[14:15]
	global_load_b64 v[16:17], v[16:17], off
	s_wait_loadcnt 0x1
	v_subrev_nc_u32_e32 v21, s45, v1
	s_delay_alu instid0(VALU_DEP_1) | instskip(NEXT) | instid1(VALU_DEP_1)
	v_mul_lo_u32 v1, 0x89, v21
	v_and_b32_e32 v1, 0x7fff, v1
	s_delay_alu instid0(VALU_DEP_1)
	v_lshl_add_u32 v22, v1, 2, 0
	ds_load_b32 v23, v22
	s_wait_dscnt 0x0
	s_wait_xcnt 0x0
	v_cmpx_ne_u32_e64 v23, v21
	s_cbranch_execz .LBB196_13
; %bb.15:                               ;   in Loop: Header=BB196_14 Depth=2
	s_mov_b32 s19, 0
	s_branch .LBB196_17
.LBB196_16:                             ;   in Loop: Header=BB196_17 Depth=3
	s_or_b32 exec_lo, exec_lo, s23
	s_delay_alu instid0(SALU_CYCLE_1) | instskip(NEXT) | instid1(SALU_CYCLE_1)
	s_and_b32 s21, exec_lo, s22
	s_or_b32 s19, s21, s19
	s_delay_alu instid0(SALU_CYCLE_1)
	s_and_not1_b32 exec_lo, exec_lo, s19
	s_cbranch_execz .LBB196_12
.LBB196_17:                             ;   Parent Loop BB196_10 Depth=1
                                        ;     Parent Loop BB196_14 Depth=2
                                        ; =>    This Inner Loop Header: Depth=3
	s_mov_b32 s21, 0
	s_mov_b32 s22, exec_lo
	v_cmpx_ne_u32_e64 s33, v23
	s_xor_b32 s22, exec_lo, s22
	s_cbranch_execz .LBB196_19
; %bb.18:                               ;   in Loop: Header=BB196_17 Depth=3
	v_add_nc_u32_e32 v1, 1, v1
	s_mov_b32 s21, exec_lo
                                        ; implicit-def: $vgpr22
	s_delay_alu instid0(VALU_DEP_1)
	v_and_b32_e32 v1, 0x7fff, v1
	s_and_not1_saveexec_b32 s22, s22
	s_cbranch_execz .LBB196_21
	s_branch .LBB196_20
.LBB196_19:                             ;   in Loop: Header=BB196_17 Depth=3
	s_and_not1_saveexec_b32 s22, s22
	s_cbranch_execz .LBB196_21
.LBB196_20:                             ;   in Loop: Header=BB196_17 Depth=3
	v_mov_b32_e32 v23, s33
	s_and_not1_b32 s21, s21, exec_lo
	ds_cmpstore_rtn_b32 v22, v22, v21, v23
	s_wait_dscnt 0x0
	v_cmp_ne_u32_e32 vcc_lo, s33, v22
	s_and_b32 s23, vcc_lo, exec_lo
	s_delay_alu instid0(SALU_CYCLE_1)
	s_or_b32 s21, s21, s23
.LBB196_21:                             ;   in Loop: Header=BB196_17 Depth=3
	s_or_b32 exec_lo, exec_lo, s22
	s_mov_b32 s22, -1
                                        ; implicit-def: $vgpr22
                                        ; implicit-def: $vgpr23
	s_and_saveexec_b32 s23, s21
	s_cbranch_execz .LBB196_16
; %bb.22:                               ;   in Loop: Header=BB196_17 Depth=3
	v_lshl_add_u32 v22, v1, 2, 0
	ds_load_b32 v23, v22
	s_wait_dscnt 0x0
	v_cmp_eq_u32_e32 vcc_lo, v23, v21
	s_or_not1_b32 s22, vcc_lo, exec_lo
	s_branch .LBB196_16
.LBB196_23:
	s_or_b32 exec_lo, exec_lo, s4
.LBB196_24:
	s_delay_alu instid0(SALU_CYCLE_1)
	s_and_not1_b32 vcc_lo, exec_lo, s20
	s_cbranch_vccnz .LBB196_27
; %bb.25:
	s_wait_kmcnt 0x0
	s_ashr_i32 s49, s48, 31
	v_mov_b32_e32 v1, 0
	s_lshl_b64 s[0:1], s[48:49], 3
	s_delay_alu instid0(SALU_CYCLE_1) | instskip(SKIP_4) | instid1(SALU_CYCLE_1)
	s_add_nc_u64 s[0:1], s[36:37], s[0:1]
	s_load_b128 s[4:7], s[0:1], 0x0
	s_wait_xcnt 0x0
	s_mov_b32 s1, 0
	s_mov_b32 s0, s47
	v_sub_nc_u64_e64 v[4:5], v[0:1], s[0:1]
	s_wait_kmcnt 0x0
	s_delay_alu instid0(VALU_DEP_1) | instskip(SKIP_2) | instid1(VALU_DEP_1)
	v_add_nc_u64_e32 v[4:5], s[4:5], v[4:5]
	s_sub_nc_u64 s[2:3], s[6:7], s[0:1]
	s_mov_b32 s0, exec_lo
	v_cmpx_gt_i64_e64 s[2:3], v[4:5]
	s_cbranch_execnz .LBB196_97
.LBB196_26:
	s_or_b32 exec_lo, exec_lo, s0
.LBB196_27:
	v_mbcnt_lo_u32_b32 v1, -1, 0
	v_lshrrev_b32_e32 v2, 3, v0
	s_wait_xcnt 0x0
	v_cmp_lt_u32_e64 s0, 31, v0
	v_cmp_lt_u32_e64 s1, 63, v0
	;; [unrolled: 1-line block ×3, first 2 shown]
	v_xor_b32_e32 v3, 31, v1
	v_and_b32_e32 v4, 0x7c, v2
	v_mov_b32_e32 v1, 0
	v_cmp_lt_u32_e64 s3, 0x7f, v0
	v_cmp_lt_u32_e64 s4, 0x9f, v0
	v_lshrrev_b32_e64 v2, v3, -1
	v_add3_u32 v3, 0x60000, 0, v4
	v_cmp_lt_u32_e64 s5, 0xbf, v0
	v_cmp_lt_u32_e64 s6, 0xdf, v0
	v_cmp_lt_u32_e64 s7, 0xff, v0
	v_cmp_lt_u32_e64 s8, 0x11f, v0
	v_cmp_lt_u32_e64 s9, 0x13f, v0
	v_cmp_lt_u32_e64 s10, 0x15f, v0
	v_cmp_lt_u32_e64 s11, 0x17f, v0
	v_cmp_lt_u32_e64 s12, 0x19f, v0
	v_cmp_lt_u32_e64 s13, 0x1bf, v0
	v_cmp_lt_u32_e64 s14, 0x1df, v0
	v_cmp_lt_u32_e64 s15, 0x1ff, v0
	v_cmp_lt_u32_e64 s16, 0x21f, v0
	v_cmp_lt_u32_e64 s17, 0x23f, v0
	v_cmp_lt_u32_e64 s18, 0x25f, v0
	v_cmp_lt_u32_e64 s19, 0x27f, v0
	v_cmp_lt_u32_e64 s20, 0x29f, v0
	v_cmp_lt_u32_e64 s21, 0x2bf, v0
	v_cmp_lt_u32_e64 s22, 0x2df, v0
	v_cmp_lt_u32_e64 s23, 0x2ff, v0
	v_cmp_lt_u32_e64 s24, 0x31f, v0
	v_cmp_lt_u32_e64 s25, 0x33f, v0
	v_cmp_lt_u32_e64 s26, 0x35f, v0
	v_cmp_lt_u32_e64 s27, 0x37f, v0
	v_cmp_lt_u32_e64 s28, 0x39f, v0
	v_cmp_lt_u32_e64 s29, 0x3bf, v0
	v_cmp_lt_u32_e64 s30, 0x3df, v0
	s_mov_b32 s36, 0
	s_add_co_i32 s37, 0, 0x60000
	s_add_co_i32 s38, 0, 0x60004
	;; [unrolled: 1-line block ×32, first 2 shown]
	s_wait_dscnt 0x0
	s_barrier_signal -1
	s_barrier_wait -1
	v_cmp_eq_u32_e32 vcc_lo, 0x3ff, v0
	s_branch .LBB196_29
.LBB196_28:                             ;   in Loop: Header=BB196_29 Depth=1
	s_or_b32 exec_lo, exec_lo, s31
	v_dual_mov_b32 v4, s72 :: v_dual_add_nc_u32 v19, 0x2000, v19
	s_wait_dscnt 0x0
	s_barrier_signal -1
	s_barrier_wait -1
	ds_load_b32 v4, v4
	v_add_nc_u32_e32 v20, 0x400, v20
	v_add_nc_u32_e32 v18, 0x1000, v18
	s_delay_alu instid0(VALU_DEP_2)
	v_cmp_lt_u32_e64 s31, 0x7bff, v20
	s_or_b32 s36, s31, s36
	s_wait_dscnt 0x0
	v_add_nc_u32_e32 v1, v4, v1
	s_and_not1_b32 exec_lo, exec_lo, s36
	s_cbranch_execz .LBB196_106
.LBB196_29:                             ; =>This Inner Loop Header: Depth=1
	ds_load_b32 v6, v18
	ds_load_b64 v[4:5], v19
	s_wait_dscnt 0x0
	s_barrier_signal -1
	s_barrier_wait -1
	v_cmp_gt_i32_e64 s31, s33, v6
	s_bcnt1_i32_b32 s73, s31
	s_delay_alu instid0(SALU_CYCLE_1) | instskip(NEXT) | instid1(VALU_DEP_1)
	v_dual_mov_b32 v8, s73 :: v_dual_bitop2_b32 v7, s31, v2 bitop3:0x40
	v_bcnt_u32_b32 v7, v7, 0
	ds_store_b32 v3, v8
	s_wait_dscnt 0x0
	s_barrier_signal -1
	s_barrier_wait -1
	s_and_saveexec_b32 s73, s0
	s_cbranch_execz .LBB196_62
; %bb.30:                               ;   in Loop: Header=BB196_29 Depth=1
	v_mov_b32_e32 v8, s37
	ds_load_b32 v8, v8
	s_wait_dscnt 0x0
	v_add_nc_u32_e32 v7, v8, v7
	s_or_b32 exec_lo, exec_lo, s73
	s_and_saveexec_b32 s73, s1
	s_cbranch_execnz .LBB196_63
.LBB196_31:                             ;   in Loop: Header=BB196_29 Depth=1
	s_or_b32 exec_lo, exec_lo, s73
	s_and_saveexec_b32 s73, s2
	s_cbranch_execz .LBB196_64
.LBB196_32:                             ;   in Loop: Header=BB196_29 Depth=1
	v_mov_b32_e32 v8, s39
	ds_load_b32 v8, v8
	s_wait_dscnt 0x0
	v_add_nc_u32_e32 v7, v8, v7
	s_or_b32 exec_lo, exec_lo, s73
	s_and_saveexec_b32 s73, s3
	s_cbranch_execnz .LBB196_65
.LBB196_33:                             ;   in Loop: Header=BB196_29 Depth=1
	s_or_b32 exec_lo, exec_lo, s73
	s_and_saveexec_b32 s73, s4
	s_cbranch_execz .LBB196_66
.LBB196_34:                             ;   in Loop: Header=BB196_29 Depth=1
	v_mov_b32_e32 v8, s41
	ds_load_b32 v8, v8
	s_wait_dscnt 0x0
	v_add_nc_u32_e32 v7, v8, v7
	s_or_b32 exec_lo, exec_lo, s73
	s_and_saveexec_b32 s73, s5
	s_cbranch_execnz .LBB196_67
.LBB196_35:                             ;   in Loop: Header=BB196_29 Depth=1
	s_or_b32 exec_lo, exec_lo, s73
	s_and_saveexec_b32 s73, s6
	s_cbranch_execz .LBB196_68
.LBB196_36:                             ;   in Loop: Header=BB196_29 Depth=1
	v_mov_b32_e32 v8, s45
	ds_load_b32 v8, v8
	s_wait_dscnt 0x0
	v_add_nc_u32_e32 v7, v8, v7
	s_or_b32 exec_lo, exec_lo, s73
	s_and_saveexec_b32 s73, s7
	s_cbranch_execnz .LBB196_69
.LBB196_37:                             ;   in Loop: Header=BB196_29 Depth=1
	s_or_b32 exec_lo, exec_lo, s73
	s_and_saveexec_b32 s73, s8
	s_cbranch_execz .LBB196_70
.LBB196_38:                             ;   in Loop: Header=BB196_29 Depth=1
	v_mov_b32_e32 v8, s49
	ds_load_b32 v8, v8
	s_wait_dscnt 0x0
	v_add_nc_u32_e32 v7, v8, v7
	s_or_b32 exec_lo, exec_lo, s73
	s_and_saveexec_b32 s73, s9
	s_cbranch_execnz .LBB196_71
.LBB196_39:                             ;   in Loop: Header=BB196_29 Depth=1
	s_or_b32 exec_lo, exec_lo, s73
	s_and_saveexec_b32 s73, s10
	s_cbranch_execz .LBB196_72
.LBB196_40:                             ;   in Loop: Header=BB196_29 Depth=1
	v_mov_b32_e32 v8, s51
	ds_load_b32 v8, v8
	s_wait_dscnt 0x0
	v_add_nc_u32_e32 v7, v8, v7
	s_or_b32 exec_lo, exec_lo, s73
	s_and_saveexec_b32 s73, s11
	s_cbranch_execnz .LBB196_73
.LBB196_41:                             ;   in Loop: Header=BB196_29 Depth=1
	s_or_b32 exec_lo, exec_lo, s73
	s_and_saveexec_b32 s73, s12
	s_cbranch_execz .LBB196_74
.LBB196_42:                             ;   in Loop: Header=BB196_29 Depth=1
	v_mov_b32_e32 v8, s53
	ds_load_b32 v8, v8
	s_wait_dscnt 0x0
	v_add_nc_u32_e32 v7, v8, v7
	s_or_b32 exec_lo, exec_lo, s73
	s_and_saveexec_b32 s73, s13
	s_cbranch_execnz .LBB196_75
.LBB196_43:                             ;   in Loop: Header=BB196_29 Depth=1
	s_or_b32 exec_lo, exec_lo, s73
	s_and_saveexec_b32 s73, s14
	s_cbranch_execz .LBB196_76
.LBB196_44:                             ;   in Loop: Header=BB196_29 Depth=1
	v_mov_b32_e32 v8, s55
	ds_load_b32 v8, v8
	s_wait_dscnt 0x0
	v_add_nc_u32_e32 v7, v8, v7
	s_or_b32 exec_lo, exec_lo, s73
	s_and_saveexec_b32 s73, s15
	s_cbranch_execnz .LBB196_77
.LBB196_45:                             ;   in Loop: Header=BB196_29 Depth=1
	s_or_b32 exec_lo, exec_lo, s73
	s_and_saveexec_b32 s73, s16
	s_cbranch_execz .LBB196_78
.LBB196_46:                             ;   in Loop: Header=BB196_29 Depth=1
	v_mov_b32_e32 v8, s57
	ds_load_b32 v8, v8
	s_wait_dscnt 0x0
	v_add_nc_u32_e32 v7, v8, v7
	s_or_b32 exec_lo, exec_lo, s73
	s_and_saveexec_b32 s73, s17
	s_cbranch_execnz .LBB196_79
.LBB196_47:                             ;   in Loop: Header=BB196_29 Depth=1
	s_or_b32 exec_lo, exec_lo, s73
	s_and_saveexec_b32 s73, s18
	s_cbranch_execz .LBB196_80
.LBB196_48:                             ;   in Loop: Header=BB196_29 Depth=1
	v_mov_b32_e32 v8, s59
	ds_load_b32 v8, v8
	s_wait_dscnt 0x0
	v_add_nc_u32_e32 v7, v8, v7
	s_or_b32 exec_lo, exec_lo, s73
	s_and_saveexec_b32 s73, s19
	s_cbranch_execnz .LBB196_81
.LBB196_49:                             ;   in Loop: Header=BB196_29 Depth=1
	s_or_b32 exec_lo, exec_lo, s73
	s_and_saveexec_b32 s73, s20
	s_cbranch_execz .LBB196_82
.LBB196_50:                             ;   in Loop: Header=BB196_29 Depth=1
	v_mov_b32_e32 v8, s61
	ds_load_b32 v8, v8
	s_wait_dscnt 0x0
	v_add_nc_u32_e32 v7, v8, v7
	s_or_b32 exec_lo, exec_lo, s73
	s_and_saveexec_b32 s73, s21
	s_cbranch_execnz .LBB196_83
.LBB196_51:                             ;   in Loop: Header=BB196_29 Depth=1
	s_or_b32 exec_lo, exec_lo, s73
	s_and_saveexec_b32 s73, s22
	s_cbranch_execz .LBB196_84
.LBB196_52:                             ;   in Loop: Header=BB196_29 Depth=1
	v_mov_b32_e32 v8, s63
	ds_load_b32 v8, v8
	s_wait_dscnt 0x0
	v_add_nc_u32_e32 v7, v8, v7
	s_or_b32 exec_lo, exec_lo, s73
	s_and_saveexec_b32 s73, s23
	s_cbranch_execnz .LBB196_85
.LBB196_53:                             ;   in Loop: Header=BB196_29 Depth=1
	s_or_b32 exec_lo, exec_lo, s73
	s_and_saveexec_b32 s73, s24
	s_cbranch_execz .LBB196_86
.LBB196_54:                             ;   in Loop: Header=BB196_29 Depth=1
	v_mov_b32_e32 v8, s65
	ds_load_b32 v8, v8
	s_wait_dscnt 0x0
	v_add_nc_u32_e32 v7, v8, v7
	s_or_b32 exec_lo, exec_lo, s73
	s_and_saveexec_b32 s73, s25
	s_cbranch_execnz .LBB196_87
.LBB196_55:                             ;   in Loop: Header=BB196_29 Depth=1
	s_or_b32 exec_lo, exec_lo, s73
	s_and_saveexec_b32 s73, s26
	s_cbranch_execz .LBB196_88
.LBB196_56:                             ;   in Loop: Header=BB196_29 Depth=1
	v_mov_b32_e32 v8, s67
	ds_load_b32 v8, v8
	s_wait_dscnt 0x0
	v_add_nc_u32_e32 v7, v8, v7
	s_or_b32 exec_lo, exec_lo, s73
	s_and_saveexec_b32 s73, s27
	s_cbranch_execnz .LBB196_89
.LBB196_57:                             ;   in Loop: Header=BB196_29 Depth=1
	s_or_b32 exec_lo, exec_lo, s73
	s_and_saveexec_b32 s73, s28
	s_cbranch_execz .LBB196_90
.LBB196_58:                             ;   in Loop: Header=BB196_29 Depth=1
	v_mov_b32_e32 v8, s69
	ds_load_b32 v8, v8
	s_wait_dscnt 0x0
	v_add_nc_u32_e32 v7, v8, v7
	s_or_b32 exec_lo, exec_lo, s73
	s_and_saveexec_b32 s73, s29
	s_cbranch_execnz .LBB196_91
.LBB196_59:                             ;   in Loop: Header=BB196_29 Depth=1
	s_or_b32 exec_lo, exec_lo, s73
	s_and_saveexec_b32 s73, s30
	s_cbranch_execz .LBB196_92
.LBB196_60:                             ;   in Loop: Header=BB196_29 Depth=1
	v_mov_b32_e32 v8, s71
	ds_load_b32 v8, v8
	s_wait_dscnt 0x0
	v_add_nc_u32_e32 v7, v8, v7
	s_or_b32 exec_lo, exec_lo, s73
	s_and_saveexec_b32 s73, s31
	s_cbranch_execnz .LBB196_93
.LBB196_61:                             ;   in Loop: Header=BB196_29 Depth=1
	s_or_b32 exec_lo, exec_lo, s73
	s_and_saveexec_b32 s31, vcc_lo
	s_cbranch_execz .LBB196_28
	s_branch .LBB196_94
.LBB196_62:                             ;   in Loop: Header=BB196_29 Depth=1
	s_or_b32 exec_lo, exec_lo, s73
	s_and_saveexec_b32 s73, s1
	s_cbranch_execz .LBB196_31
.LBB196_63:                             ;   in Loop: Header=BB196_29 Depth=1
	v_mov_b32_e32 v8, s38
	ds_load_b32 v8, v8
	s_wait_dscnt 0x0
	v_add_nc_u32_e32 v7, v8, v7
	s_or_b32 exec_lo, exec_lo, s73
	s_and_saveexec_b32 s73, s2
	s_cbranch_execnz .LBB196_32
.LBB196_64:                             ;   in Loop: Header=BB196_29 Depth=1
	s_or_b32 exec_lo, exec_lo, s73
	s_and_saveexec_b32 s73, s3
	s_cbranch_execz .LBB196_33
.LBB196_65:                             ;   in Loop: Header=BB196_29 Depth=1
	v_mov_b32_e32 v8, s40
	ds_load_b32 v8, v8
	s_wait_dscnt 0x0
	v_add_nc_u32_e32 v7, v8, v7
	s_or_b32 exec_lo, exec_lo, s73
	s_and_saveexec_b32 s73, s4
	s_cbranch_execnz .LBB196_34
.LBB196_66:                             ;   in Loop: Header=BB196_29 Depth=1
	s_or_b32 exec_lo, exec_lo, s73
	s_and_saveexec_b32 s73, s5
	s_cbranch_execz .LBB196_35
.LBB196_67:                             ;   in Loop: Header=BB196_29 Depth=1
	v_mov_b32_e32 v8, s44
	ds_load_b32 v8, v8
	s_wait_dscnt 0x0
	v_add_nc_u32_e32 v7, v8, v7
	s_or_b32 exec_lo, exec_lo, s73
	s_and_saveexec_b32 s73, s6
	s_cbranch_execnz .LBB196_36
.LBB196_68:                             ;   in Loop: Header=BB196_29 Depth=1
	s_or_b32 exec_lo, exec_lo, s73
	s_and_saveexec_b32 s73, s7
	s_cbranch_execz .LBB196_37
.LBB196_69:                             ;   in Loop: Header=BB196_29 Depth=1
	v_mov_b32_e32 v8, s47
	ds_load_b32 v8, v8
	s_wait_dscnt 0x0
	v_add_nc_u32_e32 v7, v8, v7
	s_or_b32 exec_lo, exec_lo, s73
	s_and_saveexec_b32 s73, s8
	s_cbranch_execnz .LBB196_38
.LBB196_70:                             ;   in Loop: Header=BB196_29 Depth=1
	s_or_b32 exec_lo, exec_lo, s73
	s_and_saveexec_b32 s73, s9
	s_cbranch_execz .LBB196_39
.LBB196_71:                             ;   in Loop: Header=BB196_29 Depth=1
	v_mov_b32_e32 v8, s50
	ds_load_b32 v8, v8
	s_wait_dscnt 0x0
	v_add_nc_u32_e32 v7, v8, v7
	s_or_b32 exec_lo, exec_lo, s73
	s_and_saveexec_b32 s73, s10
	s_cbranch_execnz .LBB196_40
.LBB196_72:                             ;   in Loop: Header=BB196_29 Depth=1
	s_or_b32 exec_lo, exec_lo, s73
	s_and_saveexec_b32 s73, s11
	s_cbranch_execz .LBB196_41
.LBB196_73:                             ;   in Loop: Header=BB196_29 Depth=1
	v_mov_b32_e32 v8, s52
	ds_load_b32 v8, v8
	s_wait_dscnt 0x0
	v_add_nc_u32_e32 v7, v8, v7
	s_or_b32 exec_lo, exec_lo, s73
	s_and_saveexec_b32 s73, s12
	s_cbranch_execnz .LBB196_42
.LBB196_74:                             ;   in Loop: Header=BB196_29 Depth=1
	s_or_b32 exec_lo, exec_lo, s73
	s_and_saveexec_b32 s73, s13
	s_cbranch_execz .LBB196_43
.LBB196_75:                             ;   in Loop: Header=BB196_29 Depth=1
	v_mov_b32_e32 v8, s54
	ds_load_b32 v8, v8
	s_wait_dscnt 0x0
	v_add_nc_u32_e32 v7, v8, v7
	s_or_b32 exec_lo, exec_lo, s73
	s_and_saveexec_b32 s73, s14
	s_cbranch_execnz .LBB196_44
.LBB196_76:                             ;   in Loop: Header=BB196_29 Depth=1
	s_or_b32 exec_lo, exec_lo, s73
	s_and_saveexec_b32 s73, s15
	s_cbranch_execz .LBB196_45
.LBB196_77:                             ;   in Loop: Header=BB196_29 Depth=1
	v_mov_b32_e32 v8, s56
	ds_load_b32 v8, v8
	s_wait_dscnt 0x0
	v_add_nc_u32_e32 v7, v8, v7
	s_or_b32 exec_lo, exec_lo, s73
	s_and_saveexec_b32 s73, s16
	s_cbranch_execnz .LBB196_46
.LBB196_78:                             ;   in Loop: Header=BB196_29 Depth=1
	s_or_b32 exec_lo, exec_lo, s73
	s_and_saveexec_b32 s73, s17
	s_cbranch_execz .LBB196_47
.LBB196_79:                             ;   in Loop: Header=BB196_29 Depth=1
	v_mov_b32_e32 v8, s58
	ds_load_b32 v8, v8
	s_wait_dscnt 0x0
	v_add_nc_u32_e32 v7, v8, v7
	s_or_b32 exec_lo, exec_lo, s73
	s_and_saveexec_b32 s73, s18
	s_cbranch_execnz .LBB196_48
.LBB196_80:                             ;   in Loop: Header=BB196_29 Depth=1
	s_or_b32 exec_lo, exec_lo, s73
	s_and_saveexec_b32 s73, s19
	s_cbranch_execz .LBB196_49
.LBB196_81:                             ;   in Loop: Header=BB196_29 Depth=1
	v_mov_b32_e32 v8, s60
	ds_load_b32 v8, v8
	s_wait_dscnt 0x0
	v_add_nc_u32_e32 v7, v8, v7
	s_or_b32 exec_lo, exec_lo, s73
	s_and_saveexec_b32 s73, s20
	s_cbranch_execnz .LBB196_50
.LBB196_82:                             ;   in Loop: Header=BB196_29 Depth=1
	s_or_b32 exec_lo, exec_lo, s73
	s_and_saveexec_b32 s73, s21
	s_cbranch_execz .LBB196_51
.LBB196_83:                             ;   in Loop: Header=BB196_29 Depth=1
	v_mov_b32_e32 v8, s62
	ds_load_b32 v8, v8
	s_wait_dscnt 0x0
	v_add_nc_u32_e32 v7, v8, v7
	s_or_b32 exec_lo, exec_lo, s73
	s_and_saveexec_b32 s73, s22
	s_cbranch_execnz .LBB196_52
.LBB196_84:                             ;   in Loop: Header=BB196_29 Depth=1
	s_or_b32 exec_lo, exec_lo, s73
	s_and_saveexec_b32 s73, s23
	s_cbranch_execz .LBB196_53
.LBB196_85:                             ;   in Loop: Header=BB196_29 Depth=1
	v_mov_b32_e32 v8, s64
	ds_load_b32 v8, v8
	s_wait_dscnt 0x0
	v_add_nc_u32_e32 v7, v8, v7
	s_or_b32 exec_lo, exec_lo, s73
	s_and_saveexec_b32 s73, s24
	s_cbranch_execnz .LBB196_54
.LBB196_86:                             ;   in Loop: Header=BB196_29 Depth=1
	s_or_b32 exec_lo, exec_lo, s73
	s_and_saveexec_b32 s73, s25
	s_cbranch_execz .LBB196_55
.LBB196_87:                             ;   in Loop: Header=BB196_29 Depth=1
	v_mov_b32_e32 v8, s66
	ds_load_b32 v8, v8
	s_wait_dscnt 0x0
	v_add_nc_u32_e32 v7, v8, v7
	s_or_b32 exec_lo, exec_lo, s73
	s_and_saveexec_b32 s73, s26
	s_cbranch_execnz .LBB196_56
.LBB196_88:                             ;   in Loop: Header=BB196_29 Depth=1
	s_or_b32 exec_lo, exec_lo, s73
	s_and_saveexec_b32 s73, s27
	s_cbranch_execz .LBB196_57
.LBB196_89:                             ;   in Loop: Header=BB196_29 Depth=1
	v_mov_b32_e32 v8, s68
	ds_load_b32 v8, v8
	s_wait_dscnt 0x0
	v_add_nc_u32_e32 v7, v8, v7
	s_or_b32 exec_lo, exec_lo, s73
	s_and_saveexec_b32 s73, s28
	s_cbranch_execnz .LBB196_58
.LBB196_90:                             ;   in Loop: Header=BB196_29 Depth=1
	s_or_b32 exec_lo, exec_lo, s73
	s_and_saveexec_b32 s73, s29
	s_cbranch_execz .LBB196_59
.LBB196_91:                             ;   in Loop: Header=BB196_29 Depth=1
	v_mov_b32_e32 v8, s70
	ds_load_b32 v8, v8
	s_wait_dscnt 0x0
	v_add_nc_u32_e32 v7, v8, v7
	s_or_b32 exec_lo, exec_lo, s73
	s_and_saveexec_b32 s73, s30
	s_cbranch_execnz .LBB196_60
.LBB196_92:                             ;   in Loop: Header=BB196_29 Depth=1
	s_or_b32 exec_lo, exec_lo, s73
	s_and_saveexec_b32 s73, s31
	s_cbranch_execz .LBB196_61
.LBB196_93:                             ;   in Loop: Header=BB196_29 Depth=1
	s_delay_alu instid0(VALU_DEP_1) | instskip(NEXT) | instid1(VALU_DEP_1)
	v_add3_u32 v8, v1, -1, v7
	v_lshlrev_b32_e32 v9, 3, v8
	v_lshl_add_u32 v8, v8, 2, 0
	s_delay_alu instid0(VALU_DEP_2)
	v_add3_u32 v9, 0, v9, 0x20000
	ds_store_b32 v8, v6
	ds_store_b64 v9, v[4:5]
	s_or_b32 exec_lo, exec_lo, s73
	s_and_saveexec_b32 s31, vcc_lo
	s_cbranch_execz .LBB196_28
.LBB196_94:                             ;   in Loop: Header=BB196_29 Depth=1
	v_mov_b32_e32 v4, s72
	ds_store_b32 v4, v7
	s_branch .LBB196_28
.LBB196_95:                             ;   in Loop: Header=BB196_97 Depth=1
	s_or_b32 exec_lo, exec_lo, s5
.LBB196_96:                             ;   in Loop: Header=BB196_97 Depth=1
	s_delay_alu instid0(SALU_CYCLE_1) | instskip(SKIP_3) | instid1(VALU_DEP_2)
	s_or_b32 exec_lo, exec_lo, s4
	s_wait_loadcnt 0x0
	v_dual_mul_f64 v[6:7], v[2:3], v[6:7] :: v_dual_lshlrev_b32 v1, 3, v1
	v_add_nc_u64_e32 v[4:5], 0x400, v[4:5]
	v_add3_u32 v1, 0, v1, 0x20000
	s_delay_alu instid0(VALU_DEP_2)
	v_cmp_le_i64_e32 vcc_lo, s[2:3], v[4:5]
	s_or_b32 s1, vcc_lo, s1
	ds_add_f64 v1, v[6:7]
	s_and_not1_b32 exec_lo, exec_lo, s1
	s_cbranch_execz .LBB196_26
.LBB196_97:                             ; =>This Loop Header: Depth=1
                                        ;     Child Loop BB196_100 Depth 2
	v_lshl_add_u64 v[6:7], v[4:5], 2, s[38:39]
	s_mov_b32 s4, exec_lo
	global_load_b32 v1, v[6:7], off
	s_wait_xcnt 0x0
	v_lshl_add_u64 v[6:7], v[4:5], 3, s[40:41]
	global_load_b64 v[6:7], v[6:7], off
	s_wait_loadcnt 0x1
	v_subrev_nc_u32_e32 v8, s47, v1
	s_delay_alu instid0(VALU_DEP_1) | instskip(NEXT) | instid1(VALU_DEP_1)
	v_mul_lo_u32 v1, 0x89, v8
	v_and_b32_e32 v1, 0x7fff, v1
	s_delay_alu instid0(VALU_DEP_1)
	v_lshl_add_u32 v9, v1, 2, 0
	ds_load_b32 v10, v9
	s_wait_dscnt 0x0
	s_wait_xcnt 0x0
	v_cmpx_ne_u32_e64 v10, v8
	s_cbranch_execz .LBB196_96
; %bb.98:                               ;   in Loop: Header=BB196_97 Depth=1
	s_mov_b32 s5, 0
	s_branch .LBB196_100
.LBB196_99:                             ;   in Loop: Header=BB196_100 Depth=2
	s_or_b32 exec_lo, exec_lo, s8
	s_delay_alu instid0(SALU_CYCLE_1) | instskip(NEXT) | instid1(SALU_CYCLE_1)
	s_and_b32 s6, exec_lo, s7
	s_or_b32 s5, s6, s5
	s_delay_alu instid0(SALU_CYCLE_1)
	s_and_not1_b32 exec_lo, exec_lo, s5
	s_cbranch_execz .LBB196_95
.LBB196_100:                            ;   Parent Loop BB196_97 Depth=1
                                        ; =>  This Inner Loop Header: Depth=2
	s_mov_b32 s6, 0
	s_mov_b32 s7, exec_lo
	v_cmpx_ne_u32_e64 s33, v10
	s_xor_b32 s7, exec_lo, s7
	s_cbranch_execz .LBB196_102
; %bb.101:                              ;   in Loop: Header=BB196_100 Depth=2
	v_add_nc_u32_e32 v1, 1, v1
	s_mov_b32 s6, exec_lo
                                        ; implicit-def: $vgpr9
	s_delay_alu instid0(VALU_DEP_1)
	v_and_b32_e32 v1, 0x7fff, v1
	s_and_not1_saveexec_b32 s7, s7
	s_cbranch_execz .LBB196_104
	s_branch .LBB196_103
.LBB196_102:                            ;   in Loop: Header=BB196_100 Depth=2
	s_and_not1_saveexec_b32 s7, s7
	s_cbranch_execz .LBB196_104
.LBB196_103:                            ;   in Loop: Header=BB196_100 Depth=2
	v_mov_b32_e32 v10, s33
	s_and_not1_b32 s6, s6, exec_lo
	ds_cmpstore_rtn_b32 v9, v9, v8, v10
	s_wait_dscnt 0x0
	v_cmp_ne_u32_e32 vcc_lo, s33, v9
	s_and_b32 s8, vcc_lo, exec_lo
	s_delay_alu instid0(SALU_CYCLE_1)
	s_or_b32 s6, s6, s8
.LBB196_104:                            ;   in Loop: Header=BB196_100 Depth=2
	s_or_b32 exec_lo, exec_lo, s7
	s_mov_b32 s7, -1
                                        ; implicit-def: $vgpr9
                                        ; implicit-def: $vgpr10
	s_and_saveexec_b32 s8, s6
	s_cbranch_execz .LBB196_99
; %bb.105:                              ;   in Loop: Header=BB196_100 Depth=2
	v_lshl_add_u32 v9, v1, 2, 0
	ds_load_b32 v10, v9
	s_wait_dscnt 0x0
	v_cmp_eq_u32_e32 vcc_lo, v10, v8
	s_or_not1_b32 s7, vcc_lo, exec_lo
	s_branch .LBB196_99
.LBB196_106:
	s_or_b32 exec_lo, exec_lo, s36
	s_wait_kmcnt 0x0
	s_ashr_i32 s49, s48, 31
	s_delay_alu instid0(SALU_CYCLE_1) | instskip(NEXT) | instid1(SALU_CYCLE_1)
	s_lshl_b64 s[0:1], s[48:49], 3
	s_add_nc_u64 s[4:5], s[42:43], s[0:1]
	s_load_b128 s[0:3], s[4:5], 0x0
	s_wait_xcnt 0x0
	s_mov_b32 s4, exec_lo
	s_wait_kmcnt 0x0
	s_sub_co_i32 s3, s2, s0
	s_delay_alu instid0(SALU_CYCLE_1)
	v_cmpx_gt_i32_e64 s3, v0
	s_cbranch_execz .LBB196_116
; %bb.107:
	s_sub_co_i32 s4, s0, s2
	s_and_b32 s2, s3, 7
	s_cmp_lt_u32 s4, -7
	s_mov_b32 s47, 0
	s_cselect_b32 s4, -1, 0
	s_and_b32 s5, s3, -8
	s_cmp_lg_u32 s2, 0
	s_sub_nc_u64 s[0:1], s[0:1], s[46:47]
	s_cselect_b32 s6, -1, 0
	s_mov_b32 s7, 0
	s_branch .LBB196_109
.LBB196_108:                            ;   in Loop: Header=BB196_109 Depth=1
	v_add_nc_u32_e32 v0, 0x400, v0
	s_delay_alu instid0(VALU_DEP_2) | instskip(NEXT) | instid1(VALU_DEP_2)
	v_lshl_add_u64 v[4:5], v[4:5], 3, s[34:35]
	v_cmp_le_i32_e32 vcc_lo, s3, v0
	s_wait_dscnt 0x0
	global_store_b64 v[4:5], v[2:3], off
	s_or_b32 s7, vcc_lo, s7
	s_wait_xcnt 0x0
	s_and_not1_b32 exec_lo, exec_lo, s7
	s_cbranch_execz .LBB196_116
.LBB196_109:                            ; =>This Loop Header: Depth=1
                                        ;     Child Loop BB196_111 Depth 2
                                        ;     Child Loop BB196_115 Depth 2
	v_lshlrev_b32_e32 v1, 3, v0
	v_lshl_add_u32 v2, v0, 2, 0
	v_mov_b64_e32 v[4:5], s[0:1]
	s_and_not1_b32 vcc_lo, exec_lo, s4
	s_mov_b32 s8, 0
	v_add3_u32 v3, 0, v1, 0x20000
	ds_load_b32 v1, v2
	ds_load_b64 v[2:3], v3
	s_cbranch_vccnz .LBB196_113
; %bb.110:                              ;   in Loop: Header=BB196_109 Depth=1
	v_mov_b64_e32 v[4:5], s[0:1]
	s_mov_b32 s9, 0
.LBB196_111:                            ;   Parent Loop BB196_109 Depth=1
                                        ; =>  This Inner Loop Header: Depth=2
	s_delay_alu instid0(SALU_CYCLE_1)
	v_dual_mov_b32 v10, s9 :: v_dual_mov_b32 v11, s47
	v_mov_b32_e32 v17, s47
	s_add_co_i32 s8, s8, 8
	s_add_co_i32 s9, s9, 32
	ds_load_2addr_b32 v[6:7], v10 offset1:1
	ds_load_2addr_b32 v[8:9], v10 offset0:2 offset1:3
	ds_load_2addr_b32 v[12:13], v10 offset0:4 offset1:5
	;; [unrolled: 1-line block ×3, first 2 shown]
	s_cmp_eq_u32 s5, s8
	s_wait_dscnt 0x3
	v_cmp_gt_i32_e32 vcc_lo, v1, v6
	v_cndmask_b32_e64 v10, 0, 1, vcc_lo
	v_cmp_gt_i32_e32 vcc_lo, v1, v7
	v_mov_b32_e32 v7, s47
	s_delay_alu instid0(VALU_DEP_3) | instskip(SKIP_4) | instid1(VALU_DEP_3)
	v_add_nc_u64_e32 v[4:5], v[4:5], v[10:11]
	v_cndmask_b32_e64 v16, 0, 1, vcc_lo
	s_wait_dscnt 0x2
	v_cmp_gt_i32_e32 vcc_lo, v1, v8
	v_cndmask_b32_e64 v6, 0, 1, vcc_lo
	v_add_nc_u64_e32 v[4:5], v[4:5], v[16:17]
	v_cmp_gt_i32_e32 vcc_lo, v1, v9
	v_mov_b32_e32 v9, s47
	v_cndmask_b32_e64 v10, 0, 1, vcc_lo
	s_delay_alu instid0(VALU_DEP_4) | instskip(SKIP_3) | instid1(VALU_DEP_3)
	v_add_nc_u64_e32 v[4:5], v[4:5], v[6:7]
	s_wait_dscnt 0x1
	v_cmp_gt_i32_e32 vcc_lo, v1, v12
	v_cndmask_b32_e64 v6, 0, 1, vcc_lo
	v_add_nc_u64_e32 v[4:5], v[4:5], v[10:11]
	v_cmp_gt_i32_e32 vcc_lo, v1, v13
	v_cndmask_b32_e64 v8, 0, 1, vcc_lo
	s_delay_alu instid0(VALU_DEP_3) | instskip(SKIP_3) | instid1(VALU_DEP_3)
	v_add_nc_u64_e32 v[4:5], v[4:5], v[6:7]
	s_wait_dscnt 0x0
	v_cmp_gt_i32_e32 vcc_lo, v1, v14
	v_cndmask_b32_e64 v6, 0, 1, vcc_lo
	v_add_nc_u64_e32 v[4:5], v[4:5], v[8:9]
	v_cmp_gt_i32_e32 vcc_lo, v1, v15
	v_cndmask_b32_e64 v8, 0, 1, vcc_lo
	s_delay_alu instid0(VALU_DEP_3) | instskip(NEXT) | instid1(VALU_DEP_1)
	v_add_nc_u64_e32 v[4:5], v[4:5], v[6:7]
	v_add_nc_u64_e32 v[4:5], v[4:5], v[8:9]
	s_cbranch_scc0 .LBB196_111
; %bb.112:                              ;   in Loop: Header=BB196_109 Depth=1
	s_mov_b32 s8, s5
.LBB196_113:                            ;   in Loop: Header=BB196_109 Depth=1
	s_and_not1_b32 vcc_lo, exec_lo, s6
	s_cbranch_vccnz .LBB196_108
; %bb.114:                              ;   in Loop: Header=BB196_109 Depth=1
	s_lshl_b32 s8, s8, 2
	s_mov_b32 s9, s2
	s_add_co_i32 s8, s8, 0
.LBB196_115:                            ;   Parent Loop BB196_109 Depth=1
                                        ; =>  This Inner Loop Header: Depth=2
	s_delay_alu instid0(SALU_CYCLE_1)
	v_dual_mov_b32 v6, s8 :: v_dual_mov_b32 v7, s47
	s_add_co_i32 s9, s9, -1
	s_add_co_i32 s8, s8, 4
	s_cmp_lg_u32 s9, 0
	ds_load_b32 v6, v6
	s_wait_dscnt 0x0
	v_cmp_gt_i32_e32 vcc_lo, v1, v6
	v_cndmask_b32_e64 v6, 0, 1, vcc_lo
	s_delay_alu instid0(VALU_DEP_1)
	v_add_nc_u64_e32 v[4:5], v[4:5], v[6:7]
	s_cbranch_scc1 .LBB196_115
	s_branch .LBB196_108
.LBB196_116:
	s_endpgm
	.section	.rodata,"a",@progbits
	.p2align	6, 0x0
	.amdhsa_kernel _ZN9rocsparseL41csrgemm_numeric_fill_block_per_row_kernelILj1024ELj64ELj32768ELj137ELj32ElidEEvT5_PKS1_S3_NS_24const_host_device_scalarIT6_EEPKT4_S3_PKS5_S9_S3_SB_S6_S9_S3_SB_S9_S3_PS5_21rocsparse_index_base_SD_SD_SD_bbb
		.amdhsa_group_segment_fixed_size 0
		.amdhsa_private_segment_fixed_size 0
		.amdhsa_kernarg_size 156
		.amdhsa_user_sgpr_count 2
		.amdhsa_user_sgpr_dispatch_ptr 0
		.amdhsa_user_sgpr_queue_ptr 0
		.amdhsa_user_sgpr_kernarg_segment_ptr 1
		.amdhsa_user_sgpr_dispatch_id 0
		.amdhsa_user_sgpr_kernarg_preload_length 0
		.amdhsa_user_sgpr_kernarg_preload_offset 0
		.amdhsa_user_sgpr_private_segment_size 0
		.amdhsa_wavefront_size32 1
		.amdhsa_uses_dynamic_stack 0
		.amdhsa_enable_private_segment 0
		.amdhsa_system_sgpr_workgroup_id_x 1
		.amdhsa_system_sgpr_workgroup_id_y 0
		.amdhsa_system_sgpr_workgroup_id_z 0
		.amdhsa_system_sgpr_workgroup_info 0
		.amdhsa_system_vgpr_workitem_id 0
		.amdhsa_next_free_vgpr 24
		.amdhsa_next_free_sgpr 74
		.amdhsa_named_barrier_count 0
		.amdhsa_reserve_vcc 1
		.amdhsa_float_round_mode_32 0
		.amdhsa_float_round_mode_16_64 0
		.amdhsa_float_denorm_mode_32 3
		.amdhsa_float_denorm_mode_16_64 3
		.amdhsa_fp16_overflow 0
		.amdhsa_memory_ordered 1
		.amdhsa_forward_progress 1
		.amdhsa_inst_pref_size 35
		.amdhsa_round_robin_scheduling 0
		.amdhsa_exception_fp_ieee_invalid_op 0
		.amdhsa_exception_fp_denorm_src 0
		.amdhsa_exception_fp_ieee_div_zero 0
		.amdhsa_exception_fp_ieee_overflow 0
		.amdhsa_exception_fp_ieee_underflow 0
		.amdhsa_exception_fp_ieee_inexact 0
		.amdhsa_exception_int_div_zero 0
	.end_amdhsa_kernel
	.section	.text._ZN9rocsparseL41csrgemm_numeric_fill_block_per_row_kernelILj1024ELj64ELj32768ELj137ELj32ElidEEvT5_PKS1_S3_NS_24const_host_device_scalarIT6_EEPKT4_S3_PKS5_S9_S3_SB_S6_S9_S3_SB_S9_S3_PS5_21rocsparse_index_base_SD_SD_SD_bbb,"axG",@progbits,_ZN9rocsparseL41csrgemm_numeric_fill_block_per_row_kernelILj1024ELj64ELj32768ELj137ELj32ElidEEvT5_PKS1_S3_NS_24const_host_device_scalarIT6_EEPKT4_S3_PKS5_S9_S3_SB_S6_S9_S3_SB_S9_S3_PS5_21rocsparse_index_base_SD_SD_SD_bbb,comdat
.Lfunc_end196:
	.size	_ZN9rocsparseL41csrgemm_numeric_fill_block_per_row_kernelILj1024ELj64ELj32768ELj137ELj32ElidEEvT5_PKS1_S3_NS_24const_host_device_scalarIT6_EEPKT4_S3_PKS5_S9_S3_SB_S6_S9_S3_SB_S9_S3_PS5_21rocsparse_index_base_SD_SD_SD_bbb, .Lfunc_end196-_ZN9rocsparseL41csrgemm_numeric_fill_block_per_row_kernelILj1024ELj64ELj32768ELj137ELj32ElidEEvT5_PKS1_S3_NS_24const_host_device_scalarIT6_EEPKT4_S3_PKS5_S9_S3_SB_S6_S9_S3_SB_S9_S3_PS5_21rocsparse_index_base_SD_SD_SD_bbb
                                        ; -- End function
	.set _ZN9rocsparseL41csrgemm_numeric_fill_block_per_row_kernelILj1024ELj64ELj32768ELj137ELj32ElidEEvT5_PKS1_S3_NS_24const_host_device_scalarIT6_EEPKT4_S3_PKS5_S9_S3_SB_S6_S9_S3_SB_S9_S3_PS5_21rocsparse_index_base_SD_SD_SD_bbb.num_vgpr, 24
	.set _ZN9rocsparseL41csrgemm_numeric_fill_block_per_row_kernelILj1024ELj64ELj32768ELj137ELj32ElidEEvT5_PKS1_S3_NS_24const_host_device_scalarIT6_EEPKT4_S3_PKS5_S9_S3_SB_S6_S9_S3_SB_S9_S3_PS5_21rocsparse_index_base_SD_SD_SD_bbb.num_agpr, 0
	.set _ZN9rocsparseL41csrgemm_numeric_fill_block_per_row_kernelILj1024ELj64ELj32768ELj137ELj32ElidEEvT5_PKS1_S3_NS_24const_host_device_scalarIT6_EEPKT4_S3_PKS5_S9_S3_SB_S6_S9_S3_SB_S9_S3_PS5_21rocsparse_index_base_SD_SD_SD_bbb.numbered_sgpr, 74
	.set _ZN9rocsparseL41csrgemm_numeric_fill_block_per_row_kernelILj1024ELj64ELj32768ELj137ELj32ElidEEvT5_PKS1_S3_NS_24const_host_device_scalarIT6_EEPKT4_S3_PKS5_S9_S3_SB_S6_S9_S3_SB_S9_S3_PS5_21rocsparse_index_base_SD_SD_SD_bbb.num_named_barrier, 0
	.set _ZN9rocsparseL41csrgemm_numeric_fill_block_per_row_kernelILj1024ELj64ELj32768ELj137ELj32ElidEEvT5_PKS1_S3_NS_24const_host_device_scalarIT6_EEPKT4_S3_PKS5_S9_S3_SB_S6_S9_S3_SB_S9_S3_PS5_21rocsparse_index_base_SD_SD_SD_bbb.private_seg_size, 0
	.set _ZN9rocsparseL41csrgemm_numeric_fill_block_per_row_kernelILj1024ELj64ELj32768ELj137ELj32ElidEEvT5_PKS1_S3_NS_24const_host_device_scalarIT6_EEPKT4_S3_PKS5_S9_S3_SB_S6_S9_S3_SB_S9_S3_PS5_21rocsparse_index_base_SD_SD_SD_bbb.uses_vcc, 1
	.set _ZN9rocsparseL41csrgemm_numeric_fill_block_per_row_kernelILj1024ELj64ELj32768ELj137ELj32ElidEEvT5_PKS1_S3_NS_24const_host_device_scalarIT6_EEPKT4_S3_PKS5_S9_S3_SB_S6_S9_S3_SB_S9_S3_PS5_21rocsparse_index_base_SD_SD_SD_bbb.uses_flat_scratch, 0
	.set _ZN9rocsparseL41csrgemm_numeric_fill_block_per_row_kernelILj1024ELj64ELj32768ELj137ELj32ElidEEvT5_PKS1_S3_NS_24const_host_device_scalarIT6_EEPKT4_S3_PKS5_S9_S3_SB_S6_S9_S3_SB_S9_S3_PS5_21rocsparse_index_base_SD_SD_SD_bbb.has_dyn_sized_stack, 0
	.set _ZN9rocsparseL41csrgemm_numeric_fill_block_per_row_kernelILj1024ELj64ELj32768ELj137ELj32ElidEEvT5_PKS1_S3_NS_24const_host_device_scalarIT6_EEPKT4_S3_PKS5_S9_S3_SB_S6_S9_S3_SB_S9_S3_PS5_21rocsparse_index_base_SD_SD_SD_bbb.has_recursion, 0
	.set _ZN9rocsparseL41csrgemm_numeric_fill_block_per_row_kernelILj1024ELj64ELj32768ELj137ELj32ElidEEvT5_PKS1_S3_NS_24const_host_device_scalarIT6_EEPKT4_S3_PKS5_S9_S3_SB_S6_S9_S3_SB_S9_S3_PS5_21rocsparse_index_base_SD_SD_SD_bbb.has_indirect_call, 0
	.section	.AMDGPU.csdata,"",@progbits
; Kernel info:
; codeLenInByte = 4480
; TotalNumSgprs: 76
; NumVgprs: 24
; ScratchSize: 0
; MemoryBound: 0
; FloatMode: 240
; IeeeMode: 1
; LDSByteSize: 0 bytes/workgroup (compile time only)
; SGPRBlocks: 0
; VGPRBlocks: 1
; NumSGPRsForWavesPerEU: 76
; NumVGPRsForWavesPerEU: 24
; NamedBarCnt: 0
; Occupancy: 16
; WaveLimiterHint : 1
; COMPUTE_PGM_RSRC2:SCRATCH_EN: 0
; COMPUTE_PGM_RSRC2:USER_SGPR: 2
; COMPUTE_PGM_RSRC2:TRAP_HANDLER: 0
; COMPUTE_PGM_RSRC2:TGID_X_EN: 1
; COMPUTE_PGM_RSRC2:TGID_Y_EN: 0
; COMPUTE_PGM_RSRC2:TGID_Z_EN: 0
; COMPUTE_PGM_RSRC2:TIDIG_COMP_CNT: 0
	.section	.text._ZN9rocsparseL41csrgemm_numeric_fill_block_per_row_kernelILj1024ELj64ELj32768ELj137ELj64ElidEEvT5_PKS1_S3_NS_24const_host_device_scalarIT6_EEPKT4_S3_PKS5_S9_S3_SB_S6_S9_S3_SB_S9_S3_PS5_21rocsparse_index_base_SD_SD_SD_bbb,"axG",@progbits,_ZN9rocsparseL41csrgemm_numeric_fill_block_per_row_kernelILj1024ELj64ELj32768ELj137ELj64ElidEEvT5_PKS1_S3_NS_24const_host_device_scalarIT6_EEPKT4_S3_PKS5_S9_S3_SB_S6_S9_S3_SB_S9_S3_PS5_21rocsparse_index_base_SD_SD_SD_bbb,comdat
	.globl	_ZN9rocsparseL41csrgemm_numeric_fill_block_per_row_kernelILj1024ELj64ELj32768ELj137ELj64ElidEEvT5_PKS1_S3_NS_24const_host_device_scalarIT6_EEPKT4_S3_PKS5_S9_S3_SB_S6_S9_S3_SB_S9_S3_PS5_21rocsparse_index_base_SD_SD_SD_bbb ; -- Begin function _ZN9rocsparseL41csrgemm_numeric_fill_block_per_row_kernelILj1024ELj64ELj32768ELj137ELj64ElidEEvT5_PKS1_S3_NS_24const_host_device_scalarIT6_EEPKT4_S3_PKS5_S9_S3_SB_S6_S9_S3_SB_S9_S3_PS5_21rocsparse_index_base_SD_SD_SD_bbb
	.p2align	8
	.type	_ZN9rocsparseL41csrgemm_numeric_fill_block_per_row_kernelILj1024ELj64ELj32768ELj137ELj64ElidEEvT5_PKS1_S3_NS_24const_host_device_scalarIT6_EEPKT4_S3_PKS5_S9_S3_SB_S6_S9_S3_SB_S9_S3_PS5_21rocsparse_index_base_SD_SD_SD_bbb,@function
_ZN9rocsparseL41csrgemm_numeric_fill_block_per_row_kernelILj1024ELj64ELj32768ELj137ELj64ElidEEvT5_PKS1_S3_NS_24const_host_device_scalarIT6_EEPKT4_S3_PKS5_S9_S3_SB_S6_S9_S3_SB_S9_S3_PS5_21rocsparse_index_base_SD_SD_SD_bbb: ; @_ZN9rocsparseL41csrgemm_numeric_fill_block_per_row_kernelILj1024ELj64ELj32768ELj137ELj64ElidEEvT5_PKS1_S3_NS_24const_host_device_scalarIT6_EEPKT4_S3_PKS5_S9_S3_SB_S6_S9_S3_SB_S9_S3_PS5_21rocsparse_index_base_SD_SD_SD_bbb
; %bb.0:
	s_clause 0x3
	s_load_b32 s6, s[0:1], 0x98
	s_load_b64 s[4:5], s[0:1], 0x18
	s_load_b128 s[20:23], s[0:1], 0x88
	s_load_b64 s[2:3], s[0:1], 0x50
	s_wait_kmcnt 0x0
	s_bitcmp1_b32 s6, 0
	s_cselect_b32 s37, -1, 0
	s_bitcmp1_b32 s6, 16
	s_cselect_b32 s7, -1, 0
	s_xor_b32 s8, s37, -1
	s_delay_alu instid0(SALU_CYCLE_1)
	s_or_b32 s10, s7, s8
	s_and_b32 s8, s37, exec_lo
	s_cselect_b32 s9, s5, 0
	s_cselect_b32 s8, s4, 0
	s_and_b32 vcc_lo, exec_lo, s10
	v_mov_b64_e32 v[6:7], s[8:9]
	s_cbranch_vccnz .LBB197_2
; %bb.1:
	v_mov_b32_e32 v1, 0
	flat_load_b64 v[6:7], v1, s[4:5]
.LBB197_2:
	s_load_b128 s[28:31], s[0:1], 0x8
	s_bitcmp1_b32 s6, 8
	s_cselect_b32 s36, -1, 0
	s_delay_alu instid0(SALU_CYCLE_1) | instskip(NEXT) | instid1(SALU_CYCLE_1)
	s_xor_b32 s4, s36, -1
	s_or_b32 s6, s7, s4
	s_and_b32 s4, s36, exec_lo
	s_cselect_b32 s5, s3, 0
	s_cselect_b32 s4, s2, 0
	s_and_b32 vcc_lo, exec_lo, s6
	v_mov_b64_e32 v[2:3], s[4:5]
	s_cbranch_vccnz .LBB197_4
; %bb.3:
	v_mov_b32_e32 v1, 0
	flat_load_b64 v[2:3], v1, s[2:3]
.LBB197_4:
	s_clause 0x4
	s_load_b32 s33, s[0:1], 0x0
	s_load_b64 s[34:35], s[0:1], 0x80
	s_load_b256 s[12:19], s[0:1], 0x58
	s_load_b128 s[24:27], s[0:1], 0x40
	s_load_b256 s[4:11], s[0:1], 0x20
	v_lshlrev_b32_e32 v1, 3, v0
	v_lshl_add_u32 v20, v0, 2, 0
	v_or_b32_e32 v22, 0xfffffc00, v0
	v_mov_b64_e32 v[4:5], 0
	s_wait_xcnt 0x0
	s_mov_b32 s0, 0
	v_add3_u32 v21, v1, 0, 0x20000
	v_dual_mov_b32 v1, v20 :: v_dual_mov_b32 v10, v22
	s_wait_kmcnt 0x0
	s_delay_alu instid0(VALU_DEP_2)
	v_dual_mov_b32 v8, v21 :: v_dual_mov_b32 v9, s33
.LBB197_5:                              ; =>This Inner Loop Header: Depth=1
	s_delay_alu instid0(VALU_DEP_2)
	v_add_nc_u32_e32 v10, 0x400, v10
	ds_store_b32 v1, v9
	ds_store_b64 v8, v[4:5]
	v_add_nc_u32_e32 v8, 0x2000, v8
	v_add_nc_u32_e32 v1, 0x1000, v1
	v_cmp_lt_u32_e32 vcc_lo, 0x7bff, v10
	s_or_b32 s0, vcc_lo, s0
	s_delay_alu instid0(SALU_CYCLE_1)
	s_and_not1_b32 exec_lo, exec_lo, s0
	s_cbranch_execnz .LBB197_5
; %bb.6:
	s_or_b32 exec_lo, exec_lo, s0
	s_wait_loadcnt_dscnt 0x0
	s_barrier_signal -1
	s_barrier_wait -1
	s_load_b32 s0, s[28:29], 0x0
	s_bfe_u32 s1, ttmp6, 0x4000c
	s_and_b32 s2, ttmp6, 15
	s_add_co_i32 s1, s1, 1
	s_getreg_b32 s3, hwreg(HW_REG_IB_STS2, 6, 4)
	s_mul_i32 s1, ttmp9, s1
	v_lshrrev_b32_e32 v4, 6, v0
	s_add_co_i32 s2, s2, s1
	s_cmp_eq_u32 s3, 0
	s_cselect_b32 s1, ttmp9, s2
	s_and_b32 vcc_lo, s37, exec_lo
	s_wait_kmcnt 0x0
	s_add_co_i32 s0, s0, s1
	s_mov_b32 s1, 0
	s_load_b32 s28, s[30:31], s0 offset:0x0 scale_offset
	s_cbranch_vccz .LBB197_24
; %bb.7:
	s_wait_kmcnt 0x0
	s_ashr_i32 s29, s28, 31
	v_mov_b32_e32 v5, 0
	s_lshl_b64 s[2:3], s[28:29], 3
	s_mov_b32 s0, s20
	s_add_nc_u64 s[2:3], s[4:5], s[2:3]
	s_mov_b32 s4, exec_lo
	s_load_b128 s[40:43], s[2:3], 0x0
	v_sub_nc_u64_e64 v[8:9], v[4:5], s[0:1]
	s_wait_kmcnt 0x0
	s_delay_alu instid0(VALU_DEP_1)
	v_add_nc_u64_e32 v[8:9], s[40:41], v[8:9]
	s_sub_nc_u64 s[0:1], s[42:43], s[0:1]
	s_delay_alu instid0(VALU_DEP_1) | instid1(SALU_CYCLE_1)
	v_cmpx_gt_i64_e64 s[0:1], v[8:9]
	s_cbranch_execz .LBB197_23
; %bb.8:
	v_dual_mov_b32 v11, v5 :: v_dual_bitop2_b32 v10, 63, v0 bitop3:0x40
	s_mov_b32 s3, 0
	s_mov_b32 s2, s21
	;; [unrolled: 1-line block ×3, first 2 shown]
	s_delay_alu instid0(VALU_DEP_1)
	v_sub_nc_u64_e64 v[10:11], v[10:11], s[2:3]
	s_branch .LBB197_10
.LBB197_9:                              ;   in Loop: Header=BB197_10 Depth=1
	s_or_b32 exec_lo, exec_lo, s29
	v_add_nc_u64_e32 v[8:9], 16, v[8:9]
	s_delay_alu instid0(VALU_DEP_1) | instskip(SKIP_1) | instid1(SALU_CYCLE_1)
	v_cmp_le_i64_e32 vcc_lo, s[0:1], v[8:9]
	s_or_b32 s5, vcc_lo, s5
	s_and_not1_b32 exec_lo, exec_lo, s5
	s_cbranch_execz .LBB197_23
.LBB197_10:                             ; =>This Loop Header: Depth=1
                                        ;     Child Loop BB197_14 Depth 2
                                        ;       Child Loop BB197_17 Depth 3
	v_lshl_add_u64 v[12:13], v[8:9], 2, s[6:7]
	s_mov_b32 s29, exec_lo
	global_load_b32 v1, v[12:13], off
	s_wait_loadcnt 0x0
	s_wait_xcnt 0x0
	v_subrev_nc_u32_e32 v12, s20, v1
	s_delay_alu instid0(VALU_DEP_1) | instskip(NEXT) | instid1(VALU_DEP_1)
	v_ashrrev_i32_e32 v13, 31, v12
	v_lshl_add_u64 v[12:13], v[12:13], 3, s[10:11]
	global_load_b128 v[14:17], v[12:13], off
	s_wait_loadcnt 0x0
	s_wait_xcnt 0x0
	v_sub_nc_u64_e64 v[12:13], v[16:17], s[2:3]
	v_add_nc_u64_e32 v[14:15], v[14:15], v[10:11]
	s_delay_alu instid0(VALU_DEP_1)
	v_cmpx_lt_i64_e64 v[14:15], v[12:13]
	s_cbranch_execz .LBB197_9
; %bb.11:                               ;   in Loop: Header=BB197_10 Depth=1
	v_lshl_add_u64 v[16:17], v[8:9], 3, s[8:9]
	s_mov_b32 s30, 0
	global_load_b64 v[16:17], v[16:17], off
	s_wait_loadcnt 0x0
	s_wait_xcnt 0x0
	v_mul_f64_e32 v[16:17], v[6:7], v[16:17]
	s_branch .LBB197_14
.LBB197_12:                             ;   in Loop: Header=BB197_14 Depth=2
	s_or_b32 exec_lo, exec_lo, s37
.LBB197_13:                             ;   in Loop: Header=BB197_14 Depth=2
	s_delay_alu instid0(SALU_CYCLE_1) | instskip(SKIP_3) | instid1(VALU_DEP_2)
	s_or_b32 exec_lo, exec_lo, s31
	s_wait_loadcnt 0x0
	v_dual_mul_f64 v[18:19], v[16:17], v[18:19] :: v_dual_lshlrev_b32 v1, 3, v1
	v_add_nc_u64_e32 v[14:15], 64, v[14:15]
	v_add3_u32 v1, 0, v1, 0x20000
	s_delay_alu instid0(VALU_DEP_2)
	v_cmp_ge_i64_e32 vcc_lo, v[14:15], v[12:13]
	s_or_b32 s30, vcc_lo, s30
	ds_add_f64 v1, v[18:19]
	s_and_not1_b32 exec_lo, exec_lo, s30
	s_cbranch_execz .LBB197_9
.LBB197_14:                             ;   Parent Loop BB197_10 Depth=1
                                        ; =>  This Loop Header: Depth=2
                                        ;       Child Loop BB197_17 Depth 3
	v_lshl_add_u64 v[18:19], v[14:15], 2, s[24:25]
	s_mov_b32 s31, exec_lo
	global_load_b32 v1, v[18:19], off
	s_wait_xcnt 0x0
	v_lshl_add_u64 v[18:19], v[14:15], 3, s[26:27]
	global_load_b64 v[18:19], v[18:19], off
	s_wait_loadcnt 0x1
	v_subrev_nc_u32_e32 v5, s21, v1
	s_delay_alu instid0(VALU_DEP_1) | instskip(NEXT) | instid1(VALU_DEP_1)
	v_mul_lo_u32 v1, 0x89, v5
	v_and_b32_e32 v1, 0x7fff, v1
	s_delay_alu instid0(VALU_DEP_1)
	v_lshl_add_u32 v23, v1, 2, 0
	ds_load_b32 v24, v23
	s_wait_dscnt 0x0
	s_wait_xcnt 0x0
	v_cmpx_ne_u32_e64 v24, v5
	s_cbranch_execz .LBB197_13
; %bb.15:                               ;   in Loop: Header=BB197_14 Depth=2
	s_mov_b32 s37, 0
	s_branch .LBB197_17
.LBB197_16:                             ;   in Loop: Header=BB197_17 Depth=3
	s_or_b32 exec_lo, exec_lo, s40
	s_delay_alu instid0(SALU_CYCLE_1) | instskip(NEXT) | instid1(SALU_CYCLE_1)
	s_and_b32 s38, exec_lo, s39
	s_or_b32 s37, s38, s37
	s_delay_alu instid0(SALU_CYCLE_1)
	s_and_not1_b32 exec_lo, exec_lo, s37
	s_cbranch_execz .LBB197_12
.LBB197_17:                             ;   Parent Loop BB197_10 Depth=1
                                        ;     Parent Loop BB197_14 Depth=2
                                        ; =>    This Inner Loop Header: Depth=3
	s_mov_b32 s38, 0
	s_mov_b32 s39, exec_lo
	v_cmpx_ne_u32_e64 s33, v24
	s_xor_b32 s39, exec_lo, s39
	s_cbranch_execz .LBB197_19
; %bb.18:                               ;   in Loop: Header=BB197_17 Depth=3
	v_add_nc_u32_e32 v1, 1, v1
	s_mov_b32 s38, exec_lo
                                        ; implicit-def: $vgpr23
	s_delay_alu instid0(VALU_DEP_1)
	v_and_b32_e32 v1, 0x7fff, v1
	s_and_not1_saveexec_b32 s39, s39
	s_cbranch_execz .LBB197_21
	s_branch .LBB197_20
.LBB197_19:                             ;   in Loop: Header=BB197_17 Depth=3
	s_and_not1_saveexec_b32 s39, s39
	s_cbranch_execz .LBB197_21
.LBB197_20:                             ;   in Loop: Header=BB197_17 Depth=3
	v_mov_b32_e32 v24, s33
	s_and_not1_b32 s38, s38, exec_lo
	ds_cmpstore_rtn_b32 v23, v23, v5, v24
	s_wait_dscnt 0x0
	v_cmp_ne_u32_e32 vcc_lo, s33, v23
	s_and_b32 s40, vcc_lo, exec_lo
	s_delay_alu instid0(SALU_CYCLE_1)
	s_or_b32 s38, s38, s40
.LBB197_21:                             ;   in Loop: Header=BB197_17 Depth=3
	s_or_b32 exec_lo, exec_lo, s39
	s_mov_b32 s39, -1
                                        ; implicit-def: $vgpr23
                                        ; implicit-def: $vgpr24
	s_and_saveexec_b32 s40, s38
	s_cbranch_execz .LBB197_16
; %bb.22:                               ;   in Loop: Header=BB197_17 Depth=3
	v_lshl_add_u32 v23, v1, 2, 0
	ds_load_b32 v24, v23
	s_wait_dscnt 0x0
	v_cmp_eq_u32_e32 vcc_lo, v24, v5
	s_or_not1_b32 s39, vcc_lo, exec_lo
	s_branch .LBB197_16
.LBB197_23:
	s_or_b32 exec_lo, exec_lo, s4
.LBB197_24:
	s_delay_alu instid0(SALU_CYCLE_1)
	s_and_not1_b32 vcc_lo, exec_lo, s36
	s_cbranch_vccnz .LBB197_27
; %bb.25:
	s_wait_kmcnt 0x0
	s_ashr_i32 s29, s28, 31
	v_mov_b32_e32 v1, 0
	s_lshl_b64 s[0:1], s[28:29], 3
	s_delay_alu instid0(SALU_CYCLE_1) | instskip(SKIP_4) | instid1(SALU_CYCLE_1)
	s_add_nc_u64 s[0:1], s[12:13], s[0:1]
	s_load_b128 s[4:7], s[0:1], 0x0
	s_wait_xcnt 0x0
	s_mov_b32 s1, 0
	s_mov_b32 s0, s23
	v_sub_nc_u64_e64 v[6:7], v[0:1], s[0:1]
	s_wait_kmcnt 0x0
	s_delay_alu instid0(VALU_DEP_1) | instskip(SKIP_2) | instid1(VALU_DEP_1)
	v_add_nc_u64_e32 v[6:7], s[4:5], v[6:7]
	s_sub_nc_u64 s[2:3], s[6:7], s[0:1]
	s_mov_b32 s0, exec_lo
	v_cmpx_gt_i64_e64 s[2:3], v[6:7]
	s_cbranch_execnz .LBB197_65
.LBB197_26:
	s_or_b32 exec_lo, exec_lo, s0
.LBB197_27:
	v_mbcnt_lo_u32_b32 v1, -1, 0
	v_lshlrev_b32_e32 v2, 2, v4
	s_add_co_i32 s36, 0, 0x6003c
	s_wait_xcnt 0x0
	v_cmp_lt_u32_e64 s0, 63, v0
	v_cmp_lt_u32_e64 s1, 0x7f, v0
	v_dual_mov_b32 v1, 0 :: v_dual_bitop2_b32 v4, 31, v1 bitop3:0x14
	v_mov_b32_e32 v6, s36
	v_add3_u32 v3, 0x60000, 0, v2
	v_cmp_lt_u32_e64 s2, 0xbf, v0
	s_delay_alu instid0(VALU_DEP_4)
	v_lshrrev_b32_e64 v2, v4, -1
	v_cmp_lt_u32_e64 s3, 0xff, v0
	v_cmp_lt_u32_e64 s4, 0x13f, v0
	;; [unrolled: 1-line block ×12, first 2 shown]
	s_mov_b32 s16, 0
	s_add_co_i32 s17, 0, 0x60000
	s_add_co_i32 s20, 0, 0x60004
	;; [unrolled: 1-line block ×15, first 2 shown]
	s_wait_dscnt 0x0
	s_barrier_signal -1
	s_barrier_wait -1
	v_cmp_eq_u32_e32 vcc_lo, 0x3ff, v0
	s_branch .LBB197_29
.LBB197_28:                             ;   in Loop: Header=BB197_29 Depth=1
	s_or_b32 exec_lo, exec_lo, s15
	s_wait_dscnt 0x0
	s_barrier_signal -1
	s_barrier_wait -1
	ds_load_b32 v4, v6
	v_add_nc_u32_e32 v22, 0x400, v22
	v_add_nc_u32_e32 v21, 0x2000, v21
	;; [unrolled: 1-line block ×3, first 2 shown]
	s_delay_alu instid0(VALU_DEP_3)
	v_cmp_lt_u32_e64 s15, 0x7bff, v22
	s_or_b32 s16, s15, s16
	s_wait_dscnt 0x0
	v_add_nc_u32_e32 v1, v4, v1
	s_and_not1_b32 exec_lo, exec_lo, s16
	s_cbranch_execz .LBB197_74
.LBB197_29:                             ; =>This Inner Loop Header: Depth=1
	ds_load_b32 v7, v20
	ds_load_b64 v[4:5], v21
	s_wait_dscnt 0x0
	s_barrier_signal -1
	s_barrier_wait -1
	v_cmp_gt_i32_e64 s15, s33, v7
	s_bcnt1_i32_b32 s41, s15
	s_delay_alu instid0(SALU_CYCLE_1) | instskip(NEXT) | instid1(VALU_DEP_1)
	v_dual_mov_b32 v9, s41 :: v_dual_bitop2_b32 v8, s15, v2 bitop3:0x40
	v_bcnt_u32_b32 v8, v8, 0
	ds_store_b32 v3, v9
	s_wait_dscnt 0x0
	s_barrier_signal -1
	s_barrier_wait -1
	s_and_saveexec_b32 s41, s0
	s_cbranch_execz .LBB197_46
; %bb.30:                               ;   in Loop: Header=BB197_29 Depth=1
	v_mov_b32_e32 v9, s17
	ds_load_b32 v9, v9
	s_wait_dscnt 0x0
	v_add_nc_u32_e32 v8, v9, v8
	s_or_b32 exec_lo, exec_lo, s41
	s_and_saveexec_b32 s41, s1
	s_cbranch_execnz .LBB197_47
.LBB197_31:                             ;   in Loop: Header=BB197_29 Depth=1
	s_or_b32 exec_lo, exec_lo, s41
	s_and_saveexec_b32 s41, s2
	s_cbranch_execz .LBB197_48
.LBB197_32:                             ;   in Loop: Header=BB197_29 Depth=1
	v_mov_b32_e32 v9, s21
	ds_load_b32 v9, v9
	s_wait_dscnt 0x0
	v_add_nc_u32_e32 v8, v9, v8
	s_or_b32 exec_lo, exec_lo, s41
	s_and_saveexec_b32 s41, s3
	s_cbranch_execnz .LBB197_49
.LBB197_33:                             ;   in Loop: Header=BB197_29 Depth=1
	s_or_b32 exec_lo, exec_lo, s41
	s_and_saveexec_b32 s41, s4
	s_cbranch_execz .LBB197_50
.LBB197_34:                             ;   in Loop: Header=BB197_29 Depth=1
	v_mov_b32_e32 v9, s24
	ds_load_b32 v9, v9
	s_wait_dscnt 0x0
	v_add_nc_u32_e32 v8, v9, v8
	s_or_b32 exec_lo, exec_lo, s41
	s_and_saveexec_b32 s41, s5
	s_cbranch_execnz .LBB197_51
.LBB197_35:                             ;   in Loop: Header=BB197_29 Depth=1
	s_or_b32 exec_lo, exec_lo, s41
	s_and_saveexec_b32 s41, s6
	s_cbranch_execz .LBB197_52
.LBB197_36:                             ;   in Loop: Header=BB197_29 Depth=1
	v_mov_b32_e32 v9, s26
	ds_load_b32 v9, v9
	s_wait_dscnt 0x0
	v_add_nc_u32_e32 v8, v9, v8
	s_or_b32 exec_lo, exec_lo, s41
	s_and_saveexec_b32 s41, s7
	s_cbranch_execnz .LBB197_53
.LBB197_37:                             ;   in Loop: Header=BB197_29 Depth=1
	s_or_b32 exec_lo, exec_lo, s41
	s_and_saveexec_b32 s41, s8
	s_cbranch_execz .LBB197_54
.LBB197_38:                             ;   in Loop: Header=BB197_29 Depth=1
	v_mov_b32_e32 v9, s29
	ds_load_b32 v9, v9
	s_wait_dscnt 0x0
	v_add_nc_u32_e32 v8, v9, v8
	s_or_b32 exec_lo, exec_lo, s41
	s_and_saveexec_b32 s41, s9
	s_cbranch_execnz .LBB197_55
.LBB197_39:                             ;   in Loop: Header=BB197_29 Depth=1
	s_or_b32 exec_lo, exec_lo, s41
	s_and_saveexec_b32 s41, s10
	s_cbranch_execz .LBB197_56
.LBB197_40:                             ;   in Loop: Header=BB197_29 Depth=1
	v_mov_b32_e32 v9, s31
	ds_load_b32 v9, v9
	s_wait_dscnt 0x0
	v_add_nc_u32_e32 v8, v9, v8
	s_or_b32 exec_lo, exec_lo, s41
	s_and_saveexec_b32 s41, s11
	s_cbranch_execnz .LBB197_57
.LBB197_41:                             ;   in Loop: Header=BB197_29 Depth=1
	s_or_b32 exec_lo, exec_lo, s41
	s_and_saveexec_b32 s41, s12
	s_cbranch_execz .LBB197_58
.LBB197_42:                             ;   in Loop: Header=BB197_29 Depth=1
	v_mov_b32_e32 v9, s38
	ds_load_b32 v9, v9
	s_wait_dscnt 0x0
	v_add_nc_u32_e32 v8, v9, v8
	s_or_b32 exec_lo, exec_lo, s41
	s_and_saveexec_b32 s41, s13
	s_cbranch_execnz .LBB197_59
.LBB197_43:                             ;   in Loop: Header=BB197_29 Depth=1
	s_or_b32 exec_lo, exec_lo, s41
	s_and_saveexec_b32 s41, s14
	s_cbranch_execz .LBB197_60
.LBB197_44:                             ;   in Loop: Header=BB197_29 Depth=1
	v_mov_b32_e32 v9, s40
	ds_load_b32 v9, v9
	s_wait_dscnt 0x0
	v_add_nc_u32_e32 v8, v9, v8
	s_or_b32 exec_lo, exec_lo, s41
	s_and_saveexec_b32 s41, s15
	s_cbranch_execnz .LBB197_61
.LBB197_45:                             ;   in Loop: Header=BB197_29 Depth=1
	s_or_b32 exec_lo, exec_lo, s41
	s_and_saveexec_b32 s15, vcc_lo
	s_cbranch_execz .LBB197_28
	s_branch .LBB197_62
.LBB197_46:                             ;   in Loop: Header=BB197_29 Depth=1
	s_or_b32 exec_lo, exec_lo, s41
	s_and_saveexec_b32 s41, s1
	s_cbranch_execz .LBB197_31
.LBB197_47:                             ;   in Loop: Header=BB197_29 Depth=1
	v_mov_b32_e32 v9, s20
	ds_load_b32 v9, v9
	s_wait_dscnt 0x0
	v_add_nc_u32_e32 v8, v9, v8
	s_or_b32 exec_lo, exec_lo, s41
	s_and_saveexec_b32 s41, s2
	s_cbranch_execnz .LBB197_32
.LBB197_48:                             ;   in Loop: Header=BB197_29 Depth=1
	s_or_b32 exec_lo, exec_lo, s41
	s_and_saveexec_b32 s41, s3
	s_cbranch_execz .LBB197_33
.LBB197_49:                             ;   in Loop: Header=BB197_29 Depth=1
	v_mov_b32_e32 v9, s23
	ds_load_b32 v9, v9
	s_wait_dscnt 0x0
	v_add_nc_u32_e32 v8, v9, v8
	s_or_b32 exec_lo, exec_lo, s41
	s_and_saveexec_b32 s41, s4
	s_cbranch_execnz .LBB197_34
.LBB197_50:                             ;   in Loop: Header=BB197_29 Depth=1
	s_or_b32 exec_lo, exec_lo, s41
	s_and_saveexec_b32 s41, s5
	s_cbranch_execz .LBB197_35
.LBB197_51:                             ;   in Loop: Header=BB197_29 Depth=1
	v_mov_b32_e32 v9, s25
	ds_load_b32 v9, v9
	s_wait_dscnt 0x0
	v_add_nc_u32_e32 v8, v9, v8
	s_or_b32 exec_lo, exec_lo, s41
	s_and_saveexec_b32 s41, s6
	s_cbranch_execnz .LBB197_36
.LBB197_52:                             ;   in Loop: Header=BB197_29 Depth=1
	s_or_b32 exec_lo, exec_lo, s41
	s_and_saveexec_b32 s41, s7
	s_cbranch_execz .LBB197_37
.LBB197_53:                             ;   in Loop: Header=BB197_29 Depth=1
	v_mov_b32_e32 v9, s27
	ds_load_b32 v9, v9
	s_wait_dscnt 0x0
	v_add_nc_u32_e32 v8, v9, v8
	s_or_b32 exec_lo, exec_lo, s41
	s_and_saveexec_b32 s41, s8
	s_cbranch_execnz .LBB197_38
.LBB197_54:                             ;   in Loop: Header=BB197_29 Depth=1
	s_or_b32 exec_lo, exec_lo, s41
	s_and_saveexec_b32 s41, s9
	s_cbranch_execz .LBB197_39
.LBB197_55:                             ;   in Loop: Header=BB197_29 Depth=1
	v_mov_b32_e32 v9, s30
	ds_load_b32 v9, v9
	s_wait_dscnt 0x0
	v_add_nc_u32_e32 v8, v9, v8
	s_or_b32 exec_lo, exec_lo, s41
	s_and_saveexec_b32 s41, s10
	s_cbranch_execnz .LBB197_40
.LBB197_56:                             ;   in Loop: Header=BB197_29 Depth=1
	s_or_b32 exec_lo, exec_lo, s41
	s_and_saveexec_b32 s41, s11
	s_cbranch_execz .LBB197_41
.LBB197_57:                             ;   in Loop: Header=BB197_29 Depth=1
	v_mov_b32_e32 v9, s37
	ds_load_b32 v9, v9
	s_wait_dscnt 0x0
	v_add_nc_u32_e32 v8, v9, v8
	s_or_b32 exec_lo, exec_lo, s41
	s_and_saveexec_b32 s41, s12
	s_cbranch_execnz .LBB197_42
.LBB197_58:                             ;   in Loop: Header=BB197_29 Depth=1
	s_or_b32 exec_lo, exec_lo, s41
	s_and_saveexec_b32 s41, s13
	s_cbranch_execz .LBB197_43
.LBB197_59:                             ;   in Loop: Header=BB197_29 Depth=1
	v_mov_b32_e32 v9, s39
	ds_load_b32 v9, v9
	s_wait_dscnt 0x0
	v_add_nc_u32_e32 v8, v9, v8
	s_or_b32 exec_lo, exec_lo, s41
	s_and_saveexec_b32 s41, s14
	s_cbranch_execnz .LBB197_44
.LBB197_60:                             ;   in Loop: Header=BB197_29 Depth=1
	s_or_b32 exec_lo, exec_lo, s41
	s_and_saveexec_b32 s41, s15
	s_cbranch_execz .LBB197_45
.LBB197_61:                             ;   in Loop: Header=BB197_29 Depth=1
	s_delay_alu instid0(VALU_DEP_1) | instskip(NEXT) | instid1(VALU_DEP_1)
	v_add3_u32 v9, v1, -1, v8
	v_lshlrev_b32_e32 v10, 3, v9
	v_lshl_add_u32 v9, v9, 2, 0
	s_delay_alu instid0(VALU_DEP_2)
	v_add3_u32 v10, 0, v10, 0x20000
	ds_store_b32 v9, v7
	ds_store_b64 v10, v[4:5]
	s_or_b32 exec_lo, exec_lo, s41
	s_and_saveexec_b32 s15, vcc_lo
	s_cbranch_execz .LBB197_28
.LBB197_62:                             ;   in Loop: Header=BB197_29 Depth=1
	v_mov_b32_e32 v4, s36
	ds_store_b32 v4, v8
	s_branch .LBB197_28
.LBB197_63:                             ;   in Loop: Header=BB197_65 Depth=1
	s_or_b32 exec_lo, exec_lo, s5
.LBB197_64:                             ;   in Loop: Header=BB197_65 Depth=1
	s_delay_alu instid0(SALU_CYCLE_1) | instskip(SKIP_4) | instid1(VALU_DEP_2)
	s_or_b32 exec_lo, exec_lo, s4
	s_wait_loadcnt 0x0
	v_mul_f64_e32 v[8:9], v[2:3], v[8:9]
	v_lshlrev_b32_e32 v1, 3, v1
	v_add_nc_u64_e32 v[6:7], 0x400, v[6:7]
	v_add3_u32 v1, 0, v1, 0x20000
	s_delay_alu instid0(VALU_DEP_2)
	v_cmp_le_i64_e32 vcc_lo, s[2:3], v[6:7]
	s_or_b32 s1, vcc_lo, s1
	ds_add_f64 v1, v[8:9]
	s_and_not1_b32 exec_lo, exec_lo, s1
	s_cbranch_execz .LBB197_26
.LBB197_65:                             ; =>This Loop Header: Depth=1
                                        ;     Child Loop BB197_68 Depth 2
	v_lshl_add_u64 v[8:9], v[6:7], 2, s[14:15]
	s_mov_b32 s4, exec_lo
	global_load_b32 v1, v[8:9], off
	s_wait_xcnt 0x0
	v_lshl_add_u64 v[8:9], v[6:7], 3, s[16:17]
	global_load_b64 v[8:9], v[8:9], off
	s_wait_loadcnt 0x1
	v_subrev_nc_u32_e32 v5, s23, v1
	s_delay_alu instid0(VALU_DEP_1) | instskip(NEXT) | instid1(VALU_DEP_1)
	v_mul_lo_u32 v1, 0x89, v5
	v_and_b32_e32 v1, 0x7fff, v1
	s_delay_alu instid0(VALU_DEP_1)
	v_lshl_add_u32 v10, v1, 2, 0
	ds_load_b32 v11, v10
	s_wait_dscnt 0x0
	s_wait_xcnt 0x0
	v_cmpx_ne_u32_e64 v11, v5
	s_cbranch_execz .LBB197_64
; %bb.66:                               ;   in Loop: Header=BB197_65 Depth=1
	s_mov_b32 s5, 0
	s_branch .LBB197_68
.LBB197_67:                             ;   in Loop: Header=BB197_68 Depth=2
	s_or_b32 exec_lo, exec_lo, s8
	s_delay_alu instid0(SALU_CYCLE_1) | instskip(NEXT) | instid1(SALU_CYCLE_1)
	s_and_b32 s6, exec_lo, s7
	s_or_b32 s5, s6, s5
	s_delay_alu instid0(SALU_CYCLE_1)
	s_and_not1_b32 exec_lo, exec_lo, s5
	s_cbranch_execz .LBB197_63
.LBB197_68:                             ;   Parent Loop BB197_65 Depth=1
                                        ; =>  This Inner Loop Header: Depth=2
	s_mov_b32 s6, 0
	s_mov_b32 s7, exec_lo
	v_cmpx_ne_u32_e64 s33, v11
	s_xor_b32 s7, exec_lo, s7
	s_cbranch_execz .LBB197_70
; %bb.69:                               ;   in Loop: Header=BB197_68 Depth=2
	v_add_nc_u32_e32 v1, 1, v1
	s_mov_b32 s6, exec_lo
                                        ; implicit-def: $vgpr10
	s_delay_alu instid0(VALU_DEP_1)
	v_and_b32_e32 v1, 0x7fff, v1
	s_and_not1_saveexec_b32 s7, s7
	s_cbranch_execz .LBB197_72
	s_branch .LBB197_71
.LBB197_70:                             ;   in Loop: Header=BB197_68 Depth=2
	s_and_not1_saveexec_b32 s7, s7
	s_cbranch_execz .LBB197_72
.LBB197_71:                             ;   in Loop: Header=BB197_68 Depth=2
	v_mov_b32_e32 v11, s33
	s_and_not1_b32 s6, s6, exec_lo
	ds_cmpstore_rtn_b32 v10, v10, v5, v11
	s_wait_dscnt 0x0
	v_cmp_ne_u32_e32 vcc_lo, s33, v10
	s_and_b32 s8, vcc_lo, exec_lo
	s_delay_alu instid0(SALU_CYCLE_1)
	s_or_b32 s6, s6, s8
.LBB197_72:                             ;   in Loop: Header=BB197_68 Depth=2
	s_or_b32 exec_lo, exec_lo, s7
	s_mov_b32 s7, -1
                                        ; implicit-def: $vgpr10
                                        ; implicit-def: $vgpr11
	s_and_saveexec_b32 s8, s6
	s_cbranch_execz .LBB197_67
; %bb.73:                               ;   in Loop: Header=BB197_68 Depth=2
	v_lshl_add_u32 v10, v1, 2, 0
	ds_load_b32 v11, v10
	s_wait_dscnt 0x0
	v_cmp_eq_u32_e32 vcc_lo, v11, v5
	s_or_not1_b32 s7, vcc_lo, exec_lo
	s_branch .LBB197_67
.LBB197_74:
	s_or_b32 exec_lo, exec_lo, s16
	s_wait_kmcnt 0x0
	s_ashr_i32 s29, s28, 31
	s_delay_alu instid0(SALU_CYCLE_1) | instskip(NEXT) | instid1(SALU_CYCLE_1)
	s_lshl_b64 s[0:1], s[28:29], 3
	s_add_nc_u64 s[4:5], s[18:19], s[0:1]
	s_load_b128 s[0:3], s[4:5], 0x0
	s_wait_xcnt 0x0
	s_mov_b32 s4, exec_lo
	s_wait_kmcnt 0x0
	s_sub_co_i32 s3, s2, s0
	s_delay_alu instid0(SALU_CYCLE_1)
	v_cmpx_gt_i32_e64 s3, v0
	s_cbranch_execz .LBB197_84
; %bb.75:
	s_sub_co_i32 s4, s0, s2
	s_and_b32 s2, s3, 7
	s_cmp_lt_u32 s4, -7
	s_mov_b32 s23, 0
	s_cselect_b32 s4, -1, 0
	s_and_b32 s5, s3, -8
	s_cmp_lg_u32 s2, 0
	s_sub_nc_u64 s[0:1], s[0:1], s[22:23]
	s_cselect_b32 s6, -1, 0
	s_mov_b32 s7, 0
	s_branch .LBB197_77
.LBB197_76:                             ;   in Loop: Header=BB197_77 Depth=1
	v_add_nc_u32_e32 v0, 0x400, v0
	s_delay_alu instid0(VALU_DEP_2) | instskip(NEXT) | instid1(VALU_DEP_2)
	v_lshl_add_u64 v[4:5], v[4:5], 3, s[34:35]
	v_cmp_le_i32_e32 vcc_lo, s3, v0
	s_wait_dscnt 0x0
	global_store_b64 v[4:5], v[2:3], off
	s_or_b32 s7, vcc_lo, s7
	s_wait_xcnt 0x0
	s_and_not1_b32 exec_lo, exec_lo, s7
	s_cbranch_execz .LBB197_84
.LBB197_77:                             ; =>This Loop Header: Depth=1
                                        ;     Child Loop BB197_79 Depth 2
                                        ;     Child Loop BB197_83 Depth 2
	v_lshlrev_b32_e32 v1, 3, v0
	v_lshl_add_u32 v2, v0, 2, 0
	v_mov_b64_e32 v[4:5], s[0:1]
	s_and_not1_b32 vcc_lo, exec_lo, s4
	s_mov_b32 s8, 0
	v_add3_u32 v3, 0, v1, 0x20000
	ds_load_b32 v1, v2
	ds_load_b64 v[2:3], v3
	s_cbranch_vccnz .LBB197_81
; %bb.78:                               ;   in Loop: Header=BB197_77 Depth=1
	v_mov_b64_e32 v[4:5], s[0:1]
	s_mov_b32 s9, 0
.LBB197_79:                             ;   Parent Loop BB197_77 Depth=1
                                        ; =>  This Inner Loop Header: Depth=2
	s_delay_alu instid0(SALU_CYCLE_1)
	v_dual_mov_b32 v10, s9 :: v_dual_mov_b32 v11, s23
	v_mov_b32_e32 v17, s23
	s_add_co_i32 s8, s8, 8
	s_add_co_i32 s9, s9, 32
	ds_load_2addr_b32 v[6:7], v10 offset1:1
	ds_load_2addr_b32 v[8:9], v10 offset0:2 offset1:3
	ds_load_2addr_b32 v[12:13], v10 offset0:4 offset1:5
	;; [unrolled: 1-line block ×3, first 2 shown]
	s_cmp_eq_u32 s5, s8
	s_wait_dscnt 0x3
	v_cmp_gt_i32_e32 vcc_lo, v1, v6
	v_cndmask_b32_e64 v10, 0, 1, vcc_lo
	v_cmp_gt_i32_e32 vcc_lo, v1, v7
	v_mov_b32_e32 v7, s23
	s_delay_alu instid0(VALU_DEP_3) | instskip(SKIP_4) | instid1(VALU_DEP_3)
	v_add_nc_u64_e32 v[4:5], v[4:5], v[10:11]
	v_cndmask_b32_e64 v16, 0, 1, vcc_lo
	s_wait_dscnt 0x2
	v_cmp_gt_i32_e32 vcc_lo, v1, v8
	v_cndmask_b32_e64 v6, 0, 1, vcc_lo
	v_add_nc_u64_e32 v[4:5], v[4:5], v[16:17]
	v_cmp_gt_i32_e32 vcc_lo, v1, v9
	v_mov_b32_e32 v9, s23
	v_cndmask_b32_e64 v10, 0, 1, vcc_lo
	s_delay_alu instid0(VALU_DEP_4) | instskip(SKIP_3) | instid1(VALU_DEP_3)
	v_add_nc_u64_e32 v[4:5], v[4:5], v[6:7]
	s_wait_dscnt 0x1
	v_cmp_gt_i32_e32 vcc_lo, v1, v12
	v_cndmask_b32_e64 v6, 0, 1, vcc_lo
	v_add_nc_u64_e32 v[4:5], v[4:5], v[10:11]
	v_cmp_gt_i32_e32 vcc_lo, v1, v13
	v_cndmask_b32_e64 v8, 0, 1, vcc_lo
	s_delay_alu instid0(VALU_DEP_3) | instskip(SKIP_3) | instid1(VALU_DEP_3)
	v_add_nc_u64_e32 v[4:5], v[4:5], v[6:7]
	s_wait_dscnt 0x0
	v_cmp_gt_i32_e32 vcc_lo, v1, v14
	v_cndmask_b32_e64 v6, 0, 1, vcc_lo
	v_add_nc_u64_e32 v[4:5], v[4:5], v[8:9]
	v_cmp_gt_i32_e32 vcc_lo, v1, v15
	v_cndmask_b32_e64 v8, 0, 1, vcc_lo
	s_delay_alu instid0(VALU_DEP_3) | instskip(NEXT) | instid1(VALU_DEP_1)
	v_add_nc_u64_e32 v[4:5], v[4:5], v[6:7]
	v_add_nc_u64_e32 v[4:5], v[4:5], v[8:9]
	s_cbranch_scc0 .LBB197_79
; %bb.80:                               ;   in Loop: Header=BB197_77 Depth=1
	s_mov_b32 s8, s5
.LBB197_81:                             ;   in Loop: Header=BB197_77 Depth=1
	s_and_not1_b32 vcc_lo, exec_lo, s6
	s_cbranch_vccnz .LBB197_76
; %bb.82:                               ;   in Loop: Header=BB197_77 Depth=1
	s_lshl_b32 s8, s8, 2
	s_mov_b32 s9, s2
	s_add_co_i32 s8, s8, 0
.LBB197_83:                             ;   Parent Loop BB197_77 Depth=1
                                        ; =>  This Inner Loop Header: Depth=2
	s_delay_alu instid0(SALU_CYCLE_1)
	v_dual_mov_b32 v6, s8 :: v_dual_mov_b32 v7, s23
	s_add_co_i32 s9, s9, -1
	s_add_co_i32 s8, s8, 4
	s_cmp_lg_u32 s9, 0
	ds_load_b32 v6, v6
	s_wait_dscnt 0x0
	v_cmp_gt_i32_e32 vcc_lo, v1, v6
	v_cndmask_b32_e64 v6, 0, 1, vcc_lo
	s_delay_alu instid0(VALU_DEP_1)
	v_add_nc_u64_e32 v[4:5], v[4:5], v[6:7]
	s_cbranch_scc1 .LBB197_83
	s_branch .LBB197_76
.LBB197_84:
	s_endpgm
	.section	.rodata,"a",@progbits
	.p2align	6, 0x0
	.amdhsa_kernel _ZN9rocsparseL41csrgemm_numeric_fill_block_per_row_kernelILj1024ELj64ELj32768ELj137ELj64ElidEEvT5_PKS1_S3_NS_24const_host_device_scalarIT6_EEPKT4_S3_PKS5_S9_S3_SB_S6_S9_S3_SB_S9_S3_PS5_21rocsparse_index_base_SD_SD_SD_bbb
		.amdhsa_group_segment_fixed_size 0
		.amdhsa_private_segment_fixed_size 0
		.amdhsa_kernarg_size 156
		.amdhsa_user_sgpr_count 2
		.amdhsa_user_sgpr_dispatch_ptr 0
		.amdhsa_user_sgpr_queue_ptr 0
		.amdhsa_user_sgpr_kernarg_segment_ptr 1
		.amdhsa_user_sgpr_dispatch_id 0
		.amdhsa_user_sgpr_kernarg_preload_length 0
		.amdhsa_user_sgpr_kernarg_preload_offset 0
		.amdhsa_user_sgpr_private_segment_size 0
		.amdhsa_wavefront_size32 1
		.amdhsa_uses_dynamic_stack 0
		.amdhsa_enable_private_segment 0
		.amdhsa_system_sgpr_workgroup_id_x 1
		.amdhsa_system_sgpr_workgroup_id_y 0
		.amdhsa_system_sgpr_workgroup_id_z 0
		.amdhsa_system_sgpr_workgroup_info 0
		.amdhsa_system_vgpr_workitem_id 0
		.amdhsa_next_free_vgpr 25
		.amdhsa_next_free_sgpr 44
		.amdhsa_named_barrier_count 0
		.amdhsa_reserve_vcc 1
		.amdhsa_float_round_mode_32 0
		.amdhsa_float_round_mode_16_64 0
		.amdhsa_float_denorm_mode_32 3
		.amdhsa_float_denorm_mode_16_64 3
		.amdhsa_fp16_overflow 0
		.amdhsa_memory_ordered 1
		.amdhsa_forward_progress 1
		.amdhsa_inst_pref_size 28
		.amdhsa_round_robin_scheduling 0
		.amdhsa_exception_fp_ieee_invalid_op 0
		.amdhsa_exception_fp_denorm_src 0
		.amdhsa_exception_fp_ieee_div_zero 0
		.amdhsa_exception_fp_ieee_overflow 0
		.amdhsa_exception_fp_ieee_underflow 0
		.amdhsa_exception_fp_ieee_inexact 0
		.amdhsa_exception_int_div_zero 0
	.end_amdhsa_kernel
	.section	.text._ZN9rocsparseL41csrgemm_numeric_fill_block_per_row_kernelILj1024ELj64ELj32768ELj137ELj64ElidEEvT5_PKS1_S3_NS_24const_host_device_scalarIT6_EEPKT4_S3_PKS5_S9_S3_SB_S6_S9_S3_SB_S9_S3_PS5_21rocsparse_index_base_SD_SD_SD_bbb,"axG",@progbits,_ZN9rocsparseL41csrgemm_numeric_fill_block_per_row_kernelILj1024ELj64ELj32768ELj137ELj64ElidEEvT5_PKS1_S3_NS_24const_host_device_scalarIT6_EEPKT4_S3_PKS5_S9_S3_SB_S6_S9_S3_SB_S9_S3_PS5_21rocsparse_index_base_SD_SD_SD_bbb,comdat
.Lfunc_end197:
	.size	_ZN9rocsparseL41csrgemm_numeric_fill_block_per_row_kernelILj1024ELj64ELj32768ELj137ELj64ElidEEvT5_PKS1_S3_NS_24const_host_device_scalarIT6_EEPKT4_S3_PKS5_S9_S3_SB_S6_S9_S3_SB_S9_S3_PS5_21rocsparse_index_base_SD_SD_SD_bbb, .Lfunc_end197-_ZN9rocsparseL41csrgemm_numeric_fill_block_per_row_kernelILj1024ELj64ELj32768ELj137ELj64ElidEEvT5_PKS1_S3_NS_24const_host_device_scalarIT6_EEPKT4_S3_PKS5_S9_S3_SB_S6_S9_S3_SB_S9_S3_PS5_21rocsparse_index_base_SD_SD_SD_bbb
                                        ; -- End function
	.set _ZN9rocsparseL41csrgemm_numeric_fill_block_per_row_kernelILj1024ELj64ELj32768ELj137ELj64ElidEEvT5_PKS1_S3_NS_24const_host_device_scalarIT6_EEPKT4_S3_PKS5_S9_S3_SB_S6_S9_S3_SB_S9_S3_PS5_21rocsparse_index_base_SD_SD_SD_bbb.num_vgpr, 25
	.set _ZN9rocsparseL41csrgemm_numeric_fill_block_per_row_kernelILj1024ELj64ELj32768ELj137ELj64ElidEEvT5_PKS1_S3_NS_24const_host_device_scalarIT6_EEPKT4_S3_PKS5_S9_S3_SB_S6_S9_S3_SB_S9_S3_PS5_21rocsparse_index_base_SD_SD_SD_bbb.num_agpr, 0
	.set _ZN9rocsparseL41csrgemm_numeric_fill_block_per_row_kernelILj1024ELj64ELj32768ELj137ELj64ElidEEvT5_PKS1_S3_NS_24const_host_device_scalarIT6_EEPKT4_S3_PKS5_S9_S3_SB_S6_S9_S3_SB_S9_S3_PS5_21rocsparse_index_base_SD_SD_SD_bbb.numbered_sgpr, 44
	.set _ZN9rocsparseL41csrgemm_numeric_fill_block_per_row_kernelILj1024ELj64ELj32768ELj137ELj64ElidEEvT5_PKS1_S3_NS_24const_host_device_scalarIT6_EEPKT4_S3_PKS5_S9_S3_SB_S6_S9_S3_SB_S9_S3_PS5_21rocsparse_index_base_SD_SD_SD_bbb.num_named_barrier, 0
	.set _ZN9rocsparseL41csrgemm_numeric_fill_block_per_row_kernelILj1024ELj64ELj32768ELj137ELj64ElidEEvT5_PKS1_S3_NS_24const_host_device_scalarIT6_EEPKT4_S3_PKS5_S9_S3_SB_S6_S9_S3_SB_S9_S3_PS5_21rocsparse_index_base_SD_SD_SD_bbb.private_seg_size, 0
	.set _ZN9rocsparseL41csrgemm_numeric_fill_block_per_row_kernelILj1024ELj64ELj32768ELj137ELj64ElidEEvT5_PKS1_S3_NS_24const_host_device_scalarIT6_EEPKT4_S3_PKS5_S9_S3_SB_S6_S9_S3_SB_S9_S3_PS5_21rocsparse_index_base_SD_SD_SD_bbb.uses_vcc, 1
	.set _ZN9rocsparseL41csrgemm_numeric_fill_block_per_row_kernelILj1024ELj64ELj32768ELj137ELj64ElidEEvT5_PKS1_S3_NS_24const_host_device_scalarIT6_EEPKT4_S3_PKS5_S9_S3_SB_S6_S9_S3_SB_S9_S3_PS5_21rocsparse_index_base_SD_SD_SD_bbb.uses_flat_scratch, 0
	.set _ZN9rocsparseL41csrgemm_numeric_fill_block_per_row_kernelILj1024ELj64ELj32768ELj137ELj64ElidEEvT5_PKS1_S3_NS_24const_host_device_scalarIT6_EEPKT4_S3_PKS5_S9_S3_SB_S6_S9_S3_SB_S9_S3_PS5_21rocsparse_index_base_SD_SD_SD_bbb.has_dyn_sized_stack, 0
	.set _ZN9rocsparseL41csrgemm_numeric_fill_block_per_row_kernelILj1024ELj64ELj32768ELj137ELj64ElidEEvT5_PKS1_S3_NS_24const_host_device_scalarIT6_EEPKT4_S3_PKS5_S9_S3_SB_S6_S9_S3_SB_S9_S3_PS5_21rocsparse_index_base_SD_SD_SD_bbb.has_recursion, 0
	.set _ZN9rocsparseL41csrgemm_numeric_fill_block_per_row_kernelILj1024ELj64ELj32768ELj137ELj64ElidEEvT5_PKS1_S3_NS_24const_host_device_scalarIT6_EEPKT4_S3_PKS5_S9_S3_SB_S6_S9_S3_SB_S9_S3_PS5_21rocsparse_index_base_SD_SD_SD_bbb.has_indirect_call, 0
	.section	.AMDGPU.csdata,"",@progbits
; Kernel info:
; codeLenInByte = 3464
; TotalNumSgprs: 46
; NumVgprs: 25
; ScratchSize: 0
; MemoryBound: 0
; FloatMode: 240
; IeeeMode: 1
; LDSByteSize: 0 bytes/workgroup (compile time only)
; SGPRBlocks: 0
; VGPRBlocks: 1
; NumSGPRsForWavesPerEU: 46
; NumVGPRsForWavesPerEU: 25
; NamedBarCnt: 0
; Occupancy: 16
; WaveLimiterHint : 1
; COMPUTE_PGM_RSRC2:SCRATCH_EN: 0
; COMPUTE_PGM_RSRC2:USER_SGPR: 2
; COMPUTE_PGM_RSRC2:TRAP_HANDLER: 0
; COMPUTE_PGM_RSRC2:TGID_X_EN: 1
; COMPUTE_PGM_RSRC2:TGID_Y_EN: 0
; COMPUTE_PGM_RSRC2:TGID_Z_EN: 0
; COMPUTE_PGM_RSRC2:TIDIG_COMP_CNT: 0
	.section	.text._ZN9rocsparseL51csrgemm_numeric_fill_block_per_row_multipass_kernelILj512ELj16ELj2048ELj32ElidEEvT4_PKS1_S3_NS_24const_host_device_scalarIT5_EEPKT3_S3_PKS5_S9_S3_SB_S6_S9_S3_SB_S9_S3_PS5_PS7_21rocsparse_index_base_SE_SE_SE_bbb,"axG",@progbits,_ZN9rocsparseL51csrgemm_numeric_fill_block_per_row_multipass_kernelILj512ELj16ELj2048ELj32ElidEEvT4_PKS1_S3_NS_24const_host_device_scalarIT5_EEPKT3_S3_PKS5_S9_S3_SB_S6_S9_S3_SB_S9_S3_PS5_PS7_21rocsparse_index_base_SE_SE_SE_bbb,comdat
	.globl	_ZN9rocsparseL51csrgemm_numeric_fill_block_per_row_multipass_kernelILj512ELj16ELj2048ELj32ElidEEvT4_PKS1_S3_NS_24const_host_device_scalarIT5_EEPKT3_S3_PKS5_S9_S3_SB_S6_S9_S3_SB_S9_S3_PS5_PS7_21rocsparse_index_base_SE_SE_SE_bbb ; -- Begin function _ZN9rocsparseL51csrgemm_numeric_fill_block_per_row_multipass_kernelILj512ELj16ELj2048ELj32ElidEEvT4_PKS1_S3_NS_24const_host_device_scalarIT5_EEPKT3_S3_PKS5_S9_S3_SB_S6_S9_S3_SB_S9_S3_PS5_PS7_21rocsparse_index_base_SE_SE_SE_bbb
	.p2align	8
	.type	_ZN9rocsparseL51csrgemm_numeric_fill_block_per_row_multipass_kernelILj512ELj16ELj2048ELj32ElidEEvT4_PKS1_S3_NS_24const_host_device_scalarIT5_EEPKT3_S3_PKS5_S9_S3_SB_S6_S9_S3_SB_S9_S3_PS5_PS7_21rocsparse_index_base_SE_SE_SE_bbb,@function
_ZN9rocsparseL51csrgemm_numeric_fill_block_per_row_multipass_kernelILj512ELj16ELj2048ELj32ElidEEvT4_PKS1_S3_NS_24const_host_device_scalarIT5_EEPKT3_S3_PKS5_S9_S3_SB_S6_S9_S3_SB_S9_S3_PS5_PS7_21rocsparse_index_base_SE_SE_SE_bbb: ; @_ZN9rocsparseL51csrgemm_numeric_fill_block_per_row_multipass_kernelILj512ELj16ELj2048ELj32ElidEEvT4_PKS1_S3_NS_24const_host_device_scalarIT5_EEPKT3_S3_PKS5_S9_S3_SB_S6_S9_S3_SB_S9_S3_PS5_PS7_21rocsparse_index_base_SE_SE_SE_bbb
; %bb.0:
	s_clause 0x4
	s_load_b32 s10, s[0:1], 0xa0
	s_load_b64 s[8:9], s[0:1], 0x18
	s_load_b128 s[4:7], s[0:1], 0x8
	s_load_b128 s[28:31], s[0:1], 0x90
	s_load_b64 s[2:3], s[0:1], 0x50
	s_wait_kmcnt 0x0
	s_bitcmp1_b32 s10, 0
	s_cselect_b32 s18, -1, 0
	s_bitcmp1_b32 s10, 16
	s_cselect_b32 s11, -1, 0
	s_xor_b32 s12, s18, -1
	s_delay_alu instid0(SALU_CYCLE_1)
	s_or_b32 s14, s11, s12
	s_and_b32 s12, s18, exec_lo
	s_cselect_b32 s13, s9, 0
	s_cselect_b32 s12, s8, 0
	s_and_b32 vcc_lo, exec_lo, s14
	v_mov_b64_e32 v[2:3], s[12:13]
	s_cbranch_vccnz .LBB198_2
; %bb.1:
	v_mov_b32_e32 v1, 0
	flat_load_b64 v[2:3], v1, s[8:9]
.LBB198_2:
	s_bitcmp1_b32 s10, 8
	s_cselect_b32 s33, -1, 0
	s_wait_xcnt 0x0
	s_xor_b32 s8, s33, -1
	s_delay_alu instid0(SALU_CYCLE_1)
	s_or_b32 s10, s11, s8
	s_and_b32 s8, s33, exec_lo
	s_cselect_b32 s9, s3, 0
	s_cselect_b32 s8, s2, 0
	s_and_b32 vcc_lo, exec_lo, s10
	v_mov_b64_e32 v[4:5], s[8:9]
	s_cbranch_vccnz .LBB198_4
; %bb.3:
	v_mov_b32_e32 v1, 0
	flat_load_b64 v[4:5], v1, s[2:3]
.LBB198_4:
	s_wait_xcnt 0x0
	s_load_b32 s2, s[4:5], 0x0
	s_bfe_u32 s3, ttmp6, 0x4000c
	s_wait_xcnt 0x0
	s_and_b32 s4, ttmp6, 15
	s_add_co_i32 s3, s3, 1
	s_getreg_b32 s5, hwreg(HW_REG_IB_STS2, 6, 4)
	s_mul_i32 s3, ttmp9, s3
	s_mov_b64 s[34:35], 0
	s_add_co_i32 s4, s4, s3
	s_cmp_eq_u32 s5, 0
	s_cselect_b32 s3, ttmp9, s4
	s_and_not1_b32 vcc_lo, exec_lo, s18
	s_mov_b64 s[4:5], 0
	s_wait_kmcnt 0x0
	s_add_co_i32 s3, s2, s3
	s_load_b64 s[8:9], s[0:1], 0x20
	s_load_b32 s2, s[6:7], s3 offset:0x0 scale_offset
	s_wait_xcnt 0x0
	s_mov_b32 s7, 0
	s_cbranch_vccz .LBB198_7
; %bb.5:
	s_and_not1_b32 vcc_lo, exec_lo, s18
	s_cbranch_vccz .LBB198_8
.LBB198_6:
	s_load_b32 s54, s[0:1], 0x0
	s_wait_kmcnt 0x0
	s_cmp_lt_i32 s54, 1
	s_cbranch_scc0 .LBB198_9
	s_branch .LBB198_62
.LBB198_7:
	s_wait_kmcnt 0x0
	s_ashr_i32 s3, s2, 31
	s_mov_b32 s6, s28
	s_lshl_b64 s[4:5], s[2:3], 3
	s_delay_alu instid0(SALU_CYCLE_1)
	s_add_nc_u64 s[4:5], s[8:9], s[4:5]
	s_load_b64 s[4:5], s[4:5], 0x0
	s_wait_kmcnt 0x0
	s_sub_nc_u64 s[4:5], s[4:5], s[6:7]
	s_and_not1_b32 vcc_lo, exec_lo, s18
	s_cbranch_vccnz .LBB198_6
.LBB198_8:
	s_wait_kmcnt 0x0
	s_ashr_i32 s3, s2, 31
	s_delay_alu instid0(SALU_CYCLE_1) | instskip(NEXT) | instid1(SALU_CYCLE_1)
	s_lshl_b64 s[6:7], s[2:3], 3
	s_add_nc_u64 s[6:7], s[8:9], s[6:7]
	s_mov_b32 s9, 0
	s_load_b64 s[6:7], s[6:7], 0x8
	s_mov_b32 s8, s28
	s_wait_kmcnt 0x0
	s_sub_nc_u64 s[34:35], s[6:7], s[8:9]
	s_load_b32 s54, s[0:1], 0x0
	s_wait_kmcnt 0x0
	s_cmp_lt_i32 s54, 1
	s_cbranch_scc1 .LBB198_62
.LBB198_9:
	s_clause 0x3
	s_load_b256 s[20:27], s[0:1], 0x58
	s_load_b256 s[36:43], s[0:1], 0x28
	s_load_b128 s[44:47], s[0:1], 0x80
	s_load_b64 s[48:49], s[0:1], 0x48
	v_mbcnt_lo_u32_b32 v12, -1, 0
	v_dual_lshrrev_b32 v6, 4, v0 :: v_dual_bitop2_b32 v1, 15, v0 bitop3:0x40
	v_dual_mov_b32 v7, 0 :: v_dual_lshrrev_b32 v14, 3, v0
	s_delay_alu instid0(VALU_DEP_3)
	v_xor_b32_e32 v15, 4, v12
	v_xor_b32_e32 v13, 8, v12
	s_wait_xcnt 0x0
	v_cmp_eq_u32_e64 s1, 15, v1
	v_add_nc_u64_e32 v[8:9], s[4:5], v[6:7]
	v_dual_mov_b32 v6, v1 :: v_dual_mov_b32 v1, v7
	v_cmp_gt_i32_e32 vcc_lo, 32, v13
	s_mov_b32 s51, 0
	s_ashr_i32 s3, s2, 31
	s_mov_b32 s52, s31
	s_mov_b32 s53, s51
	s_lshl_b64 s[56:57], s[2:3], 3
	v_sub_nc_u64_e64 v[10:11], v[0:1], s[52:53]
	v_cndmask_b32_e32 v1, v12, v13, vcc_lo
	s_wait_kmcnt 0x0
	s_add_nc_u64 s[2:3], s[26:27], s[56:57]
	v_xor_b32_e32 v17, 1, v12
	s_load_b64 s[2:3], s[2:3], 0x0
	v_cmp_gt_i32_e32 vcc_lo, 32, v15
	v_dual_lshlrev_b32 v13, 2, v1 :: v_dual_bitop2_b32 v16, 2, v12 bitop3:0x14
	s_mov_b32 s50, s30
	v_cmp_eq_u32_e64 s0, 0, v0
	v_dual_cndmask_b32 v15, v12, v15, vcc_lo :: v_dual_bitop2_b32 v18, 31, v12 bitop3:0x14
	s_delay_alu instid0(VALU_DEP_3) | instskip(SKIP_2) | instid1(VALU_DEP_4)
	v_cmp_gt_i32_e32 vcc_lo, 32, v16
	v_cmp_gt_u32_e64 s4, 64, v0
	v_cmp_gt_u32_e64 s5, 0x60, v0
	v_lshlrev_b32_e32 v34, 2, v15
	v_cmp_gt_u32_e64 s6, 0x80, v0
	v_cndmask_b32_e32 v16, v12, v16, vcc_lo
	v_cmp_gt_i32_e32 vcc_lo, 32, v17
	v_cmp_gt_u32_e64 s7, 0xa0, v0
	v_cmp_gt_u32_e64 s8, 0xc0, v0
	;; [unrolled: 1-line block ×3, first 2 shown]
	v_dual_cndmask_b32 v17, v12, v17, vcc_lo :: v_dual_bitop2_b32 v37, 60, v14 bitop3:0x40
	v_cmp_gt_i64_e32 vcc_lo, s[34:35], v[8:9]
	s_wait_kmcnt 0x0
	s_sub_nc_u64 s[26:27], s[2:3], s[50:51]
	v_cmp_eq_u32_e64 s2, 0x1ff, v0
	v_cmp_gt_u32_e64 s3, 32, v0
	v_dual_lshlrev_b32 v36, 2, v17 :: v_dual_lshlrev_b32 v35, 2, v16
	v_cmp_gt_u32_e64 s10, 0x100, v0
	v_cmp_gt_u32_e64 s11, 0x120, v0
	;; [unrolled: 1-line block ×8, first 2 shown]
	v_or_b32_e32 v38, 0xfffffe00, v0
	v_dual_mov_b32 v42, 0x800 :: v_dual_lshlrev_b32 v39, 3, v0
	v_mov_b64_e32 v[0:1], s[26:27]
	v_mov_b64_e32 v[14:15], 0
	v_lshrrev_b32_e64 v12, v18, -1
	v_dual_mov_b32 v40, 1 :: v_dual_mov_b32 v41, v7
	s_mov_b32 s50, s29
	s_add_nc_u64 s[26:27], s[20:21], s[56:57]
	s_and_b32 s30, s18, vcc_lo
	s_branch .LBB198_11
.LBB198_10:                             ;   in Loop: Header=BB198_11 Depth=1
	s_or_b32 exec_lo, exec_lo, s18
	ds_load_b32 v41, v7 offset:18432
	s_wait_dscnt 0x0
	s_barrier_signal -1
	s_barrier_wait -1
	v_cmp_le_i32_e32 vcc_lo, s54, v41
	v_add_nc_u32_e32 v42, 0x800, v41
	s_cbranch_vccnz .LBB198_62
.LBB198_11:                             ; =>This Loop Header: Depth=1
                                        ;     Child Loop BB198_12 Depth 2
                                        ;     Child Loop BB198_18 Depth 2
                                        ;       Child Loop BB198_24 Depth 3
                                        ;     Child Loop BB198_41 Depth 2
                                        ;     Child Loop BB198_53 Depth 2
	;; [unrolled: 1-line block ×3, first 2 shown]
	v_dual_mov_b32 v16, v39 :: v_dual_mov_b32 v17, v38
	s_mov_b32 s18, 0
.LBB198_12:                             ;   Parent Loop BB198_11 Depth=1
                                        ; =>  This Inner Loop Header: Depth=2
	ds_store_b8 v17, v7 offset:16896
	v_add_nc_u32_e32 v17, 0x200, v17
	ds_store_b64 v16, v[14:15]
	v_add_nc_u32_e32 v16, 0x1000, v16
	v_cmp_lt_u32_e32 vcc_lo, 0x5ff, v17
	s_or_b32 s18, vcc_lo, s18
	s_delay_alu instid0(SALU_CYCLE_1)
	s_and_not1_b32 exec_lo, exec_lo, s18
	s_cbranch_execnz .LBB198_12
; %bb.13:                               ;   in Loop: Header=BB198_11 Depth=1
	s_or_b32 exec_lo, exec_lo, s18
	s_and_saveexec_b32 s18, s0
; %bb.14:                               ;   in Loop: Header=BB198_11 Depth=1
	v_mov_b32_e32 v16, s54
	ds_store_b32 v7, v16 offset:18432
; %bb.15:                               ;   in Loop: Header=BB198_11 Depth=1
	s_or_b32 exec_lo, exec_lo, s18
	v_mov_b32_e32 v43, s54
	s_wait_loadcnt_dscnt 0x0
	s_barrier_signal -1
	s_barrier_wait -1
	s_and_saveexec_b32 s21, s30
	s_cbranch_execz .LBB198_37
; %bb.16:                               ;   in Loop: Header=BB198_11 Depth=1
	v_mov_b64_e32 v[16:17], v[8:9]
	v_cmp_ne_u32_e64 s18, 0, v41
	v_mov_b32_e32 v43, s54
	s_mov_b32 s55, 0
	s_branch .LBB198_18
.LBB198_17:                             ;   in Loop: Header=BB198_18 Depth=2
	s_wait_xcnt 0x0
	s_or_b32 exec_lo, exec_lo, s19
	v_add_nc_u64_e32 v[16:17], 32, v[16:17]
	s_delay_alu instid0(VALU_DEP_1) | instskip(SKIP_1) | instid1(SALU_CYCLE_1)
	v_cmp_le_i64_e32 vcc_lo, s[34:35], v[16:17]
	s_or_b32 s55, vcc_lo, s55
	s_and_not1_b32 exec_lo, exec_lo, s55
	s_cbranch_execz .LBB198_36
.LBB198_18:                             ;   Parent Loop BB198_11 Depth=1
                                        ; =>  This Loop Header: Depth=2
                                        ;       Child Loop BB198_24 Depth 3
	v_lshl_add_u64 v[18:19], v[16:17], 2, s[36:37]
	s_and_b32 vcc_lo, exec_lo, s18
	global_load_b32 v20, v[18:19], off
	s_wait_xcnt 0x0
	v_lshl_add_u64 v[18:19], v[16:17], 3, s[38:39]
	global_load_b64 v[24:25], v[18:19], off
	s_wait_xcnt 0x0
	v_lshl_add_u64 v[18:19], v[16:17], 3, s[46:47]
	s_wait_loadcnt 0x1
	v_subrev_nc_u32_e32 v20, s28, v20
	s_delay_alu instid0(VALU_DEP_1)
	v_ashrrev_i32_e32 v21, 31, v20
	s_cbranch_vccz .LBB198_35
; %bb.19:                               ;   in Loop: Header=BB198_18 Depth=2
	global_load_b64 v[26:27], v[18:19], off
	s_cbranch_execnz .LBB198_21
.LBB198_20:                             ;   in Loop: Header=BB198_18 Depth=2
	s_wait_dscnt 0x0
	global_load_b64 v[22:23], v20, s[40:41] scale_offset
	s_wait_loadcnt 0x0
	v_sub_nc_u64_e64 v[26:27], v[22:23], s[50:51]
.LBB198_21:                             ;   in Loop: Header=BB198_18 Depth=2
	s_wait_xcnt 0x0
	v_lshl_add_u64 v[20:21], v[20:21], 3, s[40:41]
	s_mov_b32 s56, exec_lo
	global_load_b64 v[20:21], v[20:21], off offset:8
	s_wait_loadcnt_dscnt 0x0
	v_sub_nc_u64_e64 v[22:23], v[20:21], s[50:51]
	s_wait_xcnt 0x0
	v_add_nc_u64_e32 v[20:21], v[26:27], v[6:7]
	s_delay_alu instid0(VALU_DEP_1)
	v_cmpx_lt_i64_e64 v[20:21], v[22:23]
	s_cbranch_execz .LBB198_33
; %bb.22:                               ;   in Loop: Header=BB198_18 Depth=2
	v_mul_f64_e32 v[24:25], v[2:3], v[24:25]
	v_mov_b64_e32 v[32:33], v[20:21]
	v_lshl_add_u64 v[26:27], v[20:21], 2, s[42:43]
	v_lshl_add_u64 v[28:29], v[20:21], 3, s[48:49]
	s_mov_b32 s58, 0
                                        ; implicit-def: $sgpr57
                                        ; implicit-def: $sgpr59
	s_branch .LBB198_24
.LBB198_23:                             ;   in Loop: Header=BB198_24 Depth=3
	s_or_b32 exec_lo, exec_lo, s60
	s_delay_alu instid0(SALU_CYCLE_1) | instskip(NEXT) | instid1(SALU_CYCLE_1)
	s_and_b32 s19, exec_lo, s20
	s_or_b32 s58, s19, s58
	s_and_not1_b32 s19, s57, exec_lo
	s_and_b32 s20, s59, exec_lo
	s_delay_alu instid0(SALU_CYCLE_1)
	s_or_b32 s57, s19, s20
	s_and_not1_b32 exec_lo, exec_lo, s58
	s_cbranch_execz .LBB198_30
.LBB198_24:                             ;   Parent Loop BB198_11 Depth=1
                                        ;     Parent Loop BB198_18 Depth=2
                                        ; =>    This Inner Loop Header: Depth=3
	global_load_b32 v30, v[26:27], off
	s_wait_loadcnt 0x0
	v_subrev_nc_u32_e32 v44, s29, v30
	v_mov_b64_e32 v[30:31], v[32:33]
	s_delay_alu instid0(VALU_DEP_2)
	v_cmp_lt_i32_e64 s19, v44, v41
	v_cmp_ge_i32_e64 s20, v44, v42
	v_cmp_lt_i32_e32 vcc_lo, v44, v42
	s_or_b32 s20, s19, s20
	s_mov_b32 s19, 0
	s_wait_xcnt 0x0
	s_and_saveexec_b32 s60, s20
	s_delay_alu instid0(SALU_CYCLE_1)
	s_xor_b32 s20, exec_lo, s60
; %bb.25:                               ;   in Loop: Header=BB198_24 Depth=3
	s_and_b32 s19, vcc_lo, exec_lo
; %bb.26:                               ;   in Loop: Header=BB198_24 Depth=3
	s_and_not1_saveexec_b32 s20, s20
	s_cbranch_execz .LBB198_28
; %bb.27:                               ;   in Loop: Header=BB198_24 Depth=3
	global_load_b64 v[32:33], v[28:29], off
	v_sub_nc_u32_e32 v45, v44, v41
	s_or_b32 s19, s19, exec_lo
	s_delay_alu instid0(VALU_DEP_1)
	v_lshlrev_b32_e32 v46, 3, v45
	ds_store_b8 v45, v40 offset:16384
	s_wait_loadcnt 0x0
	v_mul_f64_e32 v[32:33], v[24:25], v[32:33]
	ds_add_f64 v46, v[32:33]
.LBB198_28:                             ;   in Loop: Header=BB198_24 Depth=3
	s_wait_xcnt 0x0
	s_or_b32 exec_lo, exec_lo, s20
	s_mov_b32 s20, -1
	s_or_b32 s59, s59, exec_lo
                                        ; implicit-def: $vgpr32_vgpr33
	s_and_saveexec_b32 s60, s19
	s_cbranch_execz .LBB198_23
; %bb.29:                               ;   in Loop: Header=BB198_24 Depth=3
	v_add_nc_u64_e32 v[32:33], 16, v[30:31]
	v_add_nc_u64_e32 v[26:27], 64, v[26:27]
	;; [unrolled: 1-line block ×3, first 2 shown]
	s_and_not1_b32 s59, s59, exec_lo
	s_delay_alu instid0(VALU_DEP_3)
	v_cmp_ge_i64_e32 vcc_lo, v[32:33], v[22:23]
	s_or_not1_b32 s20, vcc_lo, exec_lo
	s_branch .LBB198_23
.LBB198_30:                             ;   in Loop: Header=BB198_18 Depth=2
	s_or_b32 exec_lo, exec_lo, s58
	s_and_saveexec_b32 s19, s57
	s_delay_alu instid0(SALU_CYCLE_1)
	s_xor_b32 s19, exec_lo, s19
; %bb.31:                               ;   in Loop: Header=BB198_18 Depth=2
	v_mov_b64_e32 v[20:21], v[30:31]
	v_min_i32_e32 v43, v44, v43
; %bb.32:                               ;   in Loop: Header=BB198_18 Depth=2
	s_or_b32 exec_lo, exec_lo, s19
.LBB198_33:                             ;   in Loop: Header=BB198_18 Depth=2
	s_delay_alu instid0(SALU_CYCLE_1)
	s_or_b32 exec_lo, exec_lo, s56
	ds_bpermute_b32 v22, v13, v20
	ds_bpermute_b32 v23, v13, v21
	s_wait_dscnt 0x0
	v_min_i64 v[20:21], v[22:23], v[20:21]
	ds_bpermute_b32 v22, v34, v20
	ds_bpermute_b32 v23, v34, v21
	s_wait_dscnt 0x0
	v_min_i64 v[20:21], v[22:23], v[20:21]
	;; [unrolled: 4-line block ×3, first 2 shown]
	ds_bpermute_b32 v22, v36, v20
	ds_bpermute_b32 v23, v36, v21
	s_and_saveexec_b32 s19, s1
	s_cbranch_execz .LBB198_17
; %bb.34:                               ;   in Loop: Header=BB198_18 Depth=2
	s_wait_dscnt 0x0
	v_min_i64 v[20:21], v[22:23], v[20:21]
	global_store_b64 v[18:19], v[20:21], off
	s_branch .LBB198_17
.LBB198_35:                             ;   in Loop: Header=BB198_18 Depth=2
                                        ; implicit-def: $vgpr26_vgpr27
	s_branch .LBB198_20
.LBB198_36:                             ;   in Loop: Header=BB198_11 Depth=1
	s_or_b32 exec_lo, exec_lo, s55
.LBB198_37:                             ;   in Loop: Header=BB198_11 Depth=1
	s_delay_alu instid0(SALU_CYCLE_1) | instskip(NEXT) | instid1(SALU_CYCLE_1)
	s_or_b32 exec_lo, exec_lo, s21
	s_and_not1_b32 vcc_lo, exec_lo, s33
	s_cbranch_vccnz .LBB198_51
; %bb.38:                               ;   in Loop: Header=BB198_11 Depth=1
	s_load_b128 s[56:59], s[26:27], 0x0
	s_mov_b32 s55, exec_lo
	s_wait_kmcnt 0x0
	v_add_nc_u64_e32 v[16:17], s[56:57], v[10:11]
	s_sub_nc_u64 s[20:21], s[58:59], s[52:53]
	s_delay_alu instid0(VALU_DEP_1) | instid1(SALU_CYCLE_1)
	v_cmpx_gt_i64_e64 s[20:21], v[16:17]
	s_cbranch_execz .LBB198_50
; %bb.39:                               ;   in Loop: Header=BB198_11 Depth=1
	v_lshl_add_u64 v[18:19], v[16:17], 2, s[22:23]
	v_lshl_add_u64 v[20:21], v[16:17], 3, s[24:25]
	s_mov_b32 s56, 0
                                        ; implicit-def: $sgpr57
                                        ; implicit-def: $sgpr58
	s_branch .LBB198_41
.LBB198_40:                             ;   in Loop: Header=BB198_41 Depth=2
	s_or_b32 exec_lo, exec_lo, s59
	s_delay_alu instid0(SALU_CYCLE_1) | instskip(NEXT) | instid1(SALU_CYCLE_1)
	s_and_b32 s18, exec_lo, s19
	s_or_b32 s56, s18, s56
	s_and_not1_b32 s18, s57, exec_lo
	s_and_b32 s19, s58, exec_lo
	s_delay_alu instid0(SALU_CYCLE_1)
	s_or_b32 s57, s18, s19
	s_and_not1_b32 exec_lo, exec_lo, s56
	s_cbranch_execz .LBB198_47
.LBB198_41:                             ;   Parent Loop BB198_11 Depth=1
                                        ; =>  This Inner Loop Header: Depth=2
	s_wait_dscnt 0x1
	global_load_b32 v22, v[18:19], off
	s_wait_loadcnt 0x0
	v_subrev_nc_u32_e32 v22, s31, v22
	s_delay_alu instid0(VALU_DEP_1)
	v_cmp_lt_i32_e64 s18, v22, v41
	v_cmp_ge_i32_e64 s19, v22, v42
	v_cmp_lt_i32_e32 vcc_lo, v22, v42
	s_or_b32 s19, s18, s19
	s_mov_b32 s18, 0
	s_wait_xcnt 0x0
	s_and_saveexec_b32 s59, s19
	s_delay_alu instid0(SALU_CYCLE_1)
	s_xor_b32 s19, exec_lo, s59
; %bb.42:                               ;   in Loop: Header=BB198_41 Depth=2
	s_and_b32 s18, vcc_lo, exec_lo
; %bb.43:                               ;   in Loop: Header=BB198_41 Depth=2
	s_and_not1_saveexec_b32 s19, s19
	s_cbranch_execz .LBB198_45
; %bb.44:                               ;   in Loop: Header=BB198_41 Depth=2
	global_load_b64 v[24:25], v[20:21], off
	s_wait_dscnt 0x0
	v_sub_nc_u32_e32 v23, v22, v41
	s_or_b32 s18, s18, exec_lo
	ds_store_b8 v23, v40 offset:16384
	s_wait_loadcnt 0x0
	v_dual_mul_f64 v[24:25], v[4:5], v[24:25] :: v_dual_lshlrev_b32 v26, 3, v23
	ds_add_f64 v26, v[24:25]
.LBB198_45:                             ;   in Loop: Header=BB198_41 Depth=2
	s_wait_xcnt 0x0
	s_or_b32 exec_lo, exec_lo, s19
	s_mov_b32 s19, -1
	s_or_b32 s58, s58, exec_lo
	s_and_saveexec_b32 s59, s18
	s_cbranch_execz .LBB198_40
; %bb.46:                               ;   in Loop: Header=BB198_41 Depth=2
	v_add_nc_u64_e32 v[16:17], 0x200, v[16:17]
	v_add_nc_u64_e32 v[18:19], 0x800, v[18:19]
	;; [unrolled: 1-line block ×3, first 2 shown]
	s_and_not1_b32 s58, s58, exec_lo
	s_delay_alu instid0(VALU_DEP_3)
	v_cmp_le_i64_e32 vcc_lo, s[20:21], v[16:17]
	s_or_not1_b32 s19, vcc_lo, exec_lo
	s_branch .LBB198_40
.LBB198_47:                             ;   in Loop: Header=BB198_11 Depth=1
	s_or_b32 exec_lo, exec_lo, s56
	s_and_saveexec_b32 s18, s57
	s_delay_alu instid0(SALU_CYCLE_1)
	s_xor_b32 s18, exec_lo, s18
; %bb.48:                               ;   in Loop: Header=BB198_11 Depth=1
	v_min_i32_e32 v43, v22, v43
; %bb.49:                               ;   in Loop: Header=BB198_11 Depth=1
	s_or_b32 exec_lo, exec_lo, s18
.LBB198_50:                             ;   in Loop: Header=BB198_11 Depth=1
	s_delay_alu instid0(SALU_CYCLE_1)
	s_or_b32 exec_lo, exec_lo, s55
.LBB198_51:                             ;   in Loop: Header=BB198_11 Depth=1
	ds_bpermute_b32 v16, v13, v43
	s_wait_dscnt 0x0
	v_min_i32_e32 v16, v16, v43
	ds_bpermute_b32 v17, v34, v16
	s_wait_dscnt 0x0
	v_min_i32_e32 v16, v17, v16
	ds_bpermute_b32 v17, v35, v16
	s_wait_dscnt 0x0
	v_min_i32_e32 v16, v17, v16
	ds_bpermute_b32 v17, v36, v16
	s_and_saveexec_b32 s18, s1
	s_cbranch_execz .LBB198_56
; %bb.52:                               ;   in Loop: Header=BB198_11 Depth=1
	s_wait_dscnt 0x0
	v_min_i32_e32 v16, v17, v16
	s_mov_b32 s20, exec_lo
	s_brev_b32 s19, -2
.LBB198_53:                             ;   Parent Loop BB198_11 Depth=1
                                        ; =>  This Inner Loop Header: Depth=2
	s_ctz_i32_b32 s21, s20
	s_delay_alu instid0(VALU_DEP_1) | instid1(SALU_CYCLE_1)
	v_readlane_b32 s55, v16, s21
	s_lshl_b32 s21, 1, s21
	s_delay_alu instid0(SALU_CYCLE_1)
	s_and_not1_b32 s20, s20, s21
	s_min_i32 s19, s19, s55
	s_cmp_lg_u32 s20, 0
	s_cbranch_scc1 .LBB198_53
; %bb.54:                               ;   in Loop: Header=BB198_11 Depth=1
	v_mbcnt_lo_u32_b32 v16, exec_lo, 0
	s_mov_b32 s20, exec_lo
	s_delay_alu instid0(VALU_DEP_1)
	v_cmpx_eq_u32_e32 0, v16
	s_xor_b32 s20, exec_lo, s20
; %bb.55:                               ;   in Loop: Header=BB198_11 Depth=1
	v_mov_b32_e32 v16, s19
	ds_min_i32 v7, v16 offset:18432
.LBB198_56:                             ;   in Loop: Header=BB198_11 Depth=1
	s_or_b32 exec_lo, exec_lo, s18
	v_dual_mov_b32 v20, v39 :: v_dual_mov_b32 v21, v38
	s_mov_b32 s18, 0
	s_wait_storecnt_dscnt 0x0
	s_barrier_signal -1
	s_barrier_wait -1
	s_branch .LBB198_58
.LBB198_57:                             ;   in Loop: Header=BB198_58 Depth=2
	s_or_b32 exec_lo, exec_lo, s19
	s_wait_storecnt_dscnt 0x0
	s_barrier_signal -1
	s_barrier_wait -1
	ds_load_b32 v16, v7 offset:60
	v_add_nc_u32_e32 v21, 0x200, v21
	v_add_nc_u32_e32 v20, 0x1000, v20
	s_delay_alu instid0(VALU_DEP_2) | instskip(SKIP_3) | instid1(VALU_DEP_1)
	v_cmp_lt_u32_e32 vcc_lo, 0x5ff, v21
	s_or_b32 s18, vcc_lo, s18
	s_wait_dscnt 0x0
	v_ashrrev_i32_e32 v17, 31, v16
	v_add_nc_u64_e32 v[0:1], v[0:1], v[16:17]
	s_and_not1_b32 exec_lo, exec_lo, s18
	s_cbranch_execz .LBB198_10
.LBB198_58:                             ;   Parent Loop BB198_11 Depth=1
                                        ; =>  This Inner Loop Header: Depth=2
	ds_load_u8 v18, v21 offset:16896
	ds_load_b64 v[16:17], v20
	s_wait_dscnt 0x0
	s_barrier_signal -1
	s_barrier_wait -1
	v_cmp_ne_u16_e32 vcc_lo, 0, v18
	s_bcnt1_i32_b32 s19, vcc_lo
	s_delay_alu instid0(SALU_CYCLE_1)
	v_mov_b32_e32 v19, s19
	s_mov_b32 s19, exec_lo
	ds_store_b32 v37, v19
	s_wait_dscnt 0x0
	s_barrier_signal -1
	s_barrier_wait -1
	ds_load_b128 v[22:25], v7
	ds_load_b128 v[26:29], v7 offset:16
	v_and_b32_e32 v19, vcc_lo, v12
	ds_load_b128 v[30:33], v7 offset:32
	s_wait_dscnt 0x2
	v_cndmask_b32_e64 v22, v22, 0, s3
	v_cndmask_b32_e64 v41, v23, 0, s4
	;; [unrolled: 1-line block ×4, first 2 shown]
	s_wait_dscnt 0x1
	v_cndmask_b32_e64 v26, v26, 0, s7
	v_bcnt_u32_b32 v19, v19, v22
	ds_load_b96 v[22:24], v7 offset:48
	v_cndmask_b32_e64 v27, v27, 0, s8
	v_cndmask_b32_e64 v28, v28, 0, s9
	v_add3_u32 v19, v19, v41, v42
	s_delay_alu instid0(VALU_DEP_1) | instskip(SKIP_3) | instid1(VALU_DEP_3)
	v_add3_u32 v19, v19, v25, v26
	v_cndmask_b32_e64 v25, v29, 0, s10
	s_wait_dscnt 0x1
	v_cndmask_b32_e64 v26, v30, 0, s11
	v_add3_u32 v19, v19, v27, v28
	v_cndmask_b32_e64 v27, v31, 0, s12
	v_cndmask_b32_e64 v28, v32, 0, s13
	s_delay_alu instid0(VALU_DEP_3)
	v_add3_u32 v19, v19, v25, v26
	v_cndmask_b32_e64 v25, v33, 0, s14
	s_wait_dscnt 0x0
	v_cndmask_b32_e64 v22, v22, 0, s15
	v_cndmask_b32_e64 v23, v23, 0, s16
	;; [unrolled: 1-line block ×3, first 2 shown]
	v_add3_u32 v19, v19, v27, v28
	s_delay_alu instid0(VALU_DEP_1) | instskip(SKIP_1) | instid1(VALU_DEP_2)
	v_add3_u32 v19, v19, v25, v22
	v_and_b32_e32 v22, 1, v18
	v_add3_u32 v18, v19, v23, v24
	s_delay_alu instid0(VALU_DEP_2)
	v_cmpx_eq_u32_e32 1, v22
	s_cbranch_execz .LBB198_60
; %bb.59:                               ;   in Loop: Header=BB198_58 Depth=2
	v_lshl_add_u64 v[22:23], v[0:1], 3, s[44:45]
	s_delay_alu instid0(VALU_DEP_3) | instskip(NEXT) | instid1(VALU_DEP_1)
	v_ashrrev_i32_e32 v19, 31, v18
	v_lshl_add_u64 v[22:23], v[18:19], 3, v[22:23]
	global_store_b64 v[22:23], v[16:17], off offset:-8
.LBB198_60:                             ;   in Loop: Header=BB198_58 Depth=2
	s_wait_xcnt 0x0
	s_or_b32 exec_lo, exec_lo, s19
	s_and_saveexec_b32 s19, s2
	s_cbranch_execz .LBB198_57
; %bb.61:                               ;   in Loop: Header=BB198_58 Depth=2
	ds_store_b32 v7, v18 offset:60
	s_branch .LBB198_57
.LBB198_62:
	s_endpgm
	.section	.rodata,"a",@progbits
	.p2align	6, 0x0
	.amdhsa_kernel _ZN9rocsparseL51csrgemm_numeric_fill_block_per_row_multipass_kernelILj512ELj16ELj2048ELj32ElidEEvT4_PKS1_S3_NS_24const_host_device_scalarIT5_EEPKT3_S3_PKS5_S9_S3_SB_S6_S9_S3_SB_S9_S3_PS5_PS7_21rocsparse_index_base_SE_SE_SE_bbb
		.amdhsa_group_segment_fixed_size 18440
		.amdhsa_private_segment_fixed_size 0
		.amdhsa_kernarg_size 164
		.amdhsa_user_sgpr_count 2
		.amdhsa_user_sgpr_dispatch_ptr 0
		.amdhsa_user_sgpr_queue_ptr 0
		.amdhsa_user_sgpr_kernarg_segment_ptr 1
		.amdhsa_user_sgpr_dispatch_id 0
		.amdhsa_user_sgpr_kernarg_preload_length 0
		.amdhsa_user_sgpr_kernarg_preload_offset 0
		.amdhsa_user_sgpr_private_segment_size 0
		.amdhsa_wavefront_size32 1
		.amdhsa_uses_dynamic_stack 0
		.amdhsa_enable_private_segment 0
		.amdhsa_system_sgpr_workgroup_id_x 1
		.amdhsa_system_sgpr_workgroup_id_y 0
		.amdhsa_system_sgpr_workgroup_id_z 0
		.amdhsa_system_sgpr_workgroup_info 0
		.amdhsa_system_vgpr_workitem_id 0
		.amdhsa_next_free_vgpr 47
		.amdhsa_next_free_sgpr 61
		.amdhsa_named_barrier_count 0
		.amdhsa_reserve_vcc 1
		.amdhsa_float_round_mode_32 0
		.amdhsa_float_round_mode_16_64 0
		.amdhsa_float_denorm_mode_32 3
		.amdhsa_float_denorm_mode_16_64 3
		.amdhsa_fp16_overflow 0
		.amdhsa_memory_ordered 1
		.amdhsa_forward_progress 1
		.amdhsa_inst_pref_size 22
		.amdhsa_round_robin_scheduling 0
		.amdhsa_exception_fp_ieee_invalid_op 0
		.amdhsa_exception_fp_denorm_src 0
		.amdhsa_exception_fp_ieee_div_zero 0
		.amdhsa_exception_fp_ieee_overflow 0
		.amdhsa_exception_fp_ieee_underflow 0
		.amdhsa_exception_fp_ieee_inexact 0
		.amdhsa_exception_int_div_zero 0
	.end_amdhsa_kernel
	.section	.text._ZN9rocsparseL51csrgemm_numeric_fill_block_per_row_multipass_kernelILj512ELj16ELj2048ELj32ElidEEvT4_PKS1_S3_NS_24const_host_device_scalarIT5_EEPKT3_S3_PKS5_S9_S3_SB_S6_S9_S3_SB_S9_S3_PS5_PS7_21rocsparse_index_base_SE_SE_SE_bbb,"axG",@progbits,_ZN9rocsparseL51csrgemm_numeric_fill_block_per_row_multipass_kernelILj512ELj16ELj2048ELj32ElidEEvT4_PKS1_S3_NS_24const_host_device_scalarIT5_EEPKT3_S3_PKS5_S9_S3_SB_S6_S9_S3_SB_S9_S3_PS5_PS7_21rocsparse_index_base_SE_SE_SE_bbb,comdat
.Lfunc_end198:
	.size	_ZN9rocsparseL51csrgemm_numeric_fill_block_per_row_multipass_kernelILj512ELj16ELj2048ELj32ElidEEvT4_PKS1_S3_NS_24const_host_device_scalarIT5_EEPKT3_S3_PKS5_S9_S3_SB_S6_S9_S3_SB_S9_S3_PS5_PS7_21rocsparse_index_base_SE_SE_SE_bbb, .Lfunc_end198-_ZN9rocsparseL51csrgemm_numeric_fill_block_per_row_multipass_kernelILj512ELj16ELj2048ELj32ElidEEvT4_PKS1_S3_NS_24const_host_device_scalarIT5_EEPKT3_S3_PKS5_S9_S3_SB_S6_S9_S3_SB_S9_S3_PS5_PS7_21rocsparse_index_base_SE_SE_SE_bbb
                                        ; -- End function
	.set _ZN9rocsparseL51csrgemm_numeric_fill_block_per_row_multipass_kernelILj512ELj16ELj2048ELj32ElidEEvT4_PKS1_S3_NS_24const_host_device_scalarIT5_EEPKT3_S3_PKS5_S9_S3_SB_S6_S9_S3_SB_S9_S3_PS5_PS7_21rocsparse_index_base_SE_SE_SE_bbb.num_vgpr, 47
	.set _ZN9rocsparseL51csrgemm_numeric_fill_block_per_row_multipass_kernelILj512ELj16ELj2048ELj32ElidEEvT4_PKS1_S3_NS_24const_host_device_scalarIT5_EEPKT3_S3_PKS5_S9_S3_SB_S6_S9_S3_SB_S9_S3_PS5_PS7_21rocsparse_index_base_SE_SE_SE_bbb.num_agpr, 0
	.set _ZN9rocsparseL51csrgemm_numeric_fill_block_per_row_multipass_kernelILj512ELj16ELj2048ELj32ElidEEvT4_PKS1_S3_NS_24const_host_device_scalarIT5_EEPKT3_S3_PKS5_S9_S3_SB_S6_S9_S3_SB_S9_S3_PS5_PS7_21rocsparse_index_base_SE_SE_SE_bbb.numbered_sgpr, 61
	.set _ZN9rocsparseL51csrgemm_numeric_fill_block_per_row_multipass_kernelILj512ELj16ELj2048ELj32ElidEEvT4_PKS1_S3_NS_24const_host_device_scalarIT5_EEPKT3_S3_PKS5_S9_S3_SB_S6_S9_S3_SB_S9_S3_PS5_PS7_21rocsparse_index_base_SE_SE_SE_bbb.num_named_barrier, 0
	.set _ZN9rocsparseL51csrgemm_numeric_fill_block_per_row_multipass_kernelILj512ELj16ELj2048ELj32ElidEEvT4_PKS1_S3_NS_24const_host_device_scalarIT5_EEPKT3_S3_PKS5_S9_S3_SB_S6_S9_S3_SB_S9_S3_PS5_PS7_21rocsparse_index_base_SE_SE_SE_bbb.private_seg_size, 0
	.set _ZN9rocsparseL51csrgemm_numeric_fill_block_per_row_multipass_kernelILj512ELj16ELj2048ELj32ElidEEvT4_PKS1_S3_NS_24const_host_device_scalarIT5_EEPKT3_S3_PKS5_S9_S3_SB_S6_S9_S3_SB_S9_S3_PS5_PS7_21rocsparse_index_base_SE_SE_SE_bbb.uses_vcc, 1
	.set _ZN9rocsparseL51csrgemm_numeric_fill_block_per_row_multipass_kernelILj512ELj16ELj2048ELj32ElidEEvT4_PKS1_S3_NS_24const_host_device_scalarIT5_EEPKT3_S3_PKS5_S9_S3_SB_S6_S9_S3_SB_S9_S3_PS5_PS7_21rocsparse_index_base_SE_SE_SE_bbb.uses_flat_scratch, 0
	.set _ZN9rocsparseL51csrgemm_numeric_fill_block_per_row_multipass_kernelILj512ELj16ELj2048ELj32ElidEEvT4_PKS1_S3_NS_24const_host_device_scalarIT5_EEPKT3_S3_PKS5_S9_S3_SB_S6_S9_S3_SB_S9_S3_PS5_PS7_21rocsparse_index_base_SE_SE_SE_bbb.has_dyn_sized_stack, 0
	.set _ZN9rocsparseL51csrgemm_numeric_fill_block_per_row_multipass_kernelILj512ELj16ELj2048ELj32ElidEEvT4_PKS1_S3_NS_24const_host_device_scalarIT5_EEPKT3_S3_PKS5_S9_S3_SB_S6_S9_S3_SB_S9_S3_PS5_PS7_21rocsparse_index_base_SE_SE_SE_bbb.has_recursion, 0
	.set _ZN9rocsparseL51csrgemm_numeric_fill_block_per_row_multipass_kernelILj512ELj16ELj2048ELj32ElidEEvT4_PKS1_S3_NS_24const_host_device_scalarIT5_EEPKT3_S3_PKS5_S9_S3_SB_S6_S9_S3_SB_S9_S3_PS5_PS7_21rocsparse_index_base_SE_SE_SE_bbb.has_indirect_call, 0
	.section	.AMDGPU.csdata,"",@progbits
; Kernel info:
; codeLenInByte = 2792
; TotalNumSgprs: 63
; NumVgprs: 47
; ScratchSize: 0
; MemoryBound: 0
; FloatMode: 240
; IeeeMode: 1
; LDSByteSize: 18440 bytes/workgroup (compile time only)
; SGPRBlocks: 0
; VGPRBlocks: 2
; NumSGPRsForWavesPerEU: 63
; NumVGPRsForWavesPerEU: 47
; NamedBarCnt: 0
; Occupancy: 16
; WaveLimiterHint : 1
; COMPUTE_PGM_RSRC2:SCRATCH_EN: 0
; COMPUTE_PGM_RSRC2:USER_SGPR: 2
; COMPUTE_PGM_RSRC2:TRAP_HANDLER: 0
; COMPUTE_PGM_RSRC2:TGID_X_EN: 1
; COMPUTE_PGM_RSRC2:TGID_Y_EN: 0
; COMPUTE_PGM_RSRC2:TGID_Z_EN: 0
; COMPUTE_PGM_RSRC2:TIDIG_COMP_CNT: 0
	.section	.text._ZN9rocsparseL51csrgemm_numeric_fill_block_per_row_multipass_kernelILj512ELj16ELj2048ELj64ElidEEvT4_PKS1_S3_NS_24const_host_device_scalarIT5_EEPKT3_S3_PKS5_S9_S3_SB_S6_S9_S3_SB_S9_S3_PS5_PS7_21rocsparse_index_base_SE_SE_SE_bbb,"axG",@progbits,_ZN9rocsparseL51csrgemm_numeric_fill_block_per_row_multipass_kernelILj512ELj16ELj2048ELj64ElidEEvT4_PKS1_S3_NS_24const_host_device_scalarIT5_EEPKT3_S3_PKS5_S9_S3_SB_S6_S9_S3_SB_S9_S3_PS5_PS7_21rocsparse_index_base_SE_SE_SE_bbb,comdat
	.globl	_ZN9rocsparseL51csrgemm_numeric_fill_block_per_row_multipass_kernelILj512ELj16ELj2048ELj64ElidEEvT4_PKS1_S3_NS_24const_host_device_scalarIT5_EEPKT3_S3_PKS5_S9_S3_SB_S6_S9_S3_SB_S9_S3_PS5_PS7_21rocsparse_index_base_SE_SE_SE_bbb ; -- Begin function _ZN9rocsparseL51csrgemm_numeric_fill_block_per_row_multipass_kernelILj512ELj16ELj2048ELj64ElidEEvT4_PKS1_S3_NS_24const_host_device_scalarIT5_EEPKT3_S3_PKS5_S9_S3_SB_S6_S9_S3_SB_S9_S3_PS5_PS7_21rocsparse_index_base_SE_SE_SE_bbb
	.p2align	8
	.type	_ZN9rocsparseL51csrgemm_numeric_fill_block_per_row_multipass_kernelILj512ELj16ELj2048ELj64ElidEEvT4_PKS1_S3_NS_24const_host_device_scalarIT5_EEPKT3_S3_PKS5_S9_S3_SB_S6_S9_S3_SB_S9_S3_PS5_PS7_21rocsparse_index_base_SE_SE_SE_bbb,@function
_ZN9rocsparseL51csrgemm_numeric_fill_block_per_row_multipass_kernelILj512ELj16ELj2048ELj64ElidEEvT4_PKS1_S3_NS_24const_host_device_scalarIT5_EEPKT3_S3_PKS5_S9_S3_SB_S6_S9_S3_SB_S9_S3_PS5_PS7_21rocsparse_index_base_SE_SE_SE_bbb: ; @_ZN9rocsparseL51csrgemm_numeric_fill_block_per_row_multipass_kernelILj512ELj16ELj2048ELj64ElidEEvT4_PKS1_S3_NS_24const_host_device_scalarIT5_EEPKT3_S3_PKS5_S9_S3_SB_S6_S9_S3_SB_S9_S3_PS5_PS7_21rocsparse_index_base_SE_SE_SE_bbb
; %bb.0:
	s_clause 0x4
	s_load_b32 s11, s[0:1], 0xa0
	s_load_b64 s[8:9], s[0:1], 0x18
	s_load_b128 s[4:7], s[0:1], 0x8
	s_load_b128 s[28:31], s[0:1], 0x90
	s_load_b64 s[2:3], s[0:1], 0x50
	s_wait_kmcnt 0x0
	s_bitcmp1_b32 s11, 0
	s_cselect_b32 s10, -1, 0
	s_bitcmp1_b32 s11, 16
	s_cselect_b32 s12, -1, 0
	s_xor_b32 s13, s10, -1
	s_delay_alu instid0(SALU_CYCLE_1)
	s_or_b32 s13, s12, s13
	s_and_b32 s14, s10, exec_lo
	s_cselect_b32 s15, s9, 0
	s_cselect_b32 s14, s8, 0
	s_and_b32 vcc_lo, exec_lo, s13
	v_mov_b64_e32 v[2:3], s[14:15]
	s_cbranch_vccnz .LBB199_2
; %bb.1:
	v_mov_b32_e32 v1, 0
	flat_load_b64 v[2:3], v1, s[8:9]
.LBB199_2:
	s_bitcmp1_b32 s11, 8
	s_cselect_b32 s33, -1, 0
	s_wait_xcnt 0x0
	s_xor_b32 s8, s33, -1
	s_delay_alu instid0(SALU_CYCLE_1)
	s_or_b32 s11, s12, s8
	s_and_b32 s8, s33, exec_lo
	s_cselect_b32 s9, s3, 0
	s_cselect_b32 s8, s2, 0
	s_and_b32 vcc_lo, exec_lo, s11
	v_mov_b64_e32 v[4:5], s[8:9]
	s_cbranch_vccnz .LBB199_4
; %bb.3:
	v_mov_b32_e32 v1, 0
	flat_load_b64 v[4:5], v1, s[2:3]
.LBB199_4:
	s_wait_xcnt 0x0
	s_load_b32 s2, s[4:5], 0x0
	s_bfe_u32 s3, ttmp6, 0x4000c
	s_wait_xcnt 0x0
	s_and_b32 s4, ttmp6, 15
	s_add_co_i32 s3, s3, 1
	s_getreg_b32 s5, hwreg(HW_REG_IB_STS2, 6, 4)
	s_mul_i32 s3, ttmp9, s3
	s_mov_b64 s[34:35], 0
	s_add_co_i32 s4, s4, s3
	s_cmp_eq_u32 s5, 0
	s_cselect_b32 s3, ttmp9, s4
	s_and_not1_b32 vcc_lo, exec_lo, s10
	s_wait_kmcnt 0x0
	s_add_co_i32 s2, s2, s3
	s_load_b64 s[8:9], s[0:1], 0x20
	s_load_b32 s4, s[6:7], s2 offset:0x0 scale_offset
	s_wait_xcnt 0x0
	s_mov_b32 s7, 0
	s_mov_b64 s[2:3], 0
	s_cbranch_vccz .LBB199_7
; %bb.5:
	s_and_not1_b32 vcc_lo, exec_lo, s10
	s_cbranch_vccz .LBB199_8
.LBB199_6:
	s_load_b32 s46, s[0:1], 0x0
	s_wait_kmcnt 0x0
	s_cmp_lt_i32 s46, 1
	s_cbranch_scc0 .LBB199_9
	s_branch .LBB199_62
.LBB199_7:
	s_wait_kmcnt 0x0
	s_ashr_i32 s5, s4, 31
	s_mov_b32 s6, s28
	s_lshl_b64 s[2:3], s[4:5], 3
	s_delay_alu instid0(SALU_CYCLE_1)
	s_add_nc_u64 s[2:3], s[8:9], s[2:3]
	s_load_b64 s[2:3], s[2:3], 0x0
	s_wait_kmcnt 0x0
	s_sub_nc_u64 s[2:3], s[2:3], s[6:7]
	s_and_not1_b32 vcc_lo, exec_lo, s10
	s_cbranch_vccnz .LBB199_6
.LBB199_8:
	s_wait_kmcnt 0x0
	s_ashr_i32 s5, s4, 31
	s_delay_alu instid0(SALU_CYCLE_1) | instskip(NEXT) | instid1(SALU_CYCLE_1)
	s_lshl_b64 s[6:7], s[4:5], 3
	s_add_nc_u64 s[6:7], s[8:9], s[6:7]
	s_mov_b32 s9, 0
	s_load_b64 s[6:7], s[6:7], 0x8
	s_mov_b32 s8, s28
	s_wait_kmcnt 0x0
	s_sub_nc_u64 s[34:35], s[6:7], s[8:9]
	s_load_b32 s46, s[0:1], 0x0
	s_wait_kmcnt 0x0
	s_cmp_lt_i32 s46, 1
	s_cbranch_scc1 .LBB199_62
.LBB199_9:
	s_clause 0x3
	s_load_b256 s[12:19], s[0:1], 0x58
	s_load_b256 s[20:27], s[0:1], 0x28
	s_load_b128 s[36:39], s[0:1], 0x80
	s_load_b64 s[40:41], s[0:1], 0x48
	v_mbcnt_lo_u32_b32 v12, -1, 0
	v_mov_b32_e32 v7, 0
	s_ashr_i32 s5, s4, 31
	s_mov_b32 s43, 0
	s_lshl_b64 s[48:49], s[4:5], 3
	s_delay_alu instid0(VALU_DEP_1) | instskip(SKIP_3) | instid1(VALU_DEP_2)
	v_dual_mov_b32 v9, v7 :: v_dual_bitop2_b32 v14, 8, v12 bitop3:0x14
	v_mov_b32_e32 v1, v7
	s_mov_b32 s44, s31
	s_mov_b32 s45, s43
	v_cmp_gt_i32_e32 vcc_lo, 32, v14
	v_xor_b32_e32 v15, 4, v12
	v_sub_nc_u64_e64 v[10:11], v[0:1], s[44:45]
	v_dual_lshrrev_b32 v8, 4, v0 :: v_dual_bitop2_b32 v6, 15, v0 bitop3:0x40
	v_cndmask_b32_e32 v1, v12, v14, vcc_lo
	s_wait_kmcnt 0x0
	s_add_nc_u64 s[4:5], s[18:19], s[48:49]
	v_cmp_gt_i32_e32 vcc_lo, 32, v15
	s_load_b64 s[4:5], s[4:5], 0x0
	v_xor_b32_e32 v16, 2, v12
	v_dual_lshlrev_b32 v34, 2, v1 :: v_dual_bitop2_b32 v17, 1, v12 bitop3:0x14
	v_dual_cndmask_b32 v14, v12, v15, vcc_lo :: v_dual_bitop2_b32 v13, 28, v8 bitop3:0x40
	s_delay_alu instid0(VALU_DEP_3)
	v_cmp_gt_i32_e32 vcc_lo, 32, v16
	v_add_nc_u64_e32 v[8:9], s[2:3], v[8:9]
	s_mov_b32 s42, s30
	v_cmp_eq_u32_e64 s0, 0, v0
	v_dual_lshlrev_b32 v35, 2, v14 :: v_dual_cndmask_b32 v15, v12, v16, vcc_lo
	v_cmp_gt_i32_e32 vcc_lo, 32, v17
	v_xor_b32_e32 v18, 31, v12
	v_cmp_eq_u32_e64 s2, 0x1ff, v0
	v_cmp_gt_u32_e64 s3, 64, v0
	v_cmp_gt_u32_e64 s6, 0x100, v0
	v_cndmask_b32_e32 v16, v12, v17, vcc_lo
	v_cmp_gt_i64_e32 vcc_lo, s[34:35], v[8:9]
	v_cmp_gt_u32_e64 s7, 0x140, v0
	s_wait_kmcnt 0x0
	s_sub_nc_u64 s[18:19], s[4:5], s[42:43]
	v_cmp_gt_u32_e64 s4, 0x80, v0
	v_dual_lshlrev_b32 v37, 2, v16 :: v_dual_lshlrev_b32 v36, 2, v15
	v_lshlrev_b32_e32 v39, 3, v0
	v_cmp_gt_u32_e64 s5, 0xc0, v0
	v_cmp_gt_u32_e64 s8, 0x180, v0
	;; [unrolled: 1-line block ×3, first 2 shown]
	v_or_b32_e32 v38, 0xfffffe00, v0
	v_mov_b64_e32 v[0:1], s[18:19]
	v_mov_b64_e32 v[14:15], 0
	v_cmp_eq_u32_e64 s1, 15, v6
	v_lshrrev_b32_e64 v12, v18, -1
	v_dual_mov_b32 v42, 0x800 :: v_dual_mov_b32 v41, v7
	v_mov_b32_e32 v40, 1
	s_mov_b32 s42, s29
	s_add_nc_u64 s[18:19], s[12:13], s[48:49]
	s_and_b32 s30, s10, vcc_lo
	s_branch .LBB199_11
.LBB199_10:                             ;   in Loop: Header=BB199_11 Depth=1
	s_or_b32 exec_lo, exec_lo, s10
	ds_load_b32 v41, v7 offset:18432
	s_wait_dscnt 0x0
	s_barrier_signal -1
	s_barrier_wait -1
	v_cmp_le_i32_e32 vcc_lo, s46, v41
	v_add_nc_u32_e32 v42, 0x800, v41
	s_cbranch_vccnz .LBB199_62
.LBB199_11:                             ; =>This Loop Header: Depth=1
                                        ;     Child Loop BB199_12 Depth 2
                                        ;     Child Loop BB199_18 Depth 2
                                        ;       Child Loop BB199_24 Depth 3
                                        ;     Child Loop BB199_41 Depth 2
                                        ;     Child Loop BB199_53 Depth 2
	;; [unrolled: 1-line block ×3, first 2 shown]
	v_dual_mov_b32 v16, v39 :: v_dual_mov_b32 v17, v38
	s_mov_b32 s10, 0
.LBB199_12:                             ;   Parent Loop BB199_11 Depth=1
                                        ; =>  This Inner Loop Header: Depth=2
	ds_store_b8 v17, v7 offset:16896
	v_add_nc_u32_e32 v17, 0x200, v17
	ds_store_b64 v16, v[14:15]
	v_add_nc_u32_e32 v16, 0x1000, v16
	v_cmp_lt_u32_e32 vcc_lo, 0x5ff, v17
	s_or_b32 s10, vcc_lo, s10
	s_delay_alu instid0(SALU_CYCLE_1)
	s_and_not1_b32 exec_lo, exec_lo, s10
	s_cbranch_execnz .LBB199_12
; %bb.13:                               ;   in Loop: Header=BB199_11 Depth=1
	s_or_b32 exec_lo, exec_lo, s10
	s_and_saveexec_b32 s10, s0
; %bb.14:                               ;   in Loop: Header=BB199_11 Depth=1
	v_mov_b32_e32 v16, s46
	ds_store_b32 v7, v16 offset:18432
; %bb.15:                               ;   in Loop: Header=BB199_11 Depth=1
	s_or_b32 exec_lo, exec_lo, s10
	v_mov_b32_e32 v43, s46
	s_wait_loadcnt_dscnt 0x0
	s_barrier_signal -1
	s_barrier_wait -1
	s_and_saveexec_b32 s13, s30
	s_cbranch_execz .LBB199_37
; %bb.16:                               ;   in Loop: Header=BB199_11 Depth=1
	v_mov_b64_e32 v[16:17], v[8:9]
	v_cmp_ne_u32_e64 s10, 0, v41
	v_mov_b32_e32 v43, s46
	s_mov_b32 s47, 0
	s_branch .LBB199_18
.LBB199_17:                             ;   in Loop: Header=BB199_18 Depth=2
	s_wait_xcnt 0x0
	s_or_b32 exec_lo, exec_lo, s11
	v_add_nc_u64_e32 v[16:17], 32, v[16:17]
	s_delay_alu instid0(VALU_DEP_1) | instskip(SKIP_1) | instid1(SALU_CYCLE_1)
	v_cmp_le_i64_e32 vcc_lo, s[34:35], v[16:17]
	s_or_b32 s47, vcc_lo, s47
	s_and_not1_b32 exec_lo, exec_lo, s47
	s_cbranch_execz .LBB199_36
.LBB199_18:                             ;   Parent Loop BB199_11 Depth=1
                                        ; =>  This Loop Header: Depth=2
                                        ;       Child Loop BB199_24 Depth 3
	v_lshl_add_u64 v[18:19], v[16:17], 2, s[20:21]
	s_and_b32 vcc_lo, exec_lo, s10
	global_load_b32 v20, v[18:19], off
	s_wait_xcnt 0x0
	v_lshl_add_u64 v[18:19], v[16:17], 3, s[22:23]
	global_load_b64 v[24:25], v[18:19], off
	s_wait_xcnt 0x0
	v_lshl_add_u64 v[18:19], v[16:17], 3, s[38:39]
	s_wait_loadcnt 0x1
	v_subrev_nc_u32_e32 v20, s28, v20
	s_delay_alu instid0(VALU_DEP_1)
	v_ashrrev_i32_e32 v21, 31, v20
	s_cbranch_vccz .LBB199_35
; %bb.19:                               ;   in Loop: Header=BB199_18 Depth=2
	global_load_b64 v[26:27], v[18:19], off
	s_cbranch_execnz .LBB199_21
.LBB199_20:                             ;   in Loop: Header=BB199_18 Depth=2
	s_wait_dscnt 0x0
	global_load_b64 v[22:23], v20, s[24:25] scale_offset
	s_wait_loadcnt 0x0
	v_sub_nc_u64_e64 v[26:27], v[22:23], s[42:43]
.LBB199_21:                             ;   in Loop: Header=BB199_18 Depth=2
	s_wait_xcnt 0x0
	v_lshl_add_u64 v[20:21], v[20:21], 3, s[24:25]
	s_mov_b32 s48, exec_lo
	global_load_b64 v[20:21], v[20:21], off offset:8
	s_wait_loadcnt_dscnt 0x0
	v_sub_nc_u64_e64 v[22:23], v[20:21], s[42:43]
	s_wait_xcnt 0x0
	v_add_nc_u64_e32 v[20:21], v[26:27], v[6:7]
	s_delay_alu instid0(VALU_DEP_1)
	v_cmpx_lt_i64_e64 v[20:21], v[22:23]
	s_cbranch_execz .LBB199_33
; %bb.22:                               ;   in Loop: Header=BB199_18 Depth=2
	v_mul_f64_e32 v[24:25], v[2:3], v[24:25]
	v_mov_b64_e32 v[32:33], v[20:21]
	v_lshl_add_u64 v[26:27], v[20:21], 2, s[26:27]
	v_lshl_add_u64 v[28:29], v[20:21], 3, s[40:41]
	s_mov_b32 s50, 0
                                        ; implicit-def: $sgpr49
                                        ; implicit-def: $sgpr51
	s_branch .LBB199_24
.LBB199_23:                             ;   in Loop: Header=BB199_24 Depth=3
	s_or_b32 exec_lo, exec_lo, s52
	s_delay_alu instid0(SALU_CYCLE_1) | instskip(NEXT) | instid1(SALU_CYCLE_1)
	s_and_b32 s11, exec_lo, s12
	s_or_b32 s50, s11, s50
	s_and_not1_b32 s11, s49, exec_lo
	s_and_b32 s12, s51, exec_lo
	s_delay_alu instid0(SALU_CYCLE_1)
	s_or_b32 s49, s11, s12
	s_and_not1_b32 exec_lo, exec_lo, s50
	s_cbranch_execz .LBB199_30
.LBB199_24:                             ;   Parent Loop BB199_11 Depth=1
                                        ;     Parent Loop BB199_18 Depth=2
                                        ; =>    This Inner Loop Header: Depth=3
	global_load_b32 v30, v[26:27], off
	s_wait_loadcnt 0x0
	v_subrev_nc_u32_e32 v44, s29, v30
	v_mov_b64_e32 v[30:31], v[32:33]
	s_delay_alu instid0(VALU_DEP_2)
	v_cmp_lt_i32_e64 s11, v44, v41
	v_cmp_ge_i32_e64 s12, v44, v42
	v_cmp_lt_i32_e32 vcc_lo, v44, v42
	s_or_b32 s12, s11, s12
	s_mov_b32 s11, 0
	s_wait_xcnt 0x0
	s_and_saveexec_b32 s52, s12
	s_delay_alu instid0(SALU_CYCLE_1)
	s_xor_b32 s12, exec_lo, s52
; %bb.25:                               ;   in Loop: Header=BB199_24 Depth=3
	s_and_b32 s11, vcc_lo, exec_lo
; %bb.26:                               ;   in Loop: Header=BB199_24 Depth=3
	s_and_not1_saveexec_b32 s12, s12
	s_cbranch_execz .LBB199_28
; %bb.27:                               ;   in Loop: Header=BB199_24 Depth=3
	global_load_b64 v[32:33], v[28:29], off
	v_sub_nc_u32_e32 v45, v44, v41
	s_or_b32 s11, s11, exec_lo
	s_delay_alu instid0(VALU_DEP_1)
	v_lshlrev_b32_e32 v46, 3, v45
	ds_store_b8 v45, v40 offset:16384
	s_wait_loadcnt 0x0
	v_mul_f64_e32 v[32:33], v[24:25], v[32:33]
	ds_add_f64 v46, v[32:33]
.LBB199_28:                             ;   in Loop: Header=BB199_24 Depth=3
	s_wait_xcnt 0x0
	s_or_b32 exec_lo, exec_lo, s12
	s_mov_b32 s12, -1
	s_or_b32 s51, s51, exec_lo
                                        ; implicit-def: $vgpr32_vgpr33
	s_and_saveexec_b32 s52, s11
	s_cbranch_execz .LBB199_23
; %bb.29:                               ;   in Loop: Header=BB199_24 Depth=3
	v_add_nc_u64_e32 v[32:33], 16, v[30:31]
	v_add_nc_u64_e32 v[26:27], 64, v[26:27]
	;; [unrolled: 1-line block ×3, first 2 shown]
	s_and_not1_b32 s51, s51, exec_lo
	s_delay_alu instid0(VALU_DEP_3)
	v_cmp_ge_i64_e32 vcc_lo, v[32:33], v[22:23]
	s_or_not1_b32 s12, vcc_lo, exec_lo
	s_branch .LBB199_23
.LBB199_30:                             ;   in Loop: Header=BB199_18 Depth=2
	s_or_b32 exec_lo, exec_lo, s50
	s_and_saveexec_b32 s11, s49
	s_delay_alu instid0(SALU_CYCLE_1)
	s_xor_b32 s11, exec_lo, s11
; %bb.31:                               ;   in Loop: Header=BB199_18 Depth=2
	v_mov_b64_e32 v[20:21], v[30:31]
	v_min_i32_e32 v43, v44, v43
; %bb.32:                               ;   in Loop: Header=BB199_18 Depth=2
	s_or_b32 exec_lo, exec_lo, s11
.LBB199_33:                             ;   in Loop: Header=BB199_18 Depth=2
	s_delay_alu instid0(SALU_CYCLE_1)
	s_or_b32 exec_lo, exec_lo, s48
	ds_bpermute_b32 v22, v34, v20
	ds_bpermute_b32 v23, v34, v21
	s_wait_dscnt 0x0
	v_min_i64 v[20:21], v[22:23], v[20:21]
	ds_bpermute_b32 v22, v35, v20
	ds_bpermute_b32 v23, v35, v21
	s_wait_dscnt 0x0
	v_min_i64 v[20:21], v[22:23], v[20:21]
	;; [unrolled: 4-line block ×3, first 2 shown]
	ds_bpermute_b32 v22, v37, v20
	ds_bpermute_b32 v23, v37, v21
	s_and_saveexec_b32 s11, s1
	s_cbranch_execz .LBB199_17
; %bb.34:                               ;   in Loop: Header=BB199_18 Depth=2
	s_wait_dscnt 0x0
	v_min_i64 v[20:21], v[22:23], v[20:21]
	global_store_b64 v[18:19], v[20:21], off
	s_branch .LBB199_17
.LBB199_35:                             ;   in Loop: Header=BB199_18 Depth=2
                                        ; implicit-def: $vgpr26_vgpr27
	s_branch .LBB199_20
.LBB199_36:                             ;   in Loop: Header=BB199_11 Depth=1
	s_or_b32 exec_lo, exec_lo, s47
.LBB199_37:                             ;   in Loop: Header=BB199_11 Depth=1
	s_delay_alu instid0(SALU_CYCLE_1) | instskip(NEXT) | instid1(SALU_CYCLE_1)
	s_or_b32 exec_lo, exec_lo, s13
	s_and_not1_b32 vcc_lo, exec_lo, s33
	s_cbranch_vccnz .LBB199_51
; %bb.38:                               ;   in Loop: Header=BB199_11 Depth=1
	s_load_b128 s[48:51], s[18:19], 0x0
	s_mov_b32 s47, exec_lo
	s_wait_kmcnt 0x0
	v_add_nc_u64_e32 v[16:17], s[48:49], v[10:11]
	s_sub_nc_u64 s[12:13], s[50:51], s[44:45]
	s_delay_alu instid0(VALU_DEP_1) | instid1(SALU_CYCLE_1)
	v_cmpx_gt_i64_e64 s[12:13], v[16:17]
	s_cbranch_execz .LBB199_50
; %bb.39:                               ;   in Loop: Header=BB199_11 Depth=1
	v_lshl_add_u64 v[18:19], v[16:17], 2, s[14:15]
	v_lshl_add_u64 v[20:21], v[16:17], 3, s[16:17]
	s_mov_b32 s48, 0
                                        ; implicit-def: $sgpr49
                                        ; implicit-def: $sgpr50
	s_branch .LBB199_41
.LBB199_40:                             ;   in Loop: Header=BB199_41 Depth=2
	s_or_b32 exec_lo, exec_lo, s51
	s_delay_alu instid0(SALU_CYCLE_1) | instskip(NEXT) | instid1(SALU_CYCLE_1)
	s_and_b32 s10, exec_lo, s11
	s_or_b32 s48, s10, s48
	s_and_not1_b32 s10, s49, exec_lo
	s_and_b32 s11, s50, exec_lo
	s_delay_alu instid0(SALU_CYCLE_1)
	s_or_b32 s49, s10, s11
	s_and_not1_b32 exec_lo, exec_lo, s48
	s_cbranch_execz .LBB199_47
.LBB199_41:                             ;   Parent Loop BB199_11 Depth=1
                                        ; =>  This Inner Loop Header: Depth=2
	s_wait_dscnt 0x1
	global_load_b32 v22, v[18:19], off
	s_wait_loadcnt 0x0
	v_subrev_nc_u32_e32 v22, s31, v22
	s_delay_alu instid0(VALU_DEP_1)
	v_cmp_lt_i32_e64 s10, v22, v41
	v_cmp_ge_i32_e64 s11, v22, v42
	v_cmp_lt_i32_e32 vcc_lo, v22, v42
	s_or_b32 s11, s10, s11
	s_mov_b32 s10, 0
	s_wait_xcnt 0x0
	s_and_saveexec_b32 s51, s11
	s_delay_alu instid0(SALU_CYCLE_1)
	s_xor_b32 s11, exec_lo, s51
; %bb.42:                               ;   in Loop: Header=BB199_41 Depth=2
	s_and_b32 s10, vcc_lo, exec_lo
; %bb.43:                               ;   in Loop: Header=BB199_41 Depth=2
	s_and_not1_saveexec_b32 s11, s11
	s_cbranch_execz .LBB199_45
; %bb.44:                               ;   in Loop: Header=BB199_41 Depth=2
	global_load_b64 v[24:25], v[20:21], off
	s_wait_dscnt 0x0
	v_sub_nc_u32_e32 v23, v22, v41
	s_or_b32 s10, s10, exec_lo
	ds_store_b8 v23, v40 offset:16384
	s_wait_loadcnt 0x0
	v_dual_mul_f64 v[24:25], v[4:5], v[24:25] :: v_dual_lshlrev_b32 v26, 3, v23
	ds_add_f64 v26, v[24:25]
.LBB199_45:                             ;   in Loop: Header=BB199_41 Depth=2
	s_wait_xcnt 0x0
	s_or_b32 exec_lo, exec_lo, s11
	s_mov_b32 s11, -1
	s_or_b32 s50, s50, exec_lo
	s_and_saveexec_b32 s51, s10
	s_cbranch_execz .LBB199_40
; %bb.46:                               ;   in Loop: Header=BB199_41 Depth=2
	v_add_nc_u64_e32 v[16:17], 0x200, v[16:17]
	v_add_nc_u64_e32 v[18:19], 0x800, v[18:19]
	v_add_nc_u64_e32 v[20:21], 0x1000, v[20:21]
	s_and_not1_b32 s50, s50, exec_lo
	s_delay_alu instid0(VALU_DEP_3)
	v_cmp_le_i64_e32 vcc_lo, s[12:13], v[16:17]
	s_or_not1_b32 s11, vcc_lo, exec_lo
	s_branch .LBB199_40
.LBB199_47:                             ;   in Loop: Header=BB199_11 Depth=1
	s_or_b32 exec_lo, exec_lo, s48
	s_and_saveexec_b32 s10, s49
	s_delay_alu instid0(SALU_CYCLE_1)
	s_xor_b32 s10, exec_lo, s10
; %bb.48:                               ;   in Loop: Header=BB199_11 Depth=1
	v_min_i32_e32 v43, v22, v43
; %bb.49:                               ;   in Loop: Header=BB199_11 Depth=1
	s_or_b32 exec_lo, exec_lo, s10
.LBB199_50:                             ;   in Loop: Header=BB199_11 Depth=1
	s_delay_alu instid0(SALU_CYCLE_1)
	s_or_b32 exec_lo, exec_lo, s47
.LBB199_51:                             ;   in Loop: Header=BB199_11 Depth=1
	ds_bpermute_b32 v16, v34, v43
	s_wait_dscnt 0x0
	v_min_i32_e32 v16, v16, v43
	ds_bpermute_b32 v17, v35, v16
	s_wait_dscnt 0x0
	v_min_i32_e32 v16, v17, v16
	;; [unrolled: 3-line block ×3, first 2 shown]
	ds_bpermute_b32 v17, v37, v16
	s_and_saveexec_b32 s10, s1
	s_cbranch_execz .LBB199_56
; %bb.52:                               ;   in Loop: Header=BB199_11 Depth=1
	s_wait_dscnt 0x0
	v_min_i32_e32 v16, v17, v16
	s_mov_b32 s12, exec_lo
	s_brev_b32 s11, -2
.LBB199_53:                             ;   Parent Loop BB199_11 Depth=1
                                        ; =>  This Inner Loop Header: Depth=2
	s_ctz_i32_b32 s13, s12
	s_delay_alu instid0(VALU_DEP_1) | instid1(SALU_CYCLE_1)
	v_readlane_b32 s47, v16, s13
	s_lshl_b32 s13, 1, s13
	s_delay_alu instid0(SALU_CYCLE_1)
	s_and_not1_b32 s12, s12, s13
	s_min_i32 s11, s11, s47
	s_cmp_lg_u32 s12, 0
	s_cbranch_scc1 .LBB199_53
; %bb.54:                               ;   in Loop: Header=BB199_11 Depth=1
	v_mbcnt_lo_u32_b32 v16, exec_lo, 0
	s_mov_b32 s12, exec_lo
	s_delay_alu instid0(VALU_DEP_1)
	v_cmpx_eq_u32_e32 0, v16
	s_xor_b32 s12, exec_lo, s12
; %bb.55:                               ;   in Loop: Header=BB199_11 Depth=1
	v_mov_b32_e32 v16, s11
	ds_min_i32 v7, v16 offset:18432
.LBB199_56:                             ;   in Loop: Header=BB199_11 Depth=1
	s_or_b32 exec_lo, exec_lo, s10
	v_dual_mov_b32 v20, v39 :: v_dual_mov_b32 v21, v38
	s_mov_b32 s10, 0
	s_wait_storecnt_dscnt 0x0
	s_barrier_signal -1
	s_barrier_wait -1
	s_branch .LBB199_58
.LBB199_57:                             ;   in Loop: Header=BB199_58 Depth=2
	s_or_b32 exec_lo, exec_lo, s11
	s_wait_storecnt_dscnt 0x0
	s_barrier_signal -1
	s_barrier_wait -1
	ds_load_b32 v16, v7 offset:28
	v_add_nc_u32_e32 v21, 0x200, v21
	v_add_nc_u32_e32 v20, 0x1000, v20
	s_delay_alu instid0(VALU_DEP_2) | instskip(SKIP_3) | instid1(VALU_DEP_1)
	v_cmp_lt_u32_e32 vcc_lo, 0x5ff, v21
	s_or_b32 s10, vcc_lo, s10
	s_wait_dscnt 0x0
	v_ashrrev_i32_e32 v17, 31, v16
	v_add_nc_u64_e32 v[0:1], v[0:1], v[16:17]
	s_and_not1_b32 exec_lo, exec_lo, s10
	s_cbranch_execz .LBB199_10
.LBB199_58:                             ;   Parent Loop BB199_11 Depth=1
                                        ; =>  This Inner Loop Header: Depth=2
	ds_load_u8 v18, v21 offset:16896
	ds_load_b64 v[16:17], v20
	s_wait_dscnt 0x0
	s_barrier_signal -1
	s_barrier_wait -1
	v_cmp_ne_u16_e32 vcc_lo, 0, v18
	s_bcnt1_i32_b32 s11, vcc_lo
	s_delay_alu instid0(SALU_CYCLE_1)
	v_mov_b32_e32 v19, s11
	s_mov_b32 s11, exec_lo
	ds_store_b32 v13, v19
	s_wait_dscnt 0x0
	s_barrier_signal -1
	s_barrier_wait -1
	ds_load_b128 v[22:25], v7
	ds_load_b96 v[26:28], v7 offset:16
	v_and_b32_e32 v19, vcc_lo, v12
	s_wait_dscnt 0x1
	v_cndmask_b32_e64 v22, v22, 0, s3
	v_cndmask_b32_e64 v23, v23, 0, s4
	;; [unrolled: 1-line block ×3, first 2 shown]
	s_delay_alu instid0(VALU_DEP_3) | instskip(SKIP_3) | instid1(VALU_DEP_3)
	v_bcnt_u32_b32 v19, v19, v22
	v_cndmask_b32_e64 v22, v25, 0, s6
	s_wait_dscnt 0x0
	v_cndmask_b32_e64 v25, v26, 0, s7
	v_add3_u32 v19, v19, v23, v24
	v_cndmask_b32_e64 v23, v27, 0, s8
	v_cndmask_b32_e64 v24, v28, 0, s9
	s_delay_alu instid0(VALU_DEP_3) | instskip(SKIP_1) | instid1(VALU_DEP_2)
	v_add3_u32 v19, v19, v22, v25
	v_and_b32_e32 v22, 1, v18
	v_add3_u32 v18, v19, v23, v24
	s_delay_alu instid0(VALU_DEP_2)
	v_cmpx_eq_u32_e32 1, v22
	s_cbranch_execz .LBB199_60
; %bb.59:                               ;   in Loop: Header=BB199_58 Depth=2
	v_lshl_add_u64 v[22:23], v[0:1], 3, s[36:37]
	s_delay_alu instid0(VALU_DEP_3) | instskip(NEXT) | instid1(VALU_DEP_1)
	v_ashrrev_i32_e32 v19, 31, v18
	v_lshl_add_u64 v[22:23], v[18:19], 3, v[22:23]
	global_store_b64 v[22:23], v[16:17], off offset:-8
.LBB199_60:                             ;   in Loop: Header=BB199_58 Depth=2
	s_wait_xcnt 0x0
	s_or_b32 exec_lo, exec_lo, s11
	s_and_saveexec_b32 s11, s2
	s_cbranch_execz .LBB199_57
; %bb.61:                               ;   in Loop: Header=BB199_58 Depth=2
	ds_store_b32 v7, v18 offset:28
	s_branch .LBB199_57
.LBB199_62:
	s_endpgm
	.section	.rodata,"a",@progbits
	.p2align	6, 0x0
	.amdhsa_kernel _ZN9rocsparseL51csrgemm_numeric_fill_block_per_row_multipass_kernelILj512ELj16ELj2048ELj64ElidEEvT4_PKS1_S3_NS_24const_host_device_scalarIT5_EEPKT3_S3_PKS5_S9_S3_SB_S6_S9_S3_SB_S9_S3_PS5_PS7_21rocsparse_index_base_SE_SE_SE_bbb
		.amdhsa_group_segment_fixed_size 18440
		.amdhsa_private_segment_fixed_size 0
		.amdhsa_kernarg_size 164
		.amdhsa_user_sgpr_count 2
		.amdhsa_user_sgpr_dispatch_ptr 0
		.amdhsa_user_sgpr_queue_ptr 0
		.amdhsa_user_sgpr_kernarg_segment_ptr 1
		.amdhsa_user_sgpr_dispatch_id 0
		.amdhsa_user_sgpr_kernarg_preload_length 0
		.amdhsa_user_sgpr_kernarg_preload_offset 0
		.amdhsa_user_sgpr_private_segment_size 0
		.amdhsa_wavefront_size32 1
		.amdhsa_uses_dynamic_stack 0
		.amdhsa_enable_private_segment 0
		.amdhsa_system_sgpr_workgroup_id_x 1
		.amdhsa_system_sgpr_workgroup_id_y 0
		.amdhsa_system_sgpr_workgroup_id_z 0
		.amdhsa_system_sgpr_workgroup_info 0
		.amdhsa_system_vgpr_workitem_id 0
		.amdhsa_next_free_vgpr 47
		.amdhsa_next_free_sgpr 53
		.amdhsa_named_barrier_count 0
		.amdhsa_reserve_vcc 1
		.amdhsa_float_round_mode_32 0
		.amdhsa_float_round_mode_16_64 0
		.amdhsa_float_denorm_mode_32 3
		.amdhsa_float_denorm_mode_16_64 3
		.amdhsa_fp16_overflow 0
		.amdhsa_memory_ordered 1
		.amdhsa_forward_progress 1
		.amdhsa_inst_pref_size 21
		.amdhsa_round_robin_scheduling 0
		.amdhsa_exception_fp_ieee_invalid_op 0
		.amdhsa_exception_fp_denorm_src 0
		.amdhsa_exception_fp_ieee_div_zero 0
		.amdhsa_exception_fp_ieee_overflow 0
		.amdhsa_exception_fp_ieee_underflow 0
		.amdhsa_exception_fp_ieee_inexact 0
		.amdhsa_exception_int_div_zero 0
	.end_amdhsa_kernel
	.section	.text._ZN9rocsparseL51csrgemm_numeric_fill_block_per_row_multipass_kernelILj512ELj16ELj2048ELj64ElidEEvT4_PKS1_S3_NS_24const_host_device_scalarIT5_EEPKT3_S3_PKS5_S9_S3_SB_S6_S9_S3_SB_S9_S3_PS5_PS7_21rocsparse_index_base_SE_SE_SE_bbb,"axG",@progbits,_ZN9rocsparseL51csrgemm_numeric_fill_block_per_row_multipass_kernelILj512ELj16ELj2048ELj64ElidEEvT4_PKS1_S3_NS_24const_host_device_scalarIT5_EEPKT3_S3_PKS5_S9_S3_SB_S6_S9_S3_SB_S9_S3_PS5_PS7_21rocsparse_index_base_SE_SE_SE_bbb,comdat
.Lfunc_end199:
	.size	_ZN9rocsparseL51csrgemm_numeric_fill_block_per_row_multipass_kernelILj512ELj16ELj2048ELj64ElidEEvT4_PKS1_S3_NS_24const_host_device_scalarIT5_EEPKT3_S3_PKS5_S9_S3_SB_S6_S9_S3_SB_S9_S3_PS5_PS7_21rocsparse_index_base_SE_SE_SE_bbb, .Lfunc_end199-_ZN9rocsparseL51csrgemm_numeric_fill_block_per_row_multipass_kernelILj512ELj16ELj2048ELj64ElidEEvT4_PKS1_S3_NS_24const_host_device_scalarIT5_EEPKT3_S3_PKS5_S9_S3_SB_S6_S9_S3_SB_S9_S3_PS5_PS7_21rocsparse_index_base_SE_SE_SE_bbb
                                        ; -- End function
	.set _ZN9rocsparseL51csrgemm_numeric_fill_block_per_row_multipass_kernelILj512ELj16ELj2048ELj64ElidEEvT4_PKS1_S3_NS_24const_host_device_scalarIT5_EEPKT3_S3_PKS5_S9_S3_SB_S6_S9_S3_SB_S9_S3_PS5_PS7_21rocsparse_index_base_SE_SE_SE_bbb.num_vgpr, 47
	.set _ZN9rocsparseL51csrgemm_numeric_fill_block_per_row_multipass_kernelILj512ELj16ELj2048ELj64ElidEEvT4_PKS1_S3_NS_24const_host_device_scalarIT5_EEPKT3_S3_PKS5_S9_S3_SB_S6_S9_S3_SB_S9_S3_PS5_PS7_21rocsparse_index_base_SE_SE_SE_bbb.num_agpr, 0
	.set _ZN9rocsparseL51csrgemm_numeric_fill_block_per_row_multipass_kernelILj512ELj16ELj2048ELj64ElidEEvT4_PKS1_S3_NS_24const_host_device_scalarIT5_EEPKT3_S3_PKS5_S9_S3_SB_S6_S9_S3_SB_S9_S3_PS5_PS7_21rocsparse_index_base_SE_SE_SE_bbb.numbered_sgpr, 53
	.set _ZN9rocsparseL51csrgemm_numeric_fill_block_per_row_multipass_kernelILj512ELj16ELj2048ELj64ElidEEvT4_PKS1_S3_NS_24const_host_device_scalarIT5_EEPKT3_S3_PKS5_S9_S3_SB_S6_S9_S3_SB_S9_S3_PS5_PS7_21rocsparse_index_base_SE_SE_SE_bbb.num_named_barrier, 0
	.set _ZN9rocsparseL51csrgemm_numeric_fill_block_per_row_multipass_kernelILj512ELj16ELj2048ELj64ElidEEvT4_PKS1_S3_NS_24const_host_device_scalarIT5_EEPKT3_S3_PKS5_S9_S3_SB_S6_S9_S3_SB_S9_S3_PS5_PS7_21rocsparse_index_base_SE_SE_SE_bbb.private_seg_size, 0
	.set _ZN9rocsparseL51csrgemm_numeric_fill_block_per_row_multipass_kernelILj512ELj16ELj2048ELj64ElidEEvT4_PKS1_S3_NS_24const_host_device_scalarIT5_EEPKT3_S3_PKS5_S9_S3_SB_S6_S9_S3_SB_S9_S3_PS5_PS7_21rocsparse_index_base_SE_SE_SE_bbb.uses_vcc, 1
	.set _ZN9rocsparseL51csrgemm_numeric_fill_block_per_row_multipass_kernelILj512ELj16ELj2048ELj64ElidEEvT4_PKS1_S3_NS_24const_host_device_scalarIT5_EEPKT3_S3_PKS5_S9_S3_SB_S6_S9_S3_SB_S9_S3_PS5_PS7_21rocsparse_index_base_SE_SE_SE_bbb.uses_flat_scratch, 0
	.set _ZN9rocsparseL51csrgemm_numeric_fill_block_per_row_multipass_kernelILj512ELj16ELj2048ELj64ElidEEvT4_PKS1_S3_NS_24const_host_device_scalarIT5_EEPKT3_S3_PKS5_S9_S3_SB_S6_S9_S3_SB_S9_S3_PS5_PS7_21rocsparse_index_base_SE_SE_SE_bbb.has_dyn_sized_stack, 0
	.set _ZN9rocsparseL51csrgemm_numeric_fill_block_per_row_multipass_kernelILj512ELj16ELj2048ELj64ElidEEvT4_PKS1_S3_NS_24const_host_device_scalarIT5_EEPKT3_S3_PKS5_S9_S3_SB_S6_S9_S3_SB_S9_S3_PS5_PS7_21rocsparse_index_base_SE_SE_SE_bbb.has_recursion, 0
	.set _ZN9rocsparseL51csrgemm_numeric_fill_block_per_row_multipass_kernelILj512ELj16ELj2048ELj64ElidEEvT4_PKS1_S3_NS_24const_host_device_scalarIT5_EEPKT3_S3_PKS5_S9_S3_SB_S6_S9_S3_SB_S9_S3_PS5_PS7_21rocsparse_index_base_SE_SE_SE_bbb.has_indirect_call, 0
	.section	.AMDGPU.csdata,"",@progbits
; Kernel info:
; codeLenInByte = 2572
; TotalNumSgprs: 55
; NumVgprs: 47
; ScratchSize: 0
; MemoryBound: 0
; FloatMode: 240
; IeeeMode: 1
; LDSByteSize: 18440 bytes/workgroup (compile time only)
; SGPRBlocks: 0
; VGPRBlocks: 2
; NumSGPRsForWavesPerEU: 55
; NumVGPRsForWavesPerEU: 47
; NamedBarCnt: 0
; Occupancy: 16
; WaveLimiterHint : 1
; COMPUTE_PGM_RSRC2:SCRATCH_EN: 0
; COMPUTE_PGM_RSRC2:USER_SGPR: 2
; COMPUTE_PGM_RSRC2:TRAP_HANDLER: 0
; COMPUTE_PGM_RSRC2:TGID_X_EN: 1
; COMPUTE_PGM_RSRC2:TGID_Y_EN: 0
; COMPUTE_PGM_RSRC2:TGID_Z_EN: 0
; COMPUTE_PGM_RSRC2:TIDIG_COMP_CNT: 0
	.section	.text._ZN9rocsparseL38csrgemm_numeric_fill_wf_per_row_kernelILj256ELj8ELj16ELj137Eli21rocsparse_complex_numIfEEEvT4_S3_PKS3_S5_NS_24const_host_device_scalarIT5_EEPKT3_S5_PKS7_SB_S5_SD_S8_SB_S5_SD_SB_S5_PS7_21rocsparse_index_base_SF_SF_SF_bbb,"axG",@progbits,_ZN9rocsparseL38csrgemm_numeric_fill_wf_per_row_kernelILj256ELj8ELj16ELj137Eli21rocsparse_complex_numIfEEEvT4_S3_PKS3_S5_NS_24const_host_device_scalarIT5_EEPKT3_S5_PKS7_SB_S5_SD_S8_SB_S5_SD_SB_S5_PS7_21rocsparse_index_base_SF_SF_SF_bbb,comdat
	.globl	_ZN9rocsparseL38csrgemm_numeric_fill_wf_per_row_kernelILj256ELj8ELj16ELj137Eli21rocsparse_complex_numIfEEEvT4_S3_PKS3_S5_NS_24const_host_device_scalarIT5_EEPKT3_S5_PKS7_SB_S5_SD_S8_SB_S5_SD_SB_S5_PS7_21rocsparse_index_base_SF_SF_SF_bbb ; -- Begin function _ZN9rocsparseL38csrgemm_numeric_fill_wf_per_row_kernelILj256ELj8ELj16ELj137Eli21rocsparse_complex_numIfEEEvT4_S3_PKS3_S5_NS_24const_host_device_scalarIT5_EEPKT3_S5_PKS7_SB_S5_SD_S8_SB_S5_SD_SB_S5_PS7_21rocsparse_index_base_SF_SF_SF_bbb
	.p2align	8
	.type	_ZN9rocsparseL38csrgemm_numeric_fill_wf_per_row_kernelILj256ELj8ELj16ELj137Eli21rocsparse_complex_numIfEEEvT4_S3_PKS3_S5_NS_24const_host_device_scalarIT5_EEPKT3_S5_PKS7_SB_S5_SD_S8_SB_S5_SD_SB_S5_PS7_21rocsparse_index_base_SF_SF_SF_bbb,@function
_ZN9rocsparseL38csrgemm_numeric_fill_wf_per_row_kernelILj256ELj8ELj16ELj137Eli21rocsparse_complex_numIfEEEvT4_S3_PKS3_S5_NS_24const_host_device_scalarIT5_EEPKT3_S5_PKS7_SB_S5_SD_S8_SB_S5_SD_SB_S5_PS7_21rocsparse_index_base_SF_SF_SF_bbb: ; @_ZN9rocsparseL38csrgemm_numeric_fill_wf_per_row_kernelILj256ELj8ELj16ELj137Eli21rocsparse_complex_numIfEEEvT4_S3_PKS3_S5_NS_24const_host_device_scalarIT5_EEPKT3_S5_PKS7_SB_S5_SD_S8_SB_S5_SD_SB_S5_PS7_21rocsparse_index_base_SF_SF_SF_bbb
; %bb.0:
	s_clause 0x3
	s_load_b32 s33, s[0:1], 0x98
	s_load_b128 s[20:23], s[0:1], 0x88
	s_load_b128 s[28:31], s[0:1], 0x8
	s_load_b64 s[36:37], s[0:1], 0x50
	s_mov_b32 s35, 0
	s_mov_b32 s38, 0
	s_wait_kmcnt 0x0
	s_bitcmp1_b32 s33, 0
	s_cselect_b32 s40, -1, 0
	s_bitcmp1_b32 s33, 16
	s_cselect_b32 s2, -1, 0
	s_delay_alu instid0(SALU_CYCLE_1) | instskip(SKIP_2) | instid1(VALU_DEP_1)
	s_xor_b32 s2, s2, -1
	s_bitcmp0_b32 s33, 0
	v_cndmask_b32_e64 v1, 0, 1, s2
	v_cmp_ne_u32_e32 vcc_lo, 1, v1
	s_cbranch_scc1 .LBB200_5
; %bb.1:
	s_load_b64 s[34:35], s[0:1], 0x18
	s_and_b32 vcc_lo, exec_lo, vcc_lo
	s_wait_kmcnt 0x0
	s_mov_b32 s38, s34
	s_cbranch_vccnz .LBB200_3
; %bb.2:
	s_load_b32 s38, s[34:35], 0x0
.LBB200_3:
	s_and_not1_b32 vcc_lo, exec_lo, s2
	s_cbranch_vccnz .LBB200_5
; %bb.4:
	s_wait_xcnt 0x0
	s_load_b32 s35, s[34:35], 0x4
.LBB200_5:
	s_clause 0x3
	s_load_b64 s[2:3], s[0:1], 0x80
	s_load_b256 s[4:11], s[0:1], 0x58
	s_load_b128 s[24:27], s[0:1], 0x40
	s_load_b256 s[12:19], s[0:1], 0x20
	s_bitcmp1_b32 s33, 8
	s_cselect_b32 s39, -1, 0
	s_wait_xcnt 0x0
	s_bfe_u32 s34, s33, 0x10008
	s_mov_b32 s33, 0
	s_cmp_eq_u32 s34, 0
	s_mov_b32 s34, 0
	s_cbranch_scc1 .LBB200_11
; %bb.6:
	v_cmp_ne_u32_e32 vcc_lo, 1, v1
	s_mov_b32 s33, s36
	s_cbranch_vccnz .LBB200_8
; %bb.7:
	s_load_b32 s33, s[36:37], 0x0
.LBB200_8:
	v_cmp_ne_u32_e32 vcc_lo, 1, v1
	s_cbranch_vccnz .LBB200_10
; %bb.9:
	s_wait_xcnt 0x0
	s_load_b32 s37, s[36:37], 0x4
.LBB200_10:
	s_wait_kmcnt 0x0
	s_mov_b32 s34, s37
.LBB200_11:
	s_load_b64 s[0:1], s[0:1], 0x0
	v_dual_lshrrev_b32 v2, 3, v0 :: v_dual_bitop2_b32 v6, 7, v0 bitop3:0x40
	s_mov_b32 s36, 0
	s_delay_alu instid0(VALU_DEP_1) | instskip(NEXT) | instid1(VALU_DEP_2)
	v_lshlrev_b32_e32 v0, 6, v2
	v_dual_lshlrev_b32 v1, 2, v6 :: v_dual_lshlrev_b32 v3, 3, v6
	s_delay_alu instid0(VALU_DEP_1) | instskip(NEXT) | instid1(VALU_DEP_2)
	v_or3_b32 v14, v0, v1, 0x1000
	v_lshl_or_b32 v15, v2, 7, v3
	v_or_b32_e32 v16, -8, v6
	v_mov_b64_e32 v[0:1], 0
	s_delay_alu instid0(VALU_DEP_3) | instskip(SKIP_1) | instid1(VALU_DEP_3)
	v_dual_mov_b32 v3, v14 :: v_dual_mov_b32 v4, v15
	s_wait_kmcnt 0x0
	v_dual_mov_b32 v7, v16 :: v_dual_mov_b32 v5, s1
.LBB200_12:                             ; =>This Inner Loop Header: Depth=1
	s_delay_alu instid0(VALU_DEP_1)
	v_add_co_u32 v7, s37, v7, 8
	s_xor_b32 s37, s37, -1
	ds_store_b32 v3, v5
	ds_store_b64 v4, v[0:1]
	v_dual_add_nc_u32 v4, 64, v4 :: v_dual_add_nc_u32 v3, 32, v3
	s_and_b32 s37, exec_lo, s37
	s_delay_alu instid0(SALU_CYCLE_1) | instskip(NEXT) | instid1(SALU_CYCLE_1)
	s_or_b32 s36, s37, s36
	s_and_not1_b32 exec_lo, exec_lo, s36
	s_cbranch_execnz .LBB200_12
; %bb.13:
	s_or_b32 exec_lo, exec_lo, s36
	s_bfe_u32 s36, ttmp6, 0x4000c
	s_and_b32 s37, ttmp6, 15
	s_add_co_i32 s36, s36, 1
	s_getreg_b32 s41, hwreg(HW_REG_IB_STS2, 6, 4)
	s_mul_i32 s36, ttmp9, s36
	s_wait_dscnt 0x0
	s_add_co_i32 s37, s37, s36
	s_cmp_eq_u32 s41, 0
	s_cselect_b32 s36, ttmp9, s37
	s_delay_alu instid0(SALU_CYCLE_1) | instskip(NEXT) | instid1(SALU_CYCLE_1)
	s_lshl_b32 s36, s36, 5
	v_and_or_b32 v4, 0x1fffffe0, s36, v2
	s_delay_alu instid0(VALU_DEP_1)
	v_cmp_gt_i32_e32 vcc_lo, s0, v4
	s_and_saveexec_b32 s0, vcc_lo
	s_cbranch_execz .LBB200_52
; %bb.14:
	s_cmp_eq_u64 s[30:31], 0
	s_cbranch_scc1 .LBB200_16
; %bb.15:
	s_load_b32 s0, s[28:29], 0x0
	s_wait_kmcnt 0x0
	v_add_nc_u32_e32 v0, s0, v4
	global_load_b32 v4, v0, s[30:31] scale_offset
.LBB200_16:
	v_lshl_or_b32 v17, v2, 6, 0x1000
	s_wait_loadcnt 0x0
	v_dual_lshlrev_b32 v18, 7, v2 :: v_dual_ashrrev_i32 v5, 31, v4
	s_and_not1_b32 vcc_lo, exec_lo, s40
	s_cbranch_vccnz .LBB200_34
; %bb.17:
	s_delay_alu instid0(VALU_DEP_1)
	v_lshl_add_u64 v[0:1], v[4:5], 3, s[12:13]
	v_mov_b32_e32 v7, 0
	s_mov_b32 s13, 0
	s_mov_b32 s12, s20
	s_mov_b32 s0, exec_lo
	global_load_b128 v[0:3], v[0:1], off
	v_sub_nc_u64_e64 v[10:11], v[6:7], s[12:13]
	s_wait_loadcnt 0x0
	v_sub_nc_u64_e64 v[8:9], v[2:3], s[12:13]
	s_delay_alu instid0(VALU_DEP_2) | instskip(NEXT) | instid1(VALU_DEP_1)
	v_add_nc_u64_e32 v[10:11], v[0:1], v[10:11]
	v_cmpx_lt_i64_e64 v[10:11], v[8:9]
	s_cbranch_execz .LBB200_33
; %bb.18:
	s_mov_b32 s12, s21
	s_mov_b32 s28, s13
	s_branch .LBB200_20
.LBB200_19:                             ;   in Loop: Header=BB200_20 Depth=1
	s_or_b32 exec_lo, exec_lo, s29
	v_add_nc_u64_e32 v[10:11], 8, v[10:11]
	s_delay_alu instid0(VALU_DEP_1) | instskip(SKIP_1) | instid1(SALU_CYCLE_1)
	v_cmp_ge_i64_e32 vcc_lo, v[10:11], v[8:9]
	s_or_b32 s28, vcc_lo, s28
	s_and_not1_b32 exec_lo, exec_lo, s28
	s_cbranch_execz .LBB200_33
.LBB200_20:                             ; =>This Loop Header: Depth=1
                                        ;     Child Loop BB200_24 Depth 2
                                        ;       Child Loop BB200_27 Depth 3
	v_lshl_add_u64 v[0:1], v[10:11], 2, s[14:15]
	s_mov_b32 s29, exec_lo
	global_load_b32 v0, v[0:1], off
	s_wait_loadcnt 0x0
	s_wait_xcnt 0x0
	v_subrev_nc_u32_e32 v0, s20, v0
	s_delay_alu instid0(VALU_DEP_1) | instskip(NEXT) | instid1(VALU_DEP_1)
	v_ashrrev_i32_e32 v1, 31, v0
	v_lshl_add_u64 v[0:1], v[0:1], 3, s[18:19]
	global_load_b128 v[0:3], v[0:1], off
	s_wait_loadcnt 0x0
	s_wait_xcnt 0x0
	v_cmpx_lt_i64_e64 v[0:1], v[2:3]
	s_cbranch_execz .LBB200_19
; %bb.21:                               ;   in Loop: Header=BB200_20 Depth=1
	v_lshl_add_u64 v[12:13], v[10:11], 3, s[16:17]
	v_sub_nc_u64_e64 v[2:3], v[2:3], s[12:13]
	v_sub_nc_u64_e64 v[0:1], v[0:1], s[12:13]
	s_mov_b32 s30, 0
	global_load_b64 v[12:13], v[12:13], off
	s_wait_loadcnt 0x0
	v_mul_f32_e64 v7, v13, -s35
	s_delay_alu instid0(VALU_DEP_1) | instskip(NEXT) | instid1(VALU_DEP_1)
	v_dual_mul_f32 v19, s38, v13 :: v_dual_fmac_f32 v7, s38, v12
	v_fmac_f32_e32 v19, s35, v12
	s_branch .LBB200_24
.LBB200_22:                             ;   in Loop: Header=BB200_24 Depth=2
	s_or_b32 exec_lo, exec_lo, s36
.LBB200_23:                             ;   in Loop: Header=BB200_24 Depth=2
	s_delay_alu instid0(SALU_CYCLE_1) | instskip(SKIP_4) | instid1(VALU_DEP_3)
	s_or_b32 exec_lo, exec_lo, s31
	s_wait_loadcnt 0x0
	v_dual_mul_f32 v21, v13, -v19 :: v_dual_mul_f32 v13, v7, v13
	v_lshl_add_u32 v20, v20, 3, v18
	v_add_nc_u64_e32 v[0:1], 1, v[0:1]
	v_fmac_f32_e32 v21, v7, v12
	s_delay_alu instid0(VALU_DEP_4) | instskip(SKIP_4) | instid1(SALU_CYCLE_1)
	v_fmac_f32_e32 v13, v19, v12
	ds_add_f32 v20, v21
	ds_add_f32 v20, v13 offset:4
	v_cmp_ge_i64_e32 vcc_lo, v[0:1], v[2:3]
	s_or_b32 s30, vcc_lo, s30
	s_and_not1_b32 exec_lo, exec_lo, s30
	s_cbranch_execz .LBB200_19
.LBB200_24:                             ;   Parent Loop BB200_20 Depth=1
                                        ; =>  This Loop Header: Depth=2
                                        ;       Child Loop BB200_27 Depth 3
	s_wait_xcnt 0x0
	v_lshl_add_u64 v[12:13], v[0:1], 2, s[24:25]
	s_mov_b32 s31, exec_lo
	global_load_b32 v20, v[12:13], off
	s_wait_xcnt 0x0
	v_lshl_add_u64 v[12:13], v[0:1], 3, s[26:27]
	global_load_b64 v[12:13], v[12:13], off
	s_wait_loadcnt 0x1
	v_subrev_nc_u32_e32 v21, s21, v20
	s_delay_alu instid0(VALU_DEP_1) | instskip(NEXT) | instid1(VALU_DEP_1)
	v_lshl_add_u32 v20, v21, 3, v21
	v_and_b32_e32 v20, 15, v20
	s_delay_alu instid0(VALU_DEP_1)
	v_lshl_add_u32 v22, v20, 2, v17
	ds_load_b32 v23, v22
	s_wait_dscnt 0x0
	s_wait_xcnt 0x0
	v_cmpx_ne_u32_e64 v23, v21
	s_cbranch_execz .LBB200_23
; %bb.25:                               ;   in Loop: Header=BB200_24 Depth=2
	s_mov_b32 s36, 0
	s_branch .LBB200_27
.LBB200_26:                             ;   in Loop: Header=BB200_27 Depth=3
	s_or_b32 exec_lo, exec_lo, s41
	s_delay_alu instid0(SALU_CYCLE_1) | instskip(NEXT) | instid1(SALU_CYCLE_1)
	s_and_b32 s37, exec_lo, s40
	s_or_b32 s36, s37, s36
	s_delay_alu instid0(SALU_CYCLE_1)
	s_and_not1_b32 exec_lo, exec_lo, s36
	s_cbranch_execz .LBB200_22
.LBB200_27:                             ;   Parent Loop BB200_20 Depth=1
                                        ;     Parent Loop BB200_24 Depth=2
                                        ; =>    This Inner Loop Header: Depth=3
	s_mov_b32 s37, 0
	s_mov_b32 s40, exec_lo
	v_cmpx_ne_u32_e64 s1, v23
	s_xor_b32 s40, exec_lo, s40
	s_cbranch_execz .LBB200_29
; %bb.28:                               ;   in Loop: Header=BB200_27 Depth=3
	v_add_nc_u32_e32 v20, 1, v20
	s_mov_b32 s37, exec_lo
                                        ; implicit-def: $vgpr22
	s_delay_alu instid0(VALU_DEP_1)
	v_and_b32_e32 v20, 15, v20
	s_and_not1_saveexec_b32 s40, s40
	s_cbranch_execz .LBB200_31
	s_branch .LBB200_30
.LBB200_29:                             ;   in Loop: Header=BB200_27 Depth=3
	s_and_not1_saveexec_b32 s40, s40
	s_cbranch_execz .LBB200_31
.LBB200_30:                             ;   in Loop: Header=BB200_27 Depth=3
	v_mov_b32_e32 v23, s1
	s_and_not1_b32 s37, s37, exec_lo
	ds_cmpstore_rtn_b32 v22, v22, v21, v23
	s_wait_dscnt 0x0
	v_cmp_ne_u32_e32 vcc_lo, s1, v22
	s_and_b32 s41, vcc_lo, exec_lo
	s_delay_alu instid0(SALU_CYCLE_1)
	s_or_b32 s37, s37, s41
.LBB200_31:                             ;   in Loop: Header=BB200_27 Depth=3
	s_or_b32 exec_lo, exec_lo, s40
	s_mov_b32 s40, -1
                                        ; implicit-def: $vgpr22
                                        ; implicit-def: $vgpr23
	s_and_saveexec_b32 s41, s37
	s_cbranch_execz .LBB200_26
; %bb.32:                               ;   in Loop: Header=BB200_27 Depth=3
	v_lshl_add_u32 v22, v20, 2, v17
	ds_load_b32 v23, v22
	s_wait_dscnt 0x0
	v_cmp_eq_u32_e32 vcc_lo, v23, v21
	s_or_not1_b32 s40, vcc_lo, exec_lo
	s_branch .LBB200_26
.LBB200_33:
	s_or_b32 exec_lo, exec_lo, s0
.LBB200_34:
	s_delay_alu instid0(SALU_CYCLE_1)
	s_and_not1_b32 vcc_lo, exec_lo, s39
	s_cbranch_vccnz .LBB200_37
; %bb.35:
	v_lshl_add_u64 v[0:1], v[4:5], 3, s[4:5]
	v_mov_b32_e32 v7, 0
	s_mov_b32 s5, 0
	s_mov_b32 s4, s23
	s_mov_b32 s0, exec_lo
	global_load_b128 v[8:11], v[0:1], off
	v_sub_nc_u64_e64 v[2:3], v[6:7], s[4:5]
	s_wait_loadcnt 0x0
	v_sub_nc_u64_e64 v[0:1], v[10:11], s[4:5]
	s_delay_alu instid0(VALU_DEP_2) | instskip(NEXT) | instid1(VALU_DEP_1)
	v_add_nc_u64_e32 v[2:3], v[8:9], v[2:3]
	v_cmpx_lt_i64_e64 v[2:3], v[0:1]
	s_cbranch_execnz .LBB200_43
.LBB200_36:
	s_or_b32 exec_lo, exec_lo, s0
.LBB200_37:
	v_lshl_add_u64 v[0:1], v[4:5], 3, s[10:11]
	s_wait_dscnt 0x0
	s_mov_b32 s23, 0
	v_mov_b32_e32 v3, 0
	global_load_b64 v[0:1], v[0:1], off
	s_wait_loadcnt 0x0
	v_sub_nc_u64_e64 v[0:1], v[0:1], s[22:23]
	s_delay_alu instid0(VALU_DEP_1)
	v_lshl_add_u64 v[0:1], v[0:1], 3, s[2:3]
	s_branch .LBB200_39
.LBB200_38:                             ;   in Loop: Header=BB200_39 Depth=1
	s_wait_xcnt 0x0
	s_or_b32 exec_lo, exec_lo, s0
	v_add_co_u32 v16, s0, v16, 8
	s_xor_b32 s0, s0, -1
	v_dual_add_nc_u32 v15, 64, v15 :: v_dual_add_nc_u32 v14, 32, v14
	s_and_b32 s0, exec_lo, s0
	s_delay_alu instid0(SALU_CYCLE_1) | instskip(NEXT) | instid1(SALU_CYCLE_1)
	s_or_b32 s23, s0, s23
	s_and_not1_b32 exec_lo, exec_lo, s23
	s_cbranch_execz .LBB200_52
.LBB200_39:                             ; =>This Inner Loop Header: Depth=1
	ds_load_b32 v4, v14
	s_mov_b32 s0, exec_lo
	s_wait_dscnt 0x0
	v_cmpx_gt_i32_e64 s1, v4
	s_cbranch_execz .LBB200_38
; %bb.40:                               ;   in Loop: Header=BB200_39 Depth=1
	ds_load_b128 v[6:9], v17
	ds_load_b128 v[10:13], v17 offset:16
	s_wait_dscnt 0x1
	v_cmp_gt_i32_e32 vcc_lo, v4, v6
	v_cndmask_b32_e64 v2, 0, 1, vcc_lo
	v_cmp_gt_i32_e32 vcc_lo, v4, v7
	s_delay_alu instid0(VALU_DEP_2) | instskip(SKIP_2) | instid1(VALU_DEP_3)
	v_lshlrev_b32_e32 v2, 3, v2
	v_cndmask_b32_e64 v5, 0, 1, vcc_lo
	v_cmp_gt_i32_e32 vcc_lo, v4, v8
	v_add_nc_u64_e32 v[6:7], v[0:1], v[2:3]
	s_delay_alu instid0(VALU_DEP_3) | instskip(SKIP_2) | instid1(VALU_DEP_3)
	v_lshlrev_b32_e32 v2, 3, v5
	v_cndmask_b32_e64 v5, 0, 1, vcc_lo
	v_cmp_gt_i32_e32 vcc_lo, v4, v9
	v_add_nc_u64_e32 v[6:7], v[6:7], v[2:3]
	s_delay_alu instid0(VALU_DEP_3) | instskip(SKIP_3) | instid1(VALU_DEP_3)
	v_lshlrev_b32_e32 v2, 3, v5
	v_cndmask_b32_e64 v5, 0, 1, vcc_lo
	s_wait_dscnt 0x0
	v_cmp_gt_i32_e32 vcc_lo, v4, v10
	v_add_nc_u64_e32 v[6:7], v[6:7], v[2:3]
	s_delay_alu instid0(VALU_DEP_3) | instskip(SKIP_2) | instid1(VALU_DEP_3)
	v_lshlrev_b32_e32 v2, 3, v5
	v_cndmask_b32_e64 v5, 0, 1, vcc_lo
	v_cmp_gt_i32_e32 vcc_lo, v4, v11
	v_add_nc_u64_e32 v[18:19], v[6:7], v[2:3]
	ds_load_b128 v[6:9], v17 offset:32
	v_lshlrev_b32_e32 v2, 3, v5
	v_cndmask_b32_e64 v5, 0, 1, vcc_lo
	v_cmp_gt_i32_e32 vcc_lo, v4, v12
	s_delay_alu instid0(VALU_DEP_3) | instskip(NEXT) | instid1(VALU_DEP_3)
	v_add_nc_u64_e32 v[10:11], v[18:19], v[2:3]
	v_lshlrev_b32_e32 v2, 3, v5
	v_cndmask_b32_e64 v5, 0, 1, vcc_lo
	v_cmp_gt_i32_e32 vcc_lo, v4, v13
	s_delay_alu instid0(VALU_DEP_3) | instskip(NEXT) | instid1(VALU_DEP_3)
	v_add_nc_u64_e32 v[10:11], v[10:11], v[2:3]
	v_lshlrev_b32_e32 v2, 3, v5
	v_cndmask_b32_e64 v5, 0, 1, vcc_lo
	s_delay_alu instid0(VALU_DEP_2)
	v_add_nc_u64_e32 v[18:19], v[10:11], v[2:3]
	ds_load_b128 v[10:13], v17 offset:48
	s_wait_dscnt 0x1
	v_cmp_gt_i32_e32 vcc_lo, v4, v6
	v_lshlrev_b32_e32 v2, 3, v5
	v_cndmask_b32_e64 v5, 0, 1, vcc_lo
	v_cmp_gt_i32_e32 vcc_lo, v4, v7
	s_delay_alu instid0(VALU_DEP_3) | instskip(NEXT) | instid1(VALU_DEP_3)
	v_add_nc_u64_e32 v[18:19], v[18:19], v[2:3]
	v_lshlrev_b32_e32 v2, 3, v5
	v_cndmask_b32_e64 v5, 0, 1, vcc_lo
	v_cmp_gt_i32_e32 vcc_lo, v4, v8
	s_delay_alu instid0(VALU_DEP_3) | instskip(NEXT) | instid1(VALU_DEP_3)
	v_add_nc_u64_e32 v[6:7], v[18:19], v[2:3]
	v_lshlrev_b32_e32 v2, 3, v5
	v_cndmask_b32_e64 v5, 0, 1, vcc_lo
	v_cmp_gt_i32_e32 vcc_lo, v4, v9
	ds_load_b64 v[8:9], v15
	v_add_nc_u64_e32 v[6:7], v[6:7], v[2:3]
	v_lshlrev_b32_e32 v2, 3, v5
	v_cndmask_b32_e64 v5, 0, 1, vcc_lo
	s_wait_dscnt 0x1
	v_cmp_gt_i32_e32 vcc_lo, v4, v10
	s_delay_alu instid0(VALU_DEP_3) | instskip(NEXT) | instid1(VALU_DEP_3)
	v_add_nc_u64_e32 v[6:7], v[6:7], v[2:3]
	v_lshlrev_b32_e32 v2, 3, v5
	v_cndmask_b32_e64 v5, 0, 1, vcc_lo
	v_cmp_gt_i32_e32 vcc_lo, v4, v11
	s_delay_alu instid0(VALU_DEP_3) | instskip(NEXT) | instid1(VALU_DEP_3)
	v_add_nc_u64_e32 v[6:7], v[6:7], v[2:3]
	v_lshlrev_b32_e32 v2, 3, v5
	v_cndmask_b32_e64 v5, 0, 1, vcc_lo
	;; [unrolled: 5-line block ×4, first 2 shown]
	s_delay_alu instid0(VALU_DEP_2) | instskip(NEXT) | instid1(VALU_DEP_2)
	v_add_nc_u64_e32 v[4:5], v[6:7], v[2:3]
	v_lshlrev_b32_e32 v2, 3, v10
	s_delay_alu instid0(VALU_DEP_1)
	v_add_nc_u64_e32 v[4:5], v[4:5], v[2:3]
	s_wait_dscnt 0x0
	global_store_b64 v[4:5], v[8:9], off
	s_branch .LBB200_38
.LBB200_41:                             ;   in Loop: Header=BB200_43 Depth=1
	s_or_b32 exec_lo, exec_lo, s12
.LBB200_42:                             ;   in Loop: Header=BB200_43 Depth=1
	s_delay_alu instid0(SALU_CYCLE_1)
	s_or_b32 exec_lo, exec_lo, s4
	s_wait_loadcnt 0x0
	v_mul_f32_e64 v9, v7, -s34
	v_mul_f32_e32 v7, s33, v7
	v_lshl_add_u32 v8, v8, 3, v18
	v_add_nc_u64_e32 v[2:3], 8, v[2:3]
	s_delay_alu instid0(VALU_DEP_3) | instskip(SKIP_4) | instid1(SALU_CYCLE_1)
	v_dual_fmac_f32 v9, s33, v6 :: v_dual_fmac_f32 v7, s34, v6
	ds_add_f32 v8, v9
	ds_add_f32 v8, v7 offset:4
	v_cmp_ge_i64_e32 vcc_lo, v[2:3], v[0:1]
	s_or_b32 s5, vcc_lo, s5
	s_and_not1_b32 exec_lo, exec_lo, s5
	s_cbranch_execz .LBB200_36
.LBB200_43:                             ; =>This Loop Header: Depth=1
                                        ;     Child Loop BB200_46 Depth 2
	v_lshl_add_u64 v[6:7], v[2:3], 2, s[6:7]
	s_mov_b32 s4, exec_lo
	global_load_b32 v8, v[6:7], off
	s_wait_xcnt 0x0
	v_lshl_add_u64 v[6:7], v[2:3], 3, s[8:9]
	global_load_b64 v[6:7], v[6:7], off
	s_wait_loadcnt 0x1
	v_subrev_nc_u32_e32 v9, s23, v8
	s_delay_alu instid0(VALU_DEP_1) | instskip(NEXT) | instid1(VALU_DEP_1)
	v_lshl_add_u32 v8, v9, 3, v9
	v_and_b32_e32 v8, 15, v8
	s_delay_alu instid0(VALU_DEP_1)
	v_lshl_add_u32 v10, v8, 2, v17
	ds_load_b32 v11, v10
	s_wait_dscnt 0x0
	s_wait_xcnt 0x0
	v_cmpx_ne_u32_e64 v11, v9
	s_cbranch_execz .LBB200_42
; %bb.44:                               ;   in Loop: Header=BB200_43 Depth=1
	s_mov_b32 s12, 0
	s_branch .LBB200_46
.LBB200_45:                             ;   in Loop: Header=BB200_46 Depth=2
	s_or_b32 exec_lo, exec_lo, s15
	s_delay_alu instid0(SALU_CYCLE_1) | instskip(NEXT) | instid1(SALU_CYCLE_1)
	s_and_b32 s13, exec_lo, s14
	s_or_b32 s12, s13, s12
	s_delay_alu instid0(SALU_CYCLE_1)
	s_and_not1_b32 exec_lo, exec_lo, s12
	s_cbranch_execz .LBB200_41
.LBB200_46:                             ;   Parent Loop BB200_43 Depth=1
                                        ; =>  This Inner Loop Header: Depth=2
	s_mov_b32 s13, 0
	s_mov_b32 s14, exec_lo
	v_cmpx_ne_u32_e64 s1, v11
	s_xor_b32 s14, exec_lo, s14
	s_cbranch_execz .LBB200_48
; %bb.47:                               ;   in Loop: Header=BB200_46 Depth=2
	v_add_nc_u32_e32 v8, 1, v8
	s_mov_b32 s13, exec_lo
                                        ; implicit-def: $vgpr10
	s_delay_alu instid0(VALU_DEP_1)
	v_and_b32_e32 v8, 15, v8
	s_and_not1_saveexec_b32 s14, s14
	s_cbranch_execz .LBB200_50
	s_branch .LBB200_49
.LBB200_48:                             ;   in Loop: Header=BB200_46 Depth=2
	s_and_not1_saveexec_b32 s14, s14
	s_cbranch_execz .LBB200_50
.LBB200_49:                             ;   in Loop: Header=BB200_46 Depth=2
	v_mov_b32_e32 v11, s1
	s_and_not1_b32 s13, s13, exec_lo
	ds_cmpstore_rtn_b32 v10, v10, v9, v11
	s_wait_dscnt 0x0
	v_cmp_ne_u32_e32 vcc_lo, s1, v10
	s_and_b32 s15, vcc_lo, exec_lo
	s_delay_alu instid0(SALU_CYCLE_1)
	s_or_b32 s13, s13, s15
.LBB200_50:                             ;   in Loop: Header=BB200_46 Depth=2
	s_or_b32 exec_lo, exec_lo, s14
	s_mov_b32 s14, -1
                                        ; implicit-def: $vgpr10
                                        ; implicit-def: $vgpr11
	s_and_saveexec_b32 s15, s13
	s_cbranch_execz .LBB200_45
; %bb.51:                               ;   in Loop: Header=BB200_46 Depth=2
	v_lshl_add_u32 v10, v8, 2, v17
	ds_load_b32 v11, v10
	s_wait_dscnt 0x0
	v_cmp_eq_u32_e32 vcc_lo, v11, v9
	s_or_not1_b32 s14, vcc_lo, exec_lo
	s_branch .LBB200_45
.LBB200_52:
	s_endpgm
	.section	.rodata,"a",@progbits
	.p2align	6, 0x0
	.amdhsa_kernel _ZN9rocsparseL38csrgemm_numeric_fill_wf_per_row_kernelILj256ELj8ELj16ELj137Eli21rocsparse_complex_numIfEEEvT4_S3_PKS3_S5_NS_24const_host_device_scalarIT5_EEPKT3_S5_PKS7_SB_S5_SD_S8_SB_S5_SD_SB_S5_PS7_21rocsparse_index_base_SF_SF_SF_bbb
		.amdhsa_group_segment_fixed_size 6144
		.amdhsa_private_segment_fixed_size 0
		.amdhsa_kernarg_size 156
		.amdhsa_user_sgpr_count 2
		.amdhsa_user_sgpr_dispatch_ptr 0
		.amdhsa_user_sgpr_queue_ptr 0
		.amdhsa_user_sgpr_kernarg_segment_ptr 1
		.amdhsa_user_sgpr_dispatch_id 0
		.amdhsa_user_sgpr_kernarg_preload_length 0
		.amdhsa_user_sgpr_kernarg_preload_offset 0
		.amdhsa_user_sgpr_private_segment_size 0
		.amdhsa_wavefront_size32 1
		.amdhsa_uses_dynamic_stack 0
		.amdhsa_enable_private_segment 0
		.amdhsa_system_sgpr_workgroup_id_x 1
		.amdhsa_system_sgpr_workgroup_id_y 0
		.amdhsa_system_sgpr_workgroup_id_z 0
		.amdhsa_system_sgpr_workgroup_info 0
		.amdhsa_system_vgpr_workitem_id 0
		.amdhsa_next_free_vgpr 24
		.amdhsa_next_free_sgpr 42
		.amdhsa_named_barrier_count 0
		.amdhsa_reserve_vcc 1
		.amdhsa_float_round_mode_32 0
		.amdhsa_float_round_mode_16_64 0
		.amdhsa_float_denorm_mode_32 3
		.amdhsa_float_denorm_mode_16_64 3
		.amdhsa_fp16_overflow 0
		.amdhsa_memory_ordered 1
		.amdhsa_forward_progress 1
		.amdhsa_inst_pref_size 19
		.amdhsa_round_robin_scheduling 0
		.amdhsa_exception_fp_ieee_invalid_op 0
		.amdhsa_exception_fp_denorm_src 0
		.amdhsa_exception_fp_ieee_div_zero 0
		.amdhsa_exception_fp_ieee_overflow 0
		.amdhsa_exception_fp_ieee_underflow 0
		.amdhsa_exception_fp_ieee_inexact 0
		.amdhsa_exception_int_div_zero 0
	.end_amdhsa_kernel
	.section	.text._ZN9rocsparseL38csrgemm_numeric_fill_wf_per_row_kernelILj256ELj8ELj16ELj137Eli21rocsparse_complex_numIfEEEvT4_S3_PKS3_S5_NS_24const_host_device_scalarIT5_EEPKT3_S5_PKS7_SB_S5_SD_S8_SB_S5_SD_SB_S5_PS7_21rocsparse_index_base_SF_SF_SF_bbb,"axG",@progbits,_ZN9rocsparseL38csrgemm_numeric_fill_wf_per_row_kernelILj256ELj8ELj16ELj137Eli21rocsparse_complex_numIfEEEvT4_S3_PKS3_S5_NS_24const_host_device_scalarIT5_EEPKT3_S5_PKS7_SB_S5_SD_S8_SB_S5_SD_SB_S5_PS7_21rocsparse_index_base_SF_SF_SF_bbb,comdat
.Lfunc_end200:
	.size	_ZN9rocsparseL38csrgemm_numeric_fill_wf_per_row_kernelILj256ELj8ELj16ELj137Eli21rocsparse_complex_numIfEEEvT4_S3_PKS3_S5_NS_24const_host_device_scalarIT5_EEPKT3_S5_PKS7_SB_S5_SD_S8_SB_S5_SD_SB_S5_PS7_21rocsparse_index_base_SF_SF_SF_bbb, .Lfunc_end200-_ZN9rocsparseL38csrgemm_numeric_fill_wf_per_row_kernelILj256ELj8ELj16ELj137Eli21rocsparse_complex_numIfEEEvT4_S3_PKS3_S5_NS_24const_host_device_scalarIT5_EEPKT3_S5_PKS7_SB_S5_SD_S8_SB_S5_SD_SB_S5_PS7_21rocsparse_index_base_SF_SF_SF_bbb
                                        ; -- End function
	.set _ZN9rocsparseL38csrgemm_numeric_fill_wf_per_row_kernelILj256ELj8ELj16ELj137Eli21rocsparse_complex_numIfEEEvT4_S3_PKS3_S5_NS_24const_host_device_scalarIT5_EEPKT3_S5_PKS7_SB_S5_SD_S8_SB_S5_SD_SB_S5_PS7_21rocsparse_index_base_SF_SF_SF_bbb.num_vgpr, 24
	.set _ZN9rocsparseL38csrgemm_numeric_fill_wf_per_row_kernelILj256ELj8ELj16ELj137Eli21rocsparse_complex_numIfEEEvT4_S3_PKS3_S5_NS_24const_host_device_scalarIT5_EEPKT3_S5_PKS7_SB_S5_SD_S8_SB_S5_SD_SB_S5_PS7_21rocsparse_index_base_SF_SF_SF_bbb.num_agpr, 0
	.set _ZN9rocsparseL38csrgemm_numeric_fill_wf_per_row_kernelILj256ELj8ELj16ELj137Eli21rocsparse_complex_numIfEEEvT4_S3_PKS3_S5_NS_24const_host_device_scalarIT5_EEPKT3_S5_PKS7_SB_S5_SD_S8_SB_S5_SD_SB_S5_PS7_21rocsparse_index_base_SF_SF_SF_bbb.numbered_sgpr, 42
	.set _ZN9rocsparseL38csrgemm_numeric_fill_wf_per_row_kernelILj256ELj8ELj16ELj137Eli21rocsparse_complex_numIfEEEvT4_S3_PKS3_S5_NS_24const_host_device_scalarIT5_EEPKT3_S5_PKS7_SB_S5_SD_S8_SB_S5_SD_SB_S5_PS7_21rocsparse_index_base_SF_SF_SF_bbb.num_named_barrier, 0
	.set _ZN9rocsparseL38csrgemm_numeric_fill_wf_per_row_kernelILj256ELj8ELj16ELj137Eli21rocsparse_complex_numIfEEEvT4_S3_PKS3_S5_NS_24const_host_device_scalarIT5_EEPKT3_S5_PKS7_SB_S5_SD_S8_SB_S5_SD_SB_S5_PS7_21rocsparse_index_base_SF_SF_SF_bbb.private_seg_size, 0
	.set _ZN9rocsparseL38csrgemm_numeric_fill_wf_per_row_kernelILj256ELj8ELj16ELj137Eli21rocsparse_complex_numIfEEEvT4_S3_PKS3_S5_NS_24const_host_device_scalarIT5_EEPKT3_S5_PKS7_SB_S5_SD_S8_SB_S5_SD_SB_S5_PS7_21rocsparse_index_base_SF_SF_SF_bbb.uses_vcc, 1
	.set _ZN9rocsparseL38csrgemm_numeric_fill_wf_per_row_kernelILj256ELj8ELj16ELj137Eli21rocsparse_complex_numIfEEEvT4_S3_PKS3_S5_NS_24const_host_device_scalarIT5_EEPKT3_S5_PKS7_SB_S5_SD_S8_SB_S5_SD_SB_S5_PS7_21rocsparse_index_base_SF_SF_SF_bbb.uses_flat_scratch, 0
	.set _ZN9rocsparseL38csrgemm_numeric_fill_wf_per_row_kernelILj256ELj8ELj16ELj137Eli21rocsparse_complex_numIfEEEvT4_S3_PKS3_S5_NS_24const_host_device_scalarIT5_EEPKT3_S5_PKS7_SB_S5_SD_S8_SB_S5_SD_SB_S5_PS7_21rocsparse_index_base_SF_SF_SF_bbb.has_dyn_sized_stack, 0
	.set _ZN9rocsparseL38csrgemm_numeric_fill_wf_per_row_kernelILj256ELj8ELj16ELj137Eli21rocsparse_complex_numIfEEEvT4_S3_PKS3_S5_NS_24const_host_device_scalarIT5_EEPKT3_S5_PKS7_SB_S5_SD_S8_SB_S5_SD_SB_S5_PS7_21rocsparse_index_base_SF_SF_SF_bbb.has_recursion, 0
	.set _ZN9rocsparseL38csrgemm_numeric_fill_wf_per_row_kernelILj256ELj8ELj16ELj137Eli21rocsparse_complex_numIfEEEvT4_S3_PKS3_S5_NS_24const_host_device_scalarIT5_EEPKT3_S5_PKS7_SB_S5_SD_S8_SB_S5_SD_SB_S5_PS7_21rocsparse_index_base_SF_SF_SF_bbb.has_indirect_call, 0
	.section	.AMDGPU.csdata,"",@progbits
; Kernel info:
; codeLenInByte = 2320
; TotalNumSgprs: 44
; NumVgprs: 24
; ScratchSize: 0
; MemoryBound: 0
; FloatMode: 240
; IeeeMode: 1
; LDSByteSize: 6144 bytes/workgroup (compile time only)
; SGPRBlocks: 0
; VGPRBlocks: 1
; NumSGPRsForWavesPerEU: 44
; NumVGPRsForWavesPerEU: 24
; NamedBarCnt: 0
; Occupancy: 16
; WaveLimiterHint : 1
; COMPUTE_PGM_RSRC2:SCRATCH_EN: 0
; COMPUTE_PGM_RSRC2:USER_SGPR: 2
; COMPUTE_PGM_RSRC2:TRAP_HANDLER: 0
; COMPUTE_PGM_RSRC2:TGID_X_EN: 1
; COMPUTE_PGM_RSRC2:TGID_Y_EN: 0
; COMPUTE_PGM_RSRC2:TGID_Z_EN: 0
; COMPUTE_PGM_RSRC2:TIDIG_COMP_CNT: 0
	.section	.text._ZN9rocsparseL38csrgemm_numeric_fill_wf_per_row_kernelILj256ELj16ELj32ELj137Eli21rocsparse_complex_numIfEEEvT4_S3_PKS3_S5_NS_24const_host_device_scalarIT5_EEPKT3_S5_PKS7_SB_S5_SD_S8_SB_S5_SD_SB_S5_PS7_21rocsparse_index_base_SF_SF_SF_bbb,"axG",@progbits,_ZN9rocsparseL38csrgemm_numeric_fill_wf_per_row_kernelILj256ELj16ELj32ELj137Eli21rocsparse_complex_numIfEEEvT4_S3_PKS3_S5_NS_24const_host_device_scalarIT5_EEPKT3_S5_PKS7_SB_S5_SD_S8_SB_S5_SD_SB_S5_PS7_21rocsparse_index_base_SF_SF_SF_bbb,comdat
	.globl	_ZN9rocsparseL38csrgemm_numeric_fill_wf_per_row_kernelILj256ELj16ELj32ELj137Eli21rocsparse_complex_numIfEEEvT4_S3_PKS3_S5_NS_24const_host_device_scalarIT5_EEPKT3_S5_PKS7_SB_S5_SD_S8_SB_S5_SD_SB_S5_PS7_21rocsparse_index_base_SF_SF_SF_bbb ; -- Begin function _ZN9rocsparseL38csrgemm_numeric_fill_wf_per_row_kernelILj256ELj16ELj32ELj137Eli21rocsparse_complex_numIfEEEvT4_S3_PKS3_S5_NS_24const_host_device_scalarIT5_EEPKT3_S5_PKS7_SB_S5_SD_S8_SB_S5_SD_SB_S5_PS7_21rocsparse_index_base_SF_SF_SF_bbb
	.p2align	8
	.type	_ZN9rocsparseL38csrgemm_numeric_fill_wf_per_row_kernelILj256ELj16ELj32ELj137Eli21rocsparse_complex_numIfEEEvT4_S3_PKS3_S5_NS_24const_host_device_scalarIT5_EEPKT3_S5_PKS7_SB_S5_SD_S8_SB_S5_SD_SB_S5_PS7_21rocsparse_index_base_SF_SF_SF_bbb,@function
_ZN9rocsparseL38csrgemm_numeric_fill_wf_per_row_kernelILj256ELj16ELj32ELj137Eli21rocsparse_complex_numIfEEEvT4_S3_PKS3_S5_NS_24const_host_device_scalarIT5_EEPKT3_S5_PKS7_SB_S5_SD_S8_SB_S5_SD_SB_S5_PS7_21rocsparse_index_base_SF_SF_SF_bbb: ; @_ZN9rocsparseL38csrgemm_numeric_fill_wf_per_row_kernelILj256ELj16ELj32ELj137Eli21rocsparse_complex_numIfEEEvT4_S3_PKS3_S5_NS_24const_host_device_scalarIT5_EEPKT3_S5_PKS7_SB_S5_SD_S8_SB_S5_SD_SB_S5_PS7_21rocsparse_index_base_SF_SF_SF_bbb
; %bb.0:
	s_clause 0x3
	s_load_b32 s33, s[0:1], 0x98
	s_load_b128 s[20:23], s[0:1], 0x88
	s_load_b128 s[28:31], s[0:1], 0x8
	s_load_b64 s[36:37], s[0:1], 0x50
	s_mov_b32 s35, 0
	s_mov_b32 s38, 0
	s_wait_kmcnt 0x0
	s_bitcmp1_b32 s33, 0
	s_cselect_b32 s40, -1, 0
	s_bitcmp1_b32 s33, 16
	s_cselect_b32 s2, -1, 0
	s_delay_alu instid0(SALU_CYCLE_1) | instskip(SKIP_2) | instid1(VALU_DEP_1)
	s_xor_b32 s2, s2, -1
	s_bitcmp0_b32 s33, 0
	v_cndmask_b32_e64 v1, 0, 1, s2
	v_cmp_ne_u32_e32 vcc_lo, 1, v1
	s_cbranch_scc1 .LBB201_5
; %bb.1:
	s_load_b64 s[34:35], s[0:1], 0x18
	s_and_b32 vcc_lo, exec_lo, vcc_lo
	s_wait_kmcnt 0x0
	s_mov_b32 s38, s34
	s_cbranch_vccnz .LBB201_3
; %bb.2:
	s_load_b32 s38, s[34:35], 0x0
.LBB201_3:
	s_and_not1_b32 vcc_lo, exec_lo, s2
	s_cbranch_vccnz .LBB201_5
; %bb.4:
	s_wait_xcnt 0x0
	s_load_b32 s35, s[34:35], 0x4
.LBB201_5:
	s_clause 0x3
	s_load_b64 s[2:3], s[0:1], 0x80
	s_load_b256 s[4:11], s[0:1], 0x58
	s_load_b128 s[24:27], s[0:1], 0x40
	s_load_b256 s[12:19], s[0:1], 0x20
	s_bitcmp1_b32 s33, 8
	s_cselect_b32 s39, -1, 0
	s_wait_xcnt 0x0
	s_bfe_u32 s34, s33, 0x10008
	s_mov_b32 s33, 0
	s_cmp_eq_u32 s34, 0
	s_mov_b32 s34, 0
	s_cbranch_scc1 .LBB201_11
; %bb.6:
	v_cmp_ne_u32_e32 vcc_lo, 1, v1
	s_mov_b32 s33, s36
	s_cbranch_vccnz .LBB201_8
; %bb.7:
	s_load_b32 s33, s[36:37], 0x0
.LBB201_8:
	v_cmp_ne_u32_e32 vcc_lo, 1, v1
	s_cbranch_vccnz .LBB201_10
; %bb.9:
	s_wait_xcnt 0x0
	s_load_b32 s37, s[36:37], 0x4
.LBB201_10:
	s_wait_kmcnt 0x0
	s_mov_b32 s34, s37
.LBB201_11:
	s_load_b64 s[0:1], s[0:1], 0x0
	v_dual_lshrrev_b32 v2, 4, v0 :: v_dual_bitop2_b32 v6, 15, v0 bitop3:0x40
	s_mov_b32 s36, 0
	s_delay_alu instid0(VALU_DEP_1) | instskip(NEXT) | instid1(VALU_DEP_2)
	v_lshlrev_b32_e32 v0, 7, v2
	v_dual_lshlrev_b32 v1, 2, v6 :: v_dual_lshlrev_b32 v3, 3, v6
	s_delay_alu instid0(VALU_DEP_1) | instskip(NEXT) | instid1(VALU_DEP_2)
	v_or3_b32 v14, v0, v1, 0x1000
	v_lshl_or_b32 v15, v2, 8, v3
	v_or_b32_e32 v16, -16, v6
	v_mov_b64_e32 v[0:1], 0
	s_delay_alu instid0(VALU_DEP_3) | instskip(SKIP_1) | instid1(VALU_DEP_3)
	v_dual_mov_b32 v3, v14 :: v_dual_mov_b32 v4, v15
	s_wait_kmcnt 0x0
	v_dual_mov_b32 v7, v16 :: v_dual_mov_b32 v5, s1
.LBB201_12:                             ; =>This Inner Loop Header: Depth=1
	s_delay_alu instid0(VALU_DEP_1)
	v_add_co_u32 v7, s37, v7, 16
	s_xor_b32 s37, s37, -1
	ds_store_b32 v3, v5
	ds_store_b64 v4, v[0:1]
	v_add_nc_u32_e32 v4, 0x80, v4
	v_add_nc_u32_e32 v3, 64, v3
	s_and_b32 s37, exec_lo, s37
	s_delay_alu instid0(SALU_CYCLE_1) | instskip(NEXT) | instid1(SALU_CYCLE_1)
	s_or_b32 s36, s37, s36
	s_and_not1_b32 exec_lo, exec_lo, s36
	s_cbranch_execnz .LBB201_12
; %bb.13:
	s_or_b32 exec_lo, exec_lo, s36
	s_bfe_u32 s36, ttmp6, 0x4000c
	s_and_b32 s37, ttmp6, 15
	s_add_co_i32 s36, s36, 1
	s_getreg_b32 s41, hwreg(HW_REG_IB_STS2, 6, 4)
	s_mul_i32 s36, ttmp9, s36
	s_wait_dscnt 0x0
	s_add_co_i32 s37, s37, s36
	s_cmp_eq_u32 s41, 0
	s_cselect_b32 s36, ttmp9, s37
	s_delay_alu instid0(SALU_CYCLE_1) | instskip(NEXT) | instid1(SALU_CYCLE_1)
	s_lshl_b32 s36, s36, 4
	v_and_or_b32 v4, 0xffffff0, s36, v2
	s_delay_alu instid0(VALU_DEP_1)
	v_cmp_gt_i32_e32 vcc_lo, s0, v4
	s_and_saveexec_b32 s0, vcc_lo
	s_cbranch_execz .LBB201_52
; %bb.14:
	s_cmp_eq_u64 s[30:31], 0
	s_cbranch_scc1 .LBB201_16
; %bb.15:
	s_load_b32 s0, s[28:29], 0x0
	s_wait_kmcnt 0x0
	v_add_nc_u32_e32 v0, s0, v4
	global_load_b32 v4, v0, s[30:31] scale_offset
.LBB201_16:
	v_lshl_or_b32 v17, v2, 7, 0x1000
	s_wait_loadcnt 0x0
	v_dual_lshlrev_b32 v18, 8, v2 :: v_dual_ashrrev_i32 v5, 31, v4
	s_and_not1_b32 vcc_lo, exec_lo, s40
	s_cbranch_vccnz .LBB201_34
; %bb.17:
	s_delay_alu instid0(VALU_DEP_1)
	v_lshl_add_u64 v[0:1], v[4:5], 3, s[12:13]
	v_mov_b32_e32 v7, 0
	s_mov_b32 s13, 0
	s_mov_b32 s12, s20
	s_mov_b32 s0, exec_lo
	global_load_b128 v[0:3], v[0:1], off
	v_sub_nc_u64_e64 v[10:11], v[6:7], s[12:13]
	s_wait_loadcnt 0x0
	v_sub_nc_u64_e64 v[8:9], v[2:3], s[12:13]
	s_delay_alu instid0(VALU_DEP_2) | instskip(NEXT) | instid1(VALU_DEP_1)
	v_add_nc_u64_e32 v[10:11], v[0:1], v[10:11]
	v_cmpx_lt_i64_e64 v[10:11], v[8:9]
	s_cbranch_execz .LBB201_33
; %bb.18:
	s_mov_b32 s12, s21
	s_mov_b32 s28, s13
	s_branch .LBB201_20
.LBB201_19:                             ;   in Loop: Header=BB201_20 Depth=1
	s_or_b32 exec_lo, exec_lo, s29
	v_add_nc_u64_e32 v[10:11], 16, v[10:11]
	s_delay_alu instid0(VALU_DEP_1) | instskip(SKIP_1) | instid1(SALU_CYCLE_1)
	v_cmp_ge_i64_e32 vcc_lo, v[10:11], v[8:9]
	s_or_b32 s28, vcc_lo, s28
	s_and_not1_b32 exec_lo, exec_lo, s28
	s_cbranch_execz .LBB201_33
.LBB201_20:                             ; =>This Loop Header: Depth=1
                                        ;     Child Loop BB201_24 Depth 2
                                        ;       Child Loop BB201_27 Depth 3
	v_lshl_add_u64 v[0:1], v[10:11], 2, s[14:15]
	s_mov_b32 s29, exec_lo
	global_load_b32 v0, v[0:1], off
	s_wait_loadcnt 0x0
	s_wait_xcnt 0x0
	v_subrev_nc_u32_e32 v0, s20, v0
	s_delay_alu instid0(VALU_DEP_1) | instskip(NEXT) | instid1(VALU_DEP_1)
	v_ashrrev_i32_e32 v1, 31, v0
	v_lshl_add_u64 v[0:1], v[0:1], 3, s[18:19]
	global_load_b128 v[0:3], v[0:1], off
	s_wait_loadcnt 0x0
	s_wait_xcnt 0x0
	v_cmpx_lt_i64_e64 v[0:1], v[2:3]
	s_cbranch_execz .LBB201_19
; %bb.21:                               ;   in Loop: Header=BB201_20 Depth=1
	v_lshl_add_u64 v[12:13], v[10:11], 3, s[16:17]
	v_sub_nc_u64_e64 v[2:3], v[2:3], s[12:13]
	v_sub_nc_u64_e64 v[0:1], v[0:1], s[12:13]
	s_mov_b32 s30, 0
	global_load_b64 v[12:13], v[12:13], off
	s_wait_loadcnt 0x0
	v_mul_f32_e64 v7, v13, -s35
	s_delay_alu instid0(VALU_DEP_1) | instskip(NEXT) | instid1(VALU_DEP_1)
	v_dual_mul_f32 v19, s38, v13 :: v_dual_fmac_f32 v7, s38, v12
	v_fmac_f32_e32 v19, s35, v12
	s_branch .LBB201_24
.LBB201_22:                             ;   in Loop: Header=BB201_24 Depth=2
	s_or_b32 exec_lo, exec_lo, s36
.LBB201_23:                             ;   in Loop: Header=BB201_24 Depth=2
	s_delay_alu instid0(SALU_CYCLE_1) | instskip(SKIP_4) | instid1(VALU_DEP_3)
	s_or_b32 exec_lo, exec_lo, s31
	s_wait_loadcnt 0x0
	v_dual_mul_f32 v21, v13, -v19 :: v_dual_mul_f32 v13, v7, v13
	v_lshl_add_u32 v20, v20, 3, v18
	v_add_nc_u64_e32 v[0:1], 1, v[0:1]
	v_fmac_f32_e32 v21, v7, v12
	s_delay_alu instid0(VALU_DEP_4) | instskip(SKIP_4) | instid1(SALU_CYCLE_1)
	v_fmac_f32_e32 v13, v19, v12
	ds_add_f32 v20, v21
	ds_add_f32 v20, v13 offset:4
	v_cmp_ge_i64_e32 vcc_lo, v[0:1], v[2:3]
	s_or_b32 s30, vcc_lo, s30
	s_and_not1_b32 exec_lo, exec_lo, s30
	s_cbranch_execz .LBB201_19
.LBB201_24:                             ;   Parent Loop BB201_20 Depth=1
                                        ; =>  This Loop Header: Depth=2
                                        ;       Child Loop BB201_27 Depth 3
	s_wait_xcnt 0x0
	v_lshl_add_u64 v[12:13], v[0:1], 2, s[24:25]
	s_mov_b32 s31, exec_lo
	global_load_b32 v20, v[12:13], off
	s_wait_xcnt 0x0
	v_lshl_add_u64 v[12:13], v[0:1], 3, s[26:27]
	global_load_b64 v[12:13], v[12:13], off
	s_wait_loadcnt 0x1
	v_subrev_nc_u32_e32 v21, s21, v20
	s_delay_alu instid0(VALU_DEP_1) | instskip(NEXT) | instid1(VALU_DEP_1)
	v_lshl_add_u32 v20, v21, 3, v21
	v_and_b32_e32 v20, 31, v20
	s_delay_alu instid0(VALU_DEP_1)
	v_lshl_add_u32 v22, v20, 2, v17
	ds_load_b32 v23, v22
	s_wait_dscnt 0x0
	s_wait_xcnt 0x0
	v_cmpx_ne_u32_e64 v23, v21
	s_cbranch_execz .LBB201_23
; %bb.25:                               ;   in Loop: Header=BB201_24 Depth=2
	s_mov_b32 s36, 0
	s_branch .LBB201_27
.LBB201_26:                             ;   in Loop: Header=BB201_27 Depth=3
	s_or_b32 exec_lo, exec_lo, s41
	s_delay_alu instid0(SALU_CYCLE_1) | instskip(NEXT) | instid1(SALU_CYCLE_1)
	s_and_b32 s37, exec_lo, s40
	s_or_b32 s36, s37, s36
	s_delay_alu instid0(SALU_CYCLE_1)
	s_and_not1_b32 exec_lo, exec_lo, s36
	s_cbranch_execz .LBB201_22
.LBB201_27:                             ;   Parent Loop BB201_20 Depth=1
                                        ;     Parent Loop BB201_24 Depth=2
                                        ; =>    This Inner Loop Header: Depth=3
	s_mov_b32 s37, 0
	s_mov_b32 s40, exec_lo
	v_cmpx_ne_u32_e64 s1, v23
	s_xor_b32 s40, exec_lo, s40
	s_cbranch_execz .LBB201_29
; %bb.28:                               ;   in Loop: Header=BB201_27 Depth=3
	v_add_nc_u32_e32 v20, 1, v20
	s_mov_b32 s37, exec_lo
                                        ; implicit-def: $vgpr22
	s_delay_alu instid0(VALU_DEP_1)
	v_and_b32_e32 v20, 31, v20
	s_and_not1_saveexec_b32 s40, s40
	s_cbranch_execz .LBB201_31
	s_branch .LBB201_30
.LBB201_29:                             ;   in Loop: Header=BB201_27 Depth=3
	s_and_not1_saveexec_b32 s40, s40
	s_cbranch_execz .LBB201_31
.LBB201_30:                             ;   in Loop: Header=BB201_27 Depth=3
	v_mov_b32_e32 v23, s1
	s_and_not1_b32 s37, s37, exec_lo
	ds_cmpstore_rtn_b32 v22, v22, v21, v23
	s_wait_dscnt 0x0
	v_cmp_ne_u32_e32 vcc_lo, s1, v22
	s_and_b32 s41, vcc_lo, exec_lo
	s_delay_alu instid0(SALU_CYCLE_1)
	s_or_b32 s37, s37, s41
.LBB201_31:                             ;   in Loop: Header=BB201_27 Depth=3
	s_or_b32 exec_lo, exec_lo, s40
	s_mov_b32 s40, -1
                                        ; implicit-def: $vgpr22
                                        ; implicit-def: $vgpr23
	s_and_saveexec_b32 s41, s37
	s_cbranch_execz .LBB201_26
; %bb.32:                               ;   in Loop: Header=BB201_27 Depth=3
	v_lshl_add_u32 v22, v20, 2, v17
	ds_load_b32 v23, v22
	s_wait_dscnt 0x0
	v_cmp_eq_u32_e32 vcc_lo, v23, v21
	s_or_not1_b32 s40, vcc_lo, exec_lo
	s_branch .LBB201_26
.LBB201_33:
	s_or_b32 exec_lo, exec_lo, s0
.LBB201_34:
	s_delay_alu instid0(SALU_CYCLE_1)
	s_and_not1_b32 vcc_lo, exec_lo, s39
	s_cbranch_vccnz .LBB201_37
; %bb.35:
	v_lshl_add_u64 v[0:1], v[4:5], 3, s[4:5]
	v_mov_b32_e32 v7, 0
	s_mov_b32 s5, 0
	s_mov_b32 s4, s23
	s_mov_b32 s0, exec_lo
	global_load_b128 v[8:11], v[0:1], off
	v_sub_nc_u64_e64 v[2:3], v[6:7], s[4:5]
	s_wait_loadcnt 0x0
	v_sub_nc_u64_e64 v[0:1], v[10:11], s[4:5]
	s_delay_alu instid0(VALU_DEP_2) | instskip(NEXT) | instid1(VALU_DEP_1)
	v_add_nc_u64_e32 v[2:3], v[8:9], v[2:3]
	v_cmpx_lt_i64_e64 v[2:3], v[0:1]
	s_cbranch_execnz .LBB201_43
.LBB201_36:
	s_or_b32 exec_lo, exec_lo, s0
.LBB201_37:
	v_lshl_add_u64 v[0:1], v[4:5], 3, s[10:11]
	s_wait_dscnt 0x0
	s_mov_b32 s23, 0
	v_mov_b32_e32 v3, 0
	global_load_b64 v[0:1], v[0:1], off
	s_wait_loadcnt 0x0
	v_sub_nc_u64_e64 v[0:1], v[0:1], s[22:23]
	s_delay_alu instid0(VALU_DEP_1)
	v_lshl_add_u64 v[0:1], v[0:1], 3, s[2:3]
	s_branch .LBB201_39
.LBB201_38:                             ;   in Loop: Header=BB201_39 Depth=1
	s_wait_xcnt 0x0
	s_or_b32 exec_lo, exec_lo, s0
	v_add_co_u32 v16, s0, v16, 16
	s_xor_b32 s0, s0, -1
	v_add_nc_u32_e32 v15, 0x80, v15
	v_add_nc_u32_e32 v14, 64, v14
	s_and_b32 s0, exec_lo, s0
	s_delay_alu instid0(SALU_CYCLE_1) | instskip(NEXT) | instid1(SALU_CYCLE_1)
	s_or_b32 s23, s0, s23
	s_and_not1_b32 exec_lo, exec_lo, s23
	s_cbranch_execz .LBB201_52
.LBB201_39:                             ; =>This Inner Loop Header: Depth=1
	ds_load_b32 v4, v14
	s_mov_b32 s0, exec_lo
	s_wait_dscnt 0x0
	v_cmpx_gt_i32_e64 s1, v4
	s_cbranch_execz .LBB201_38
; %bb.40:                               ;   in Loop: Header=BB201_39 Depth=1
	ds_load_b128 v[6:9], v17
	ds_load_b128 v[10:13], v17 offset:16
	s_wait_dscnt 0x1
	v_cmp_gt_i32_e32 vcc_lo, v4, v6
	v_cndmask_b32_e64 v2, 0, 1, vcc_lo
	v_cmp_gt_i32_e32 vcc_lo, v4, v7
	s_delay_alu instid0(VALU_DEP_2) | instskip(SKIP_2) | instid1(VALU_DEP_3)
	v_lshlrev_b32_e32 v2, 3, v2
	v_cndmask_b32_e64 v5, 0, 1, vcc_lo
	v_cmp_gt_i32_e32 vcc_lo, v4, v8
	v_add_nc_u64_e32 v[6:7], v[0:1], v[2:3]
	s_delay_alu instid0(VALU_DEP_3) | instskip(SKIP_2) | instid1(VALU_DEP_3)
	v_lshlrev_b32_e32 v2, 3, v5
	v_cndmask_b32_e64 v5, 0, 1, vcc_lo
	v_cmp_gt_i32_e32 vcc_lo, v4, v9
	v_add_nc_u64_e32 v[6:7], v[6:7], v[2:3]
	s_delay_alu instid0(VALU_DEP_3) | instskip(SKIP_3) | instid1(VALU_DEP_3)
	v_lshlrev_b32_e32 v2, 3, v5
	v_cndmask_b32_e64 v5, 0, 1, vcc_lo
	s_wait_dscnt 0x0
	v_cmp_gt_i32_e32 vcc_lo, v4, v10
	v_add_nc_u64_e32 v[6:7], v[6:7], v[2:3]
	s_delay_alu instid0(VALU_DEP_3) | instskip(SKIP_2) | instid1(VALU_DEP_3)
	v_lshlrev_b32_e32 v2, 3, v5
	v_cndmask_b32_e64 v5, 0, 1, vcc_lo
	v_cmp_gt_i32_e32 vcc_lo, v4, v11
	v_add_nc_u64_e32 v[18:19], v[6:7], v[2:3]
	ds_load_b128 v[6:9], v17 offset:32
	v_lshlrev_b32_e32 v2, 3, v5
	v_cndmask_b32_e64 v5, 0, 1, vcc_lo
	v_cmp_gt_i32_e32 vcc_lo, v4, v12
	s_delay_alu instid0(VALU_DEP_3) | instskip(NEXT) | instid1(VALU_DEP_3)
	v_add_nc_u64_e32 v[10:11], v[18:19], v[2:3]
	v_lshlrev_b32_e32 v2, 3, v5
	v_cndmask_b32_e64 v5, 0, 1, vcc_lo
	v_cmp_gt_i32_e32 vcc_lo, v4, v13
	s_delay_alu instid0(VALU_DEP_3) | instskip(NEXT) | instid1(VALU_DEP_3)
	v_add_nc_u64_e32 v[10:11], v[10:11], v[2:3]
	v_lshlrev_b32_e32 v2, 3, v5
	v_cndmask_b32_e64 v5, 0, 1, vcc_lo
	s_delay_alu instid0(VALU_DEP_2)
	v_add_nc_u64_e32 v[18:19], v[10:11], v[2:3]
	ds_load_b128 v[10:13], v17 offset:48
	s_wait_dscnt 0x1
	v_cmp_gt_i32_e32 vcc_lo, v4, v6
	v_lshlrev_b32_e32 v2, 3, v5
	v_cndmask_b32_e64 v5, 0, 1, vcc_lo
	v_cmp_gt_i32_e32 vcc_lo, v4, v7
	s_delay_alu instid0(VALU_DEP_3) | instskip(NEXT) | instid1(VALU_DEP_3)
	v_add_nc_u64_e32 v[18:19], v[18:19], v[2:3]
	v_lshlrev_b32_e32 v2, 3, v5
	v_cndmask_b32_e64 v5, 0, 1, vcc_lo
	v_cmp_gt_i32_e32 vcc_lo, v4, v8
	s_delay_alu instid0(VALU_DEP_3) | instskip(NEXT) | instid1(VALU_DEP_3)
	v_add_nc_u64_e32 v[6:7], v[18:19], v[2:3]
	;; [unrolled: 5-line block ×3, first 2 shown]
	v_lshlrev_b32_e32 v2, 3, v5
	v_cndmask_b32_e64 v5, 0, 1, vcc_lo
	s_wait_dscnt 0x0
	v_cmp_gt_i32_e32 vcc_lo, v4, v10
	s_delay_alu instid0(VALU_DEP_3) | instskip(NEXT) | instid1(VALU_DEP_3)
	v_add_nc_u64_e32 v[6:7], v[6:7], v[2:3]
	v_lshlrev_b32_e32 v2, 3, v5
	v_cndmask_b32_e64 v5, 0, 1, vcc_lo
	v_cmp_gt_i32_e32 vcc_lo, v4, v11
	s_delay_alu instid0(VALU_DEP_3) | instskip(SKIP_4) | instid1(VALU_DEP_3)
	v_add_nc_u64_e32 v[18:19], v[6:7], v[2:3]
	ds_load_b128 v[6:9], v17 offset:64
	v_lshlrev_b32_e32 v2, 3, v5
	v_cndmask_b32_e64 v5, 0, 1, vcc_lo
	v_cmp_gt_i32_e32 vcc_lo, v4, v12
	v_add_nc_u64_e32 v[10:11], v[18:19], v[2:3]
	s_delay_alu instid0(VALU_DEP_3) | instskip(SKIP_2) | instid1(VALU_DEP_3)
	v_lshlrev_b32_e32 v2, 3, v5
	v_cndmask_b32_e64 v5, 0, 1, vcc_lo
	v_cmp_gt_i32_e32 vcc_lo, v4, v13
	v_add_nc_u64_e32 v[10:11], v[10:11], v[2:3]
	s_delay_alu instid0(VALU_DEP_3) | instskip(SKIP_1) | instid1(VALU_DEP_2)
	v_lshlrev_b32_e32 v2, 3, v5
	v_cndmask_b32_e64 v5, 0, 1, vcc_lo
	v_add_nc_u64_e32 v[18:19], v[10:11], v[2:3]
	ds_load_b128 v[10:13], v17 offset:80
	s_wait_dscnt 0x1
	v_cmp_gt_i32_e32 vcc_lo, v4, v6
	v_lshlrev_b32_e32 v2, 3, v5
	v_cndmask_b32_e64 v5, 0, 1, vcc_lo
	v_cmp_gt_i32_e32 vcc_lo, v4, v7
	s_delay_alu instid0(VALU_DEP_3) | instskip(NEXT) | instid1(VALU_DEP_3)
	v_add_nc_u64_e32 v[18:19], v[18:19], v[2:3]
	v_lshlrev_b32_e32 v2, 3, v5
	v_cndmask_b32_e64 v5, 0, 1, vcc_lo
	v_cmp_gt_i32_e32 vcc_lo, v4, v8
	s_delay_alu instid0(VALU_DEP_3) | instskip(NEXT) | instid1(VALU_DEP_3)
	v_add_nc_u64_e32 v[6:7], v[18:19], v[2:3]
	;; [unrolled: 5-line block ×3, first 2 shown]
	v_lshlrev_b32_e32 v2, 3, v5
	v_cndmask_b32_e64 v5, 0, 1, vcc_lo
	s_wait_dscnt 0x0
	v_cmp_gt_i32_e32 vcc_lo, v4, v10
	s_delay_alu instid0(VALU_DEP_3) | instskip(NEXT) | instid1(VALU_DEP_3)
	v_add_nc_u64_e32 v[6:7], v[6:7], v[2:3]
	v_lshlrev_b32_e32 v2, 3, v5
	v_cndmask_b32_e64 v5, 0, 1, vcc_lo
	v_cmp_gt_i32_e32 vcc_lo, v4, v11
	s_delay_alu instid0(VALU_DEP_3) | instskip(SKIP_4) | instid1(VALU_DEP_3)
	v_add_nc_u64_e32 v[18:19], v[6:7], v[2:3]
	ds_load_b128 v[6:9], v17 offset:96
	v_lshlrev_b32_e32 v2, 3, v5
	v_cndmask_b32_e64 v5, 0, 1, vcc_lo
	v_cmp_gt_i32_e32 vcc_lo, v4, v12
	v_add_nc_u64_e32 v[10:11], v[18:19], v[2:3]
	s_delay_alu instid0(VALU_DEP_3) | instskip(SKIP_2) | instid1(VALU_DEP_3)
	v_lshlrev_b32_e32 v2, 3, v5
	v_cndmask_b32_e64 v5, 0, 1, vcc_lo
	v_cmp_gt_i32_e32 vcc_lo, v4, v13
	v_add_nc_u64_e32 v[10:11], v[10:11], v[2:3]
	s_delay_alu instid0(VALU_DEP_3) | instskip(SKIP_1) | instid1(VALU_DEP_2)
	v_lshlrev_b32_e32 v2, 3, v5
	v_cndmask_b32_e64 v5, 0, 1, vcc_lo
	v_add_nc_u64_e32 v[18:19], v[10:11], v[2:3]
	ds_load_b128 v[10:13], v17 offset:112
	s_wait_dscnt 0x1
	v_cmp_gt_i32_e32 vcc_lo, v4, v6
	v_lshlrev_b32_e32 v2, 3, v5
	v_cndmask_b32_e64 v5, 0, 1, vcc_lo
	v_cmp_gt_i32_e32 vcc_lo, v4, v7
	s_delay_alu instid0(VALU_DEP_3) | instskip(NEXT) | instid1(VALU_DEP_3)
	v_add_nc_u64_e32 v[18:19], v[18:19], v[2:3]
	v_lshlrev_b32_e32 v2, 3, v5
	v_cndmask_b32_e64 v5, 0, 1, vcc_lo
	v_cmp_gt_i32_e32 vcc_lo, v4, v8
	s_delay_alu instid0(VALU_DEP_3) | instskip(NEXT) | instid1(VALU_DEP_3)
	v_add_nc_u64_e32 v[6:7], v[18:19], v[2:3]
	v_lshlrev_b32_e32 v2, 3, v5
	v_cndmask_b32_e64 v5, 0, 1, vcc_lo
	v_cmp_gt_i32_e32 vcc_lo, v4, v9
	ds_load_b64 v[8:9], v15
	v_add_nc_u64_e32 v[6:7], v[6:7], v[2:3]
	v_lshlrev_b32_e32 v2, 3, v5
	v_cndmask_b32_e64 v5, 0, 1, vcc_lo
	s_wait_dscnt 0x1
	v_cmp_gt_i32_e32 vcc_lo, v4, v10
	s_delay_alu instid0(VALU_DEP_3) | instskip(NEXT) | instid1(VALU_DEP_3)
	v_add_nc_u64_e32 v[6:7], v[6:7], v[2:3]
	v_lshlrev_b32_e32 v2, 3, v5
	v_cndmask_b32_e64 v5, 0, 1, vcc_lo
	v_cmp_gt_i32_e32 vcc_lo, v4, v11
	s_delay_alu instid0(VALU_DEP_3) | instskip(NEXT) | instid1(VALU_DEP_3)
	v_add_nc_u64_e32 v[6:7], v[6:7], v[2:3]
	v_lshlrev_b32_e32 v2, 3, v5
	v_cndmask_b32_e64 v5, 0, 1, vcc_lo
	;; [unrolled: 5-line block ×4, first 2 shown]
	s_delay_alu instid0(VALU_DEP_2) | instskip(NEXT) | instid1(VALU_DEP_2)
	v_add_nc_u64_e32 v[4:5], v[6:7], v[2:3]
	v_lshlrev_b32_e32 v2, 3, v10
	s_delay_alu instid0(VALU_DEP_1)
	v_add_nc_u64_e32 v[4:5], v[4:5], v[2:3]
	s_wait_dscnt 0x0
	global_store_b64 v[4:5], v[8:9], off
	s_branch .LBB201_38
.LBB201_41:                             ;   in Loop: Header=BB201_43 Depth=1
	s_or_b32 exec_lo, exec_lo, s12
.LBB201_42:                             ;   in Loop: Header=BB201_43 Depth=1
	s_delay_alu instid0(SALU_CYCLE_1)
	s_or_b32 exec_lo, exec_lo, s4
	s_wait_loadcnt 0x0
	v_mul_f32_e64 v9, v7, -s34
	v_mul_f32_e32 v7, s33, v7
	v_lshl_add_u32 v8, v8, 3, v18
	v_add_nc_u64_e32 v[2:3], 16, v[2:3]
	s_delay_alu instid0(VALU_DEP_3) | instskip(SKIP_4) | instid1(SALU_CYCLE_1)
	v_dual_fmac_f32 v9, s33, v6 :: v_dual_fmac_f32 v7, s34, v6
	ds_add_f32 v8, v9
	ds_add_f32 v8, v7 offset:4
	v_cmp_ge_i64_e32 vcc_lo, v[2:3], v[0:1]
	s_or_b32 s5, vcc_lo, s5
	s_and_not1_b32 exec_lo, exec_lo, s5
	s_cbranch_execz .LBB201_36
.LBB201_43:                             ; =>This Loop Header: Depth=1
                                        ;     Child Loop BB201_46 Depth 2
	v_lshl_add_u64 v[6:7], v[2:3], 2, s[6:7]
	s_mov_b32 s4, exec_lo
	global_load_b32 v8, v[6:7], off
	s_wait_xcnt 0x0
	v_lshl_add_u64 v[6:7], v[2:3], 3, s[8:9]
	global_load_b64 v[6:7], v[6:7], off
	s_wait_loadcnt 0x1
	v_subrev_nc_u32_e32 v9, s23, v8
	s_delay_alu instid0(VALU_DEP_1) | instskip(NEXT) | instid1(VALU_DEP_1)
	v_lshl_add_u32 v8, v9, 3, v9
	v_and_b32_e32 v8, 31, v8
	s_delay_alu instid0(VALU_DEP_1)
	v_lshl_add_u32 v10, v8, 2, v17
	ds_load_b32 v11, v10
	s_wait_dscnt 0x0
	s_wait_xcnt 0x0
	v_cmpx_ne_u32_e64 v11, v9
	s_cbranch_execz .LBB201_42
; %bb.44:                               ;   in Loop: Header=BB201_43 Depth=1
	s_mov_b32 s12, 0
	s_branch .LBB201_46
.LBB201_45:                             ;   in Loop: Header=BB201_46 Depth=2
	s_or_b32 exec_lo, exec_lo, s15
	s_delay_alu instid0(SALU_CYCLE_1) | instskip(NEXT) | instid1(SALU_CYCLE_1)
	s_and_b32 s13, exec_lo, s14
	s_or_b32 s12, s13, s12
	s_delay_alu instid0(SALU_CYCLE_1)
	s_and_not1_b32 exec_lo, exec_lo, s12
	s_cbranch_execz .LBB201_41
.LBB201_46:                             ;   Parent Loop BB201_43 Depth=1
                                        ; =>  This Inner Loop Header: Depth=2
	s_mov_b32 s13, 0
	s_mov_b32 s14, exec_lo
	v_cmpx_ne_u32_e64 s1, v11
	s_xor_b32 s14, exec_lo, s14
	s_cbranch_execz .LBB201_48
; %bb.47:                               ;   in Loop: Header=BB201_46 Depth=2
	v_add_nc_u32_e32 v8, 1, v8
	s_mov_b32 s13, exec_lo
                                        ; implicit-def: $vgpr10
	s_delay_alu instid0(VALU_DEP_1)
	v_and_b32_e32 v8, 31, v8
	s_and_not1_saveexec_b32 s14, s14
	s_cbranch_execz .LBB201_50
	s_branch .LBB201_49
.LBB201_48:                             ;   in Loop: Header=BB201_46 Depth=2
	s_and_not1_saveexec_b32 s14, s14
	s_cbranch_execz .LBB201_50
.LBB201_49:                             ;   in Loop: Header=BB201_46 Depth=2
	v_mov_b32_e32 v11, s1
	s_and_not1_b32 s13, s13, exec_lo
	ds_cmpstore_rtn_b32 v10, v10, v9, v11
	s_wait_dscnt 0x0
	v_cmp_ne_u32_e32 vcc_lo, s1, v10
	s_and_b32 s15, vcc_lo, exec_lo
	s_delay_alu instid0(SALU_CYCLE_1)
	s_or_b32 s13, s13, s15
.LBB201_50:                             ;   in Loop: Header=BB201_46 Depth=2
	s_or_b32 exec_lo, exec_lo, s14
	s_mov_b32 s14, -1
                                        ; implicit-def: $vgpr10
                                        ; implicit-def: $vgpr11
	s_and_saveexec_b32 s15, s13
	s_cbranch_execz .LBB201_45
; %bb.51:                               ;   in Loop: Header=BB201_46 Depth=2
	v_lshl_add_u32 v10, v8, 2, v17
	ds_load_b32 v11, v10
	s_wait_dscnt 0x0
	v_cmp_eq_u32_e32 vcc_lo, v11, v9
	s_or_not1_b32 s14, vcc_lo, exec_lo
	s_branch .LBB201_45
.LBB201_52:
	s_endpgm
	.section	.rodata,"a",@progbits
	.p2align	6, 0x0
	.amdhsa_kernel _ZN9rocsparseL38csrgemm_numeric_fill_wf_per_row_kernelILj256ELj16ELj32ELj137Eli21rocsparse_complex_numIfEEEvT4_S3_PKS3_S5_NS_24const_host_device_scalarIT5_EEPKT3_S5_PKS7_SB_S5_SD_S8_SB_S5_SD_SB_S5_PS7_21rocsparse_index_base_SF_SF_SF_bbb
		.amdhsa_group_segment_fixed_size 6144
		.amdhsa_private_segment_fixed_size 0
		.amdhsa_kernarg_size 156
		.amdhsa_user_sgpr_count 2
		.amdhsa_user_sgpr_dispatch_ptr 0
		.amdhsa_user_sgpr_queue_ptr 0
		.amdhsa_user_sgpr_kernarg_segment_ptr 1
		.amdhsa_user_sgpr_dispatch_id 0
		.amdhsa_user_sgpr_kernarg_preload_length 0
		.amdhsa_user_sgpr_kernarg_preload_offset 0
		.amdhsa_user_sgpr_private_segment_size 0
		.amdhsa_wavefront_size32 1
		.amdhsa_uses_dynamic_stack 0
		.amdhsa_enable_private_segment 0
		.amdhsa_system_sgpr_workgroup_id_x 1
		.amdhsa_system_sgpr_workgroup_id_y 0
		.amdhsa_system_sgpr_workgroup_id_z 0
		.amdhsa_system_sgpr_workgroup_info 0
		.amdhsa_system_vgpr_workitem_id 0
		.amdhsa_next_free_vgpr 24
		.amdhsa_next_free_sgpr 42
		.amdhsa_named_barrier_count 0
		.amdhsa_reserve_vcc 1
		.amdhsa_float_round_mode_32 0
		.amdhsa_float_round_mode_16_64 0
		.amdhsa_float_denorm_mode_32 3
		.amdhsa_float_denorm_mode_16_64 3
		.amdhsa_fp16_overflow 0
		.amdhsa_memory_ordered 1
		.amdhsa_forward_progress 1
		.amdhsa_inst_pref_size 22
		.amdhsa_round_robin_scheduling 0
		.amdhsa_exception_fp_ieee_invalid_op 0
		.amdhsa_exception_fp_denorm_src 0
		.amdhsa_exception_fp_ieee_div_zero 0
		.amdhsa_exception_fp_ieee_overflow 0
		.amdhsa_exception_fp_ieee_underflow 0
		.amdhsa_exception_fp_ieee_inexact 0
		.amdhsa_exception_int_div_zero 0
	.end_amdhsa_kernel
	.section	.text._ZN9rocsparseL38csrgemm_numeric_fill_wf_per_row_kernelILj256ELj16ELj32ELj137Eli21rocsparse_complex_numIfEEEvT4_S3_PKS3_S5_NS_24const_host_device_scalarIT5_EEPKT3_S5_PKS7_SB_S5_SD_S8_SB_S5_SD_SB_S5_PS7_21rocsparse_index_base_SF_SF_SF_bbb,"axG",@progbits,_ZN9rocsparseL38csrgemm_numeric_fill_wf_per_row_kernelILj256ELj16ELj32ELj137Eli21rocsparse_complex_numIfEEEvT4_S3_PKS3_S5_NS_24const_host_device_scalarIT5_EEPKT3_S5_PKS7_SB_S5_SD_S8_SB_S5_SD_SB_S5_PS7_21rocsparse_index_base_SF_SF_SF_bbb,comdat
.Lfunc_end201:
	.size	_ZN9rocsparseL38csrgemm_numeric_fill_wf_per_row_kernelILj256ELj16ELj32ELj137Eli21rocsparse_complex_numIfEEEvT4_S3_PKS3_S5_NS_24const_host_device_scalarIT5_EEPKT3_S5_PKS7_SB_S5_SD_S8_SB_S5_SD_SB_S5_PS7_21rocsparse_index_base_SF_SF_SF_bbb, .Lfunc_end201-_ZN9rocsparseL38csrgemm_numeric_fill_wf_per_row_kernelILj256ELj16ELj32ELj137Eli21rocsparse_complex_numIfEEEvT4_S3_PKS3_S5_NS_24const_host_device_scalarIT5_EEPKT3_S5_PKS7_SB_S5_SD_S8_SB_S5_SD_SB_S5_PS7_21rocsparse_index_base_SF_SF_SF_bbb
                                        ; -- End function
	.set _ZN9rocsparseL38csrgemm_numeric_fill_wf_per_row_kernelILj256ELj16ELj32ELj137Eli21rocsparse_complex_numIfEEEvT4_S3_PKS3_S5_NS_24const_host_device_scalarIT5_EEPKT3_S5_PKS7_SB_S5_SD_S8_SB_S5_SD_SB_S5_PS7_21rocsparse_index_base_SF_SF_SF_bbb.num_vgpr, 24
	.set _ZN9rocsparseL38csrgemm_numeric_fill_wf_per_row_kernelILj256ELj16ELj32ELj137Eli21rocsparse_complex_numIfEEEvT4_S3_PKS3_S5_NS_24const_host_device_scalarIT5_EEPKT3_S5_PKS7_SB_S5_SD_S8_SB_S5_SD_SB_S5_PS7_21rocsparse_index_base_SF_SF_SF_bbb.num_agpr, 0
	.set _ZN9rocsparseL38csrgemm_numeric_fill_wf_per_row_kernelILj256ELj16ELj32ELj137Eli21rocsparse_complex_numIfEEEvT4_S3_PKS3_S5_NS_24const_host_device_scalarIT5_EEPKT3_S5_PKS7_SB_S5_SD_S8_SB_S5_SD_SB_S5_PS7_21rocsparse_index_base_SF_SF_SF_bbb.numbered_sgpr, 42
	.set _ZN9rocsparseL38csrgemm_numeric_fill_wf_per_row_kernelILj256ELj16ELj32ELj137Eli21rocsparse_complex_numIfEEEvT4_S3_PKS3_S5_NS_24const_host_device_scalarIT5_EEPKT3_S5_PKS7_SB_S5_SD_S8_SB_S5_SD_SB_S5_PS7_21rocsparse_index_base_SF_SF_SF_bbb.num_named_barrier, 0
	.set _ZN9rocsparseL38csrgemm_numeric_fill_wf_per_row_kernelILj256ELj16ELj32ELj137Eli21rocsparse_complex_numIfEEEvT4_S3_PKS3_S5_NS_24const_host_device_scalarIT5_EEPKT3_S5_PKS7_SB_S5_SD_S8_SB_S5_SD_SB_S5_PS7_21rocsparse_index_base_SF_SF_SF_bbb.private_seg_size, 0
	.set _ZN9rocsparseL38csrgemm_numeric_fill_wf_per_row_kernelILj256ELj16ELj32ELj137Eli21rocsparse_complex_numIfEEEvT4_S3_PKS3_S5_NS_24const_host_device_scalarIT5_EEPKT3_S5_PKS7_SB_S5_SD_S8_SB_S5_SD_SB_S5_PS7_21rocsparse_index_base_SF_SF_SF_bbb.uses_vcc, 1
	.set _ZN9rocsparseL38csrgemm_numeric_fill_wf_per_row_kernelILj256ELj16ELj32ELj137Eli21rocsparse_complex_numIfEEEvT4_S3_PKS3_S5_NS_24const_host_device_scalarIT5_EEPKT3_S5_PKS7_SB_S5_SD_S8_SB_S5_SD_SB_S5_PS7_21rocsparse_index_base_SF_SF_SF_bbb.uses_flat_scratch, 0
	.set _ZN9rocsparseL38csrgemm_numeric_fill_wf_per_row_kernelILj256ELj16ELj32ELj137Eli21rocsparse_complex_numIfEEEvT4_S3_PKS3_S5_NS_24const_host_device_scalarIT5_EEPKT3_S5_PKS7_SB_S5_SD_S8_SB_S5_SD_SB_S5_PS7_21rocsparse_index_base_SF_SF_SF_bbb.has_dyn_sized_stack, 0
	.set _ZN9rocsparseL38csrgemm_numeric_fill_wf_per_row_kernelILj256ELj16ELj32ELj137Eli21rocsparse_complex_numIfEEEvT4_S3_PKS3_S5_NS_24const_host_device_scalarIT5_EEPKT3_S5_PKS7_SB_S5_SD_S8_SB_S5_SD_SB_S5_PS7_21rocsparse_index_base_SF_SF_SF_bbb.has_recursion, 0
	.set _ZN9rocsparseL38csrgemm_numeric_fill_wf_per_row_kernelILj256ELj16ELj32ELj137Eli21rocsparse_complex_numIfEEEvT4_S3_PKS3_S5_NS_24const_host_device_scalarIT5_EEPKT3_S5_PKS7_SB_S5_SD_S8_SB_S5_SD_SB_S5_PS7_21rocsparse_index_base_SF_SF_SF_bbb.has_indirect_call, 0
	.section	.AMDGPU.csdata,"",@progbits
; Kernel info:
; codeLenInByte = 2744
; TotalNumSgprs: 44
; NumVgprs: 24
; ScratchSize: 0
; MemoryBound: 0
; FloatMode: 240
; IeeeMode: 1
; LDSByteSize: 6144 bytes/workgroup (compile time only)
; SGPRBlocks: 0
; VGPRBlocks: 1
; NumSGPRsForWavesPerEU: 44
; NumVGPRsForWavesPerEU: 24
; NamedBarCnt: 0
; Occupancy: 16
; WaveLimiterHint : 1
; COMPUTE_PGM_RSRC2:SCRATCH_EN: 0
; COMPUTE_PGM_RSRC2:USER_SGPR: 2
; COMPUTE_PGM_RSRC2:TRAP_HANDLER: 0
; COMPUTE_PGM_RSRC2:TGID_X_EN: 1
; COMPUTE_PGM_RSRC2:TGID_Y_EN: 0
; COMPUTE_PGM_RSRC2:TGID_Z_EN: 0
; COMPUTE_PGM_RSRC2:TIDIG_COMP_CNT: 0
	.section	.text._ZN9rocsparseL41csrgemm_numeric_fill_block_per_row_kernelILj128ELj16ELj256ELj137ELj32Eli21rocsparse_complex_numIfEEEvT5_PKS3_S5_NS_24const_host_device_scalarIT6_EEPKT4_S5_PKS7_SB_S5_SD_S8_SB_S5_SD_SB_S5_PS7_21rocsparse_index_base_SF_SF_SF_bbb,"axG",@progbits,_ZN9rocsparseL41csrgemm_numeric_fill_block_per_row_kernelILj128ELj16ELj256ELj137ELj32Eli21rocsparse_complex_numIfEEEvT5_PKS3_S5_NS_24const_host_device_scalarIT6_EEPKT4_S5_PKS7_SB_S5_SD_S8_SB_S5_SD_SB_S5_PS7_21rocsparse_index_base_SF_SF_SF_bbb,comdat
	.globl	_ZN9rocsparseL41csrgemm_numeric_fill_block_per_row_kernelILj128ELj16ELj256ELj137ELj32Eli21rocsparse_complex_numIfEEEvT5_PKS3_S5_NS_24const_host_device_scalarIT6_EEPKT4_S5_PKS7_SB_S5_SD_S8_SB_S5_SD_SB_S5_PS7_21rocsparse_index_base_SF_SF_SF_bbb ; -- Begin function _ZN9rocsparseL41csrgemm_numeric_fill_block_per_row_kernelILj128ELj16ELj256ELj137ELj32Eli21rocsparse_complex_numIfEEEvT5_PKS3_S5_NS_24const_host_device_scalarIT6_EEPKT4_S5_PKS7_SB_S5_SD_S8_SB_S5_SD_SB_S5_PS7_21rocsparse_index_base_SF_SF_SF_bbb
	.p2align	8
	.type	_ZN9rocsparseL41csrgemm_numeric_fill_block_per_row_kernelILj128ELj16ELj256ELj137ELj32Eli21rocsparse_complex_numIfEEEvT5_PKS3_S5_NS_24const_host_device_scalarIT6_EEPKT4_S5_PKS7_SB_S5_SD_S8_SB_S5_SD_SB_S5_PS7_21rocsparse_index_base_SF_SF_SF_bbb,@function
_ZN9rocsparseL41csrgemm_numeric_fill_block_per_row_kernelILj128ELj16ELj256ELj137ELj32Eli21rocsparse_complex_numIfEEEvT5_PKS3_S5_NS_24const_host_device_scalarIT6_EEPKT4_S5_PKS7_SB_S5_SD_S8_SB_S5_SD_SB_S5_PS7_21rocsparse_index_base_SF_SF_SF_bbb: ; @_ZN9rocsparseL41csrgemm_numeric_fill_block_per_row_kernelILj128ELj16ELj256ELj137ELj32Eli21rocsparse_complex_numIfEEEvT5_PKS3_S5_NS_24const_host_device_scalarIT6_EEPKT4_S5_PKS7_SB_S5_SD_S8_SB_S5_SD_SB_S5_PS7_21rocsparse_index_base_SF_SF_SF_bbb
; %bb.0:
	s_clause 0x3
	s_load_b32 s33, s[0:1], 0x98
	s_load_b128 s[20:23], s[0:1], 0x88
	s_load_b128 s[28:31], s[0:1], 0x8
	s_load_b64 s[36:37], s[0:1], 0x50
	s_mov_b32 s3, 0
	s_mov_b32 s40, 0
	s_wait_kmcnt 0x0
	s_bitcmp1_b32 s33, 0
	s_cselect_b32 s41, -1, 0
	s_bitcmp1_b32 s33, 16
	s_cselect_b32 s2, -1, 0
	s_delay_alu instid0(SALU_CYCLE_1) | instskip(SKIP_2) | instid1(VALU_DEP_1)
	s_xor_b32 s4, s2, -1
	s_bitcmp0_b32 s33, 0
	v_cndmask_b32_e64 v1, 0, 1, s4
	v_cmp_ne_u32_e32 vcc_lo, 1, v1
	s_cbranch_scc1 .LBB202_5
; %bb.1:
	s_load_b64 s[2:3], s[0:1], 0x18
	s_and_b32 vcc_lo, exec_lo, vcc_lo
	s_wait_kmcnt 0x0
	s_mov_b32 s40, s2
	s_cbranch_vccnz .LBB202_3
; %bb.2:
	s_load_b32 s40, s[2:3], 0x0
.LBB202_3:
	s_and_not1_b32 vcc_lo, exec_lo, s4
	s_cbranch_vccnz .LBB202_5
; %bb.4:
	s_wait_xcnt 0x0
	s_load_b32 s3, s[2:3], 0x4
.LBB202_5:
	s_clause 0x3
	s_load_b64 s[34:35], s[0:1], 0x80
	s_load_b256 s[4:11], s[0:1], 0x58
	s_load_b128 s[24:27], s[0:1], 0x40
	s_load_b256 s[12:19], s[0:1], 0x20
	s_bitcmp1_b32 s33, 8
	s_mov_b32 s38, 0
	s_wait_xcnt 0x0
	s_cselect_b32 s2, -1, 0
	s_bfe_u32 s33, s33, 0x10008
	s_mov_b32 s39, 0
	s_cmp_eq_u32 s33, 0
	s_cbranch_scc1 .LBB202_11
; %bb.6:
	v_cmp_ne_u32_e32 vcc_lo, 1, v1
	s_mov_b32 s38, s36
	s_cbranch_vccnz .LBB202_8
; %bb.7:
	s_load_b32 s38, s[36:37], 0x0
.LBB202_8:
	v_cmp_ne_u32_e32 vcc_lo, 1, v1
	s_cbranch_vccnz .LBB202_10
; %bb.9:
	s_wait_xcnt 0x0
	s_load_b32 s37, s[36:37], 0x4
.LBB202_10:
	s_wait_kmcnt 0x0
	s_mov_b32 s39, s37
.LBB202_11:
	s_load_b32 s33, s[0:1], 0x0
	s_wait_xcnt 0x0
	v_cmp_gt_u32_e64 s0, 0x100, v0
	v_lshlrev_b32_e32 v14, 3, v0
	v_or_b32_e32 v12, 0xffffff80, v0
	v_lshl_add_u32 v13, v0, 2, 0
	s_and_saveexec_b32 s1, s0
	s_cbranch_execz .LBB202_14
; %bb.12:
	v_add3_u32 v1, v14, 0, 0x400
	v_or_b32_e32 v2, 0xffffff80, v0
	v_lshl_add_u32 v3, v0, 2, 0
	s_wait_kmcnt 0x0
	v_dual_mov_b32 v4, s33 :: v_dual_mov_b32 v5, 0
	s_mov_b32 s36, 0
.LBB202_13:                             ; =>This Inner Loop Header: Depth=1
	v_add_co_u32 v2, s37, 0x80, v2
	s_xor_b32 s37, s37, -1
	ds_store_b32 v3, v4
	ds_store_2addr_b32 v1, v5, v5 offset1:1
	v_add_nc_u32_e32 v1, 0x400, v1
	v_add_nc_u32_e32 v3, 0x200, v3
	s_and_b32 s37, exec_lo, s37
	s_delay_alu instid0(SALU_CYCLE_1) | instskip(NEXT) | instid1(SALU_CYCLE_1)
	s_or_b32 s36, s37, s36
	s_and_not1_b32 exec_lo, exec_lo, s36
	s_cbranch_execnz .LBB202_13
.LBB202_14:
	s_or_b32 exec_lo, exec_lo, s1
	s_wait_dscnt 0x0
	s_barrier_signal -1
	s_barrier_wait -1
	s_load_b32 s1, s[28:29], 0x0
	s_wait_xcnt 0x0
	s_bfe_u32 s28, ttmp6, 0x4000c
	s_and_b32 s29, ttmp6, 15
	s_add_co_i32 s28, s28, 1
	s_getreg_b32 s36, hwreg(HW_REG_IB_STS2, 6, 4)
	s_mul_i32 s28, ttmp9, s28
	s_delay_alu instid0(SALU_CYCLE_1)
	s_add_co_i32 s29, s29, s28
	s_cmp_eq_u32 s36, 0
	s_cselect_b32 s28, ttmp9, s29
	s_and_b32 vcc_lo, exec_lo, s41
	s_wait_kmcnt 0x0
	s_add_co_i32 s1, s1, s28
	s_load_b32 s28, s[30:31], s1 offset:0x0 scale_offset
	s_wait_xcnt 0x0
	s_mov_b32 s31, 0
	s_cbranch_vccz .LBB202_32
; %bb.15:
	s_wait_kmcnt 0x0
	s_ashr_i32 s29, s28, 31
	v_dual_mov_b32 v5, 0 :: v_dual_lshrrev_b32 v4, 4, v0
	s_lshl_b64 s[36:37], s[28:29], 3
	s_mov_b32 s30, s20
	s_add_nc_u64 s[12:13], s[12:13], s[36:37]
	s_mov_b32 s1, exec_lo
	s_load_b128 s[44:47], s[12:13], 0x0
	v_sub_nc_u64_e64 v[2:3], v[4:5], s[30:31]
	s_wait_kmcnt 0x0
	s_delay_alu instid0(VALU_DEP_1)
	v_add_nc_u64_e32 v[2:3], s[44:45], v[2:3]
	s_sub_nc_u64 s[12:13], s[46:47], s[30:31]
	s_delay_alu instid0(VALU_DEP_1) | instid1(SALU_CYCLE_1)
	v_cmpx_gt_i64_e64 s[12:13], v[2:3]
	s_cbranch_execz .LBB202_31
; %bb.16:
	v_and_b32_e32 v4, 15, v0
	s_mov_b32 s30, s21
	s_mov_b32 s29, s31
	s_delay_alu instid0(VALU_DEP_1)
	v_sub_nc_u64_e64 v[4:5], v[4:5], s[30:31]
	s_branch .LBB202_18
.LBB202_17:                             ;   in Loop: Header=BB202_18 Depth=1
	s_or_b32 exec_lo, exec_lo, s36
	v_add_nc_u64_e32 v[2:3], 8, v[2:3]
	s_delay_alu instid0(VALU_DEP_1) | instskip(SKIP_1) | instid1(SALU_CYCLE_1)
	v_cmp_le_i64_e32 vcc_lo, s[12:13], v[2:3]
	s_or_b32 s29, vcc_lo, s29
	s_and_not1_b32 exec_lo, exec_lo, s29
	s_cbranch_execz .LBB202_31
.LBB202_18:                             ; =>This Loop Header: Depth=1
                                        ;     Child Loop BB202_22 Depth 2
                                        ;       Child Loop BB202_25 Depth 3
	v_lshl_add_u64 v[6:7], v[2:3], 2, s[14:15]
	s_mov_b32 s36, exec_lo
	global_load_b32 v1, v[6:7], off
	s_wait_loadcnt 0x0
	s_wait_xcnt 0x0
	v_subrev_nc_u32_e32 v6, s20, v1
	s_delay_alu instid0(VALU_DEP_1) | instskip(NEXT) | instid1(VALU_DEP_1)
	v_ashrrev_i32_e32 v7, 31, v6
	v_lshl_add_u64 v[6:7], v[6:7], 3, s[18:19]
	global_load_b128 v[8:11], v[6:7], off
	s_wait_loadcnt 0x0
	s_wait_xcnt 0x0
	v_sub_nc_u64_e64 v[6:7], v[10:11], s[30:31]
	v_add_nc_u64_e32 v[8:9], v[8:9], v[4:5]
	s_delay_alu instid0(VALU_DEP_1)
	v_cmpx_lt_i64_e64 v[8:9], v[6:7]
	s_cbranch_execz .LBB202_17
; %bb.19:                               ;   in Loop: Header=BB202_18 Depth=1
	v_lshl_add_u64 v[10:11], v[2:3], 3, s[16:17]
	s_mov_b32 s37, 0
	global_load_b64 v[10:11], v[10:11], off
	s_wait_loadcnt 0x0
	v_mul_f32_e64 v1, v11, -s3
	s_delay_alu instid0(VALU_DEP_1) | instskip(NEXT) | instid1(VALU_DEP_1)
	v_dual_mul_f32 v15, s40, v11 :: v_dual_fmac_f32 v1, s40, v10
	v_fmac_f32_e32 v15, s3, v10
	s_branch .LBB202_22
.LBB202_20:                             ;   in Loop: Header=BB202_22 Depth=2
	s_or_b32 exec_lo, exec_lo, s42
.LBB202_21:                             ;   in Loop: Header=BB202_22 Depth=2
	s_delay_alu instid0(SALU_CYCLE_1)
	s_or_b32 exec_lo, exec_lo, s41
	s_wait_loadcnt 0x0
	v_mul_f32_e64 v17, v11, -v15
	v_mul_f32_e32 v11, v1, v11
	v_lshl_add_u32 v16, v16, 3, 0
	v_add_nc_u64_e32 v[8:9], 16, v[8:9]
	s_delay_alu instid0(VALU_DEP_3) | instskip(SKIP_4) | instid1(SALU_CYCLE_1)
	v_dual_fmac_f32 v17, v1, v10 :: v_dual_fmac_f32 v11, v15, v10
	ds_add_f32 v16, v17 offset:1024
	ds_add_f32 v16, v11 offset:1028
	v_cmp_ge_i64_e32 vcc_lo, v[8:9], v[6:7]
	s_or_b32 s37, vcc_lo, s37
	s_and_not1_b32 exec_lo, exec_lo, s37
	s_cbranch_execz .LBB202_17
.LBB202_22:                             ;   Parent Loop BB202_18 Depth=1
                                        ; =>  This Loop Header: Depth=2
                                        ;       Child Loop BB202_25 Depth 3
	s_wait_xcnt 0x0
	v_lshl_add_u64 v[10:11], v[8:9], 2, s[24:25]
	s_mov_b32 s41, exec_lo
	global_load_b32 v16, v[10:11], off
	s_wait_xcnt 0x0
	v_lshl_add_u64 v[10:11], v[8:9], 3, s[26:27]
	global_load_b64 v[10:11], v[10:11], off
	s_wait_loadcnt 0x1
	v_subrev_nc_u32_e32 v17, s21, v16
	s_delay_alu instid0(VALU_DEP_1) | instskip(NEXT) | instid1(VALU_DEP_1)
	v_mul_lo_u32 v16, 0x89, v17
	v_and_b32_e32 v16, 0xff, v16
	s_delay_alu instid0(VALU_DEP_1)
	v_lshl_add_u32 v18, v16, 2, 0
	ds_load_b32 v19, v18
	s_wait_dscnt 0x0
	s_wait_xcnt 0x0
	v_cmpx_ne_u32_e64 v19, v17
	s_cbranch_execz .LBB202_21
; %bb.23:                               ;   in Loop: Header=BB202_22 Depth=2
	s_mov_b32 s42, 0
	s_branch .LBB202_25
.LBB202_24:                             ;   in Loop: Header=BB202_25 Depth=3
	s_or_b32 exec_lo, exec_lo, s45
	s_delay_alu instid0(SALU_CYCLE_1) | instskip(NEXT) | instid1(SALU_CYCLE_1)
	s_and_b32 s43, exec_lo, s44
	s_or_b32 s42, s43, s42
	s_delay_alu instid0(SALU_CYCLE_1)
	s_and_not1_b32 exec_lo, exec_lo, s42
	s_cbranch_execz .LBB202_20
.LBB202_25:                             ;   Parent Loop BB202_18 Depth=1
                                        ;     Parent Loop BB202_22 Depth=2
                                        ; =>    This Inner Loop Header: Depth=3
	s_mov_b32 s43, 0
	s_mov_b32 s44, exec_lo
	v_cmpx_ne_u32_e64 s33, v19
	s_xor_b32 s44, exec_lo, s44
	s_cbranch_execz .LBB202_27
; %bb.26:                               ;   in Loop: Header=BB202_25 Depth=3
	v_add_nc_u32_e32 v16, 1, v16
	s_mov_b32 s43, exec_lo
                                        ; implicit-def: $vgpr18
	s_delay_alu instid0(VALU_DEP_1)
	v_and_b32_e32 v16, 0xff, v16
	s_and_not1_saveexec_b32 s44, s44
	s_cbranch_execz .LBB202_29
	s_branch .LBB202_28
.LBB202_27:                             ;   in Loop: Header=BB202_25 Depth=3
	s_and_not1_saveexec_b32 s44, s44
	s_cbranch_execz .LBB202_29
.LBB202_28:                             ;   in Loop: Header=BB202_25 Depth=3
	v_mov_b32_e32 v19, s33
	s_and_not1_b32 s43, s43, exec_lo
	ds_cmpstore_rtn_b32 v18, v18, v17, v19
	s_wait_dscnt 0x0
	v_cmp_ne_u32_e32 vcc_lo, s33, v18
	s_and_b32 s45, vcc_lo, exec_lo
	s_delay_alu instid0(SALU_CYCLE_1)
	s_or_b32 s43, s43, s45
.LBB202_29:                             ;   in Loop: Header=BB202_25 Depth=3
	s_or_b32 exec_lo, exec_lo, s44
	s_mov_b32 s44, -1
                                        ; implicit-def: $vgpr18
                                        ; implicit-def: $vgpr19
	s_and_saveexec_b32 s45, s43
	s_cbranch_execz .LBB202_24
; %bb.30:                               ;   in Loop: Header=BB202_25 Depth=3
	v_lshl_add_u32 v18, v16, 2, 0
	ds_load_b32 v19, v18
	s_wait_dscnt 0x0
	v_cmp_eq_u32_e32 vcc_lo, v19, v17
	s_or_not1_b32 s44, vcc_lo, exec_lo
	s_branch .LBB202_24
.LBB202_31:
	s_or_b32 exec_lo, exec_lo, s1
.LBB202_32:
	s_delay_alu instid0(SALU_CYCLE_1)
	s_and_not1_b32 vcc_lo, exec_lo, s2
	s_cbranch_vccnz .LBB202_35
; %bb.33:
	s_wait_kmcnt 0x0
	s_ashr_i32 s29, s28, 31
	v_mov_b32_e32 v1, 0
	s_lshl_b64 s[2:3], s[28:29], 3
	s_mov_b32 s1, exec_lo
	s_add_nc_u64 s[2:3], s[4:5], s[2:3]
	s_load_b128 s[12:15], s[2:3], 0x0
	s_wait_xcnt 0x0
	s_mov_b32 s3, 0
	s_mov_b32 s2, s23
	s_delay_alu instid0(SALU_CYCLE_1) | instskip(SKIP_1) | instid1(VALU_DEP_1)
	v_sub_nc_u64_e64 v[2:3], v[0:1], s[2:3]
	s_wait_kmcnt 0x0
	v_add_nc_u64_e32 v[2:3], s[12:13], v[2:3]
	s_sub_nc_u64 s[4:5], s[14:15], s[2:3]
	s_delay_alu instid0(VALU_DEP_1) | instid1(SALU_CYCLE_1)
	v_cmpx_gt_i64_e64 s[4:5], v[2:3]
	s_cbranch_execnz .LBB202_50
.LBB202_34:
	s_or_b32 exec_lo, exec_lo, s1
.LBB202_35:
	s_wait_dscnt 0x0
	s_barrier_signal -1
	s_barrier_wait -1
	s_and_saveexec_b32 s4, s0
	s_cbranch_execz .LBB202_59
; %bb.36:
	v_mbcnt_lo_u32_b32 v2, -1, 0
	v_dual_lshrrev_b32 v3, 3, v0 :: v_dual_mov_b32 v1, 0
	v_cmp_lt_u32_e64 s0, 31, v0
	v_cmp_lt_u32_e64 s1, 63, v0
	s_delay_alu instid0(VALU_DEP_3)
	v_dual_mov_b32 v7, 0 :: v_dual_bitop2_b32 v3, 12, v3 bitop3:0x40
	v_xor_b32_e32 v2, 31, v2
	v_cmp_lt_u32_e64 s2, 0x5f, v0
	v_add3_u32 v6, v14, 0, 0x400
	s_mov_b32 s5, 0
	v_add_nc_u32_e32 v3, 0, v3
	v_lshrrev_b32_e64 v2, v2, -1
	v_cmp_eq_u32_e32 vcc_lo, 0x7f, v0
	s_branch .LBB202_38
.LBB202_37:                             ;   in Loop: Header=BB202_38 Depth=1
	s_or_b32 exec_lo, exec_lo, s3
	s_wait_dscnt 0x0
	s_barrier_signal -1
	s_barrier_wait -1
	ds_load_b32 v4, v1 offset:3084
	v_add_co_u32 v12, s3, 0x80, v12
	s_xor_b32 s3, s3, -1
	v_add_nc_u32_e32 v6, 0x400, v6
	v_add_nc_u32_e32 v13, 0x200, v13
	s_and_b32 s3, exec_lo, s3
	s_delay_alu instid0(SALU_CYCLE_1)
	s_or_b32 s5, s3, s5
	s_wait_dscnt 0x0
	v_add_nc_u32_e32 v7, v4, v7
	s_and_not1_b32 exec_lo, exec_lo, s5
	s_cbranch_execz .LBB202_59
.LBB202_38:                             ; =>This Inner Loop Header: Depth=1
	ds_load_b32 v8, v13
	ds_load_2addr_b32 v[4:5], v6 offset1:1
	s_wait_dscnt 0x0
	s_barrier_signal -1
	s_barrier_wait -1
	v_cmp_gt_i32_e64 s3, s33, v8
	s_bcnt1_i32_b32 s6, s3
	s_delay_alu instid0(SALU_CYCLE_1) | instskip(NEXT) | instid1(VALU_DEP_1)
	v_dual_mov_b32 v10, s6 :: v_dual_bitop2_b32 v9, s3, v2 bitop3:0x40
	v_bcnt_u32_b32 v9, v9, 0
	ds_store_b32 v3, v10 offset:3072
	s_wait_dscnt 0x0
	s_barrier_signal -1
	s_barrier_wait -1
	s_and_saveexec_b32 s6, s0
	s_cbranch_execz .LBB202_43
; %bb.39:                               ;   in Loop: Header=BB202_38 Depth=1
	ds_load_b32 v10, v1 offset:3072
	s_wait_dscnt 0x0
	v_add_nc_u32_e32 v9, v10, v9
	s_or_b32 exec_lo, exec_lo, s6
	s_and_saveexec_b32 s6, s1
	s_cbranch_execnz .LBB202_44
.LBB202_40:                             ;   in Loop: Header=BB202_38 Depth=1
	s_or_b32 exec_lo, exec_lo, s6
	s_and_saveexec_b32 s6, s2
	s_cbranch_execz .LBB202_45
.LBB202_41:                             ;   in Loop: Header=BB202_38 Depth=1
	ds_load_b32 v10, v1 offset:3080
	s_wait_dscnt 0x0
	v_add_nc_u32_e32 v9, v10, v9
	s_or_b32 exec_lo, exec_lo, s6
	s_and_saveexec_b32 s6, s3
	s_cbranch_execnz .LBB202_46
.LBB202_42:                             ;   in Loop: Header=BB202_38 Depth=1
	s_or_b32 exec_lo, exec_lo, s6
	s_and_saveexec_b32 s3, vcc_lo
	s_cbranch_execz .LBB202_37
	s_branch .LBB202_47
.LBB202_43:                             ;   in Loop: Header=BB202_38 Depth=1
	s_or_b32 exec_lo, exec_lo, s6
	s_and_saveexec_b32 s6, s1
	s_cbranch_execz .LBB202_40
.LBB202_44:                             ;   in Loop: Header=BB202_38 Depth=1
	ds_load_b32 v10, v1 offset:3076
	s_wait_dscnt 0x0
	v_add_nc_u32_e32 v9, v10, v9
	s_or_b32 exec_lo, exec_lo, s6
	s_and_saveexec_b32 s6, s2
	s_cbranch_execnz .LBB202_41
.LBB202_45:                             ;   in Loop: Header=BB202_38 Depth=1
	s_or_b32 exec_lo, exec_lo, s6
	s_and_saveexec_b32 s6, s3
	s_cbranch_execz .LBB202_42
.LBB202_46:                             ;   in Loop: Header=BB202_38 Depth=1
	s_delay_alu instid0(VALU_DEP_1) | instskip(SKIP_1) | instid1(VALU_DEP_2)
	v_add3_u32 v10, v7, -1, v9
	v_add_nc_u32_e32 v11, v7, v9
	v_lshl_add_u32 v10, v10, 2, 0
	s_delay_alu instid0(VALU_DEP_2)
	v_lshl_add_u32 v11, v11, 3, 0
	ds_store_b32 v10, v8
	ds_store_2addr_b32 v11, v4, v5 offset0:254 offset1:255
	s_or_b32 exec_lo, exec_lo, s6
	s_and_saveexec_b32 s3, vcc_lo
	s_cbranch_execz .LBB202_37
.LBB202_47:                             ;   in Loop: Header=BB202_38 Depth=1
	ds_store_b32 v1, v9 offset:3084
	s_branch .LBB202_37
.LBB202_48:                             ;   in Loop: Header=BB202_50 Depth=1
	s_or_b32 exec_lo, exec_lo, s12
.LBB202_49:                             ;   in Loop: Header=BB202_50 Depth=1
	s_delay_alu instid0(SALU_CYCLE_1)
	s_or_b32 exec_lo, exec_lo, s2
	s_wait_loadcnt 0x0
	v_mul_f32_e64 v6, v5, -s39
	v_mul_f32_e32 v5, s38, v5
	v_lshl_add_u32 v1, v1, 3, 0
	v_add_nc_u64_e32 v[2:3], 0x80, v[2:3]
	s_delay_alu instid0(VALU_DEP_3) | instskip(SKIP_4) | instid1(SALU_CYCLE_1)
	v_dual_fmac_f32 v6, s38, v4 :: v_dual_fmac_f32 v5, s39, v4
	ds_add_f32 v1, v6 offset:1024
	ds_add_f32 v1, v5 offset:1028
	v_cmp_le_i64_e32 vcc_lo, s[4:5], v[2:3]
	s_or_b32 s3, vcc_lo, s3
	s_and_not1_b32 exec_lo, exec_lo, s3
	s_cbranch_execz .LBB202_34
.LBB202_50:                             ; =>This Loop Header: Depth=1
                                        ;     Child Loop BB202_53 Depth 2
	v_lshl_add_u64 v[4:5], v[2:3], 2, s[6:7]
	s_mov_b32 s2, exec_lo
	global_load_b32 v1, v[4:5], off
	s_wait_xcnt 0x0
	v_lshl_add_u64 v[4:5], v[2:3], 3, s[8:9]
	global_load_b64 v[4:5], v[4:5], off
	s_wait_loadcnt 0x1
	v_subrev_nc_u32_e32 v6, s23, v1
	s_delay_alu instid0(VALU_DEP_1) | instskip(NEXT) | instid1(VALU_DEP_1)
	v_mul_lo_u32 v1, 0x89, v6
	v_and_b32_e32 v1, 0xff, v1
	s_delay_alu instid0(VALU_DEP_1)
	v_lshl_add_u32 v7, v1, 2, 0
	ds_load_b32 v8, v7
	s_wait_dscnt 0x0
	s_wait_xcnt 0x0
	v_cmpx_ne_u32_e64 v8, v6
	s_cbranch_execz .LBB202_49
; %bb.51:                               ;   in Loop: Header=BB202_50 Depth=1
	s_mov_b32 s12, 0
	s_branch .LBB202_53
.LBB202_52:                             ;   in Loop: Header=BB202_53 Depth=2
	s_or_b32 exec_lo, exec_lo, s15
	s_delay_alu instid0(SALU_CYCLE_1) | instskip(NEXT) | instid1(SALU_CYCLE_1)
	s_and_b32 s13, exec_lo, s14
	s_or_b32 s12, s13, s12
	s_delay_alu instid0(SALU_CYCLE_1)
	s_and_not1_b32 exec_lo, exec_lo, s12
	s_cbranch_execz .LBB202_48
.LBB202_53:                             ;   Parent Loop BB202_50 Depth=1
                                        ; =>  This Inner Loop Header: Depth=2
	s_mov_b32 s13, 0
	s_mov_b32 s14, exec_lo
	v_cmpx_ne_u32_e64 s33, v8
	s_xor_b32 s14, exec_lo, s14
	s_cbranch_execz .LBB202_55
; %bb.54:                               ;   in Loop: Header=BB202_53 Depth=2
	v_add_nc_u32_e32 v1, 1, v1
	s_mov_b32 s13, exec_lo
                                        ; implicit-def: $vgpr7
	s_delay_alu instid0(VALU_DEP_1)
	v_and_b32_e32 v1, 0xff, v1
	s_and_not1_saveexec_b32 s14, s14
	s_cbranch_execz .LBB202_57
	s_branch .LBB202_56
.LBB202_55:                             ;   in Loop: Header=BB202_53 Depth=2
	s_and_not1_saveexec_b32 s14, s14
	s_cbranch_execz .LBB202_57
.LBB202_56:                             ;   in Loop: Header=BB202_53 Depth=2
	v_mov_b32_e32 v8, s33
	s_and_not1_b32 s13, s13, exec_lo
	ds_cmpstore_rtn_b32 v7, v7, v6, v8
	s_wait_dscnt 0x0
	v_cmp_ne_u32_e32 vcc_lo, s33, v7
	s_and_b32 s15, vcc_lo, exec_lo
	s_delay_alu instid0(SALU_CYCLE_1)
	s_or_b32 s13, s13, s15
.LBB202_57:                             ;   in Loop: Header=BB202_53 Depth=2
	s_or_b32 exec_lo, exec_lo, s14
	s_mov_b32 s14, -1
                                        ; implicit-def: $vgpr7
                                        ; implicit-def: $vgpr8
	s_and_saveexec_b32 s15, s13
	s_cbranch_execz .LBB202_52
; %bb.58:                               ;   in Loop: Header=BB202_53 Depth=2
	v_lshl_add_u32 v7, v1, 2, 0
	ds_load_b32 v8, v7
	s_wait_dscnt 0x0
	v_cmp_eq_u32_e32 vcc_lo, v8, v6
	s_or_not1_b32 s14, vcc_lo, exec_lo
	s_branch .LBB202_52
.LBB202_59:
	s_or_b32 exec_lo, exec_lo, s4
	s_wait_kmcnt 0x0
	s_ashr_i32 s29, s28, 31
	s_delay_alu instid0(SALU_CYCLE_1) | instskip(NEXT) | instid1(SALU_CYCLE_1)
	s_lshl_b64 s[0:1], s[28:29], 3
	s_add_nc_u64 s[4:5], s[10:11], s[0:1]
	s_load_b128 s[0:3], s[4:5], 0x0
	s_wait_xcnt 0x0
	s_mov_b32 s4, exec_lo
	s_wait_kmcnt 0x0
	s_sub_co_i32 s3, s2, s0
	s_delay_alu instid0(SALU_CYCLE_1)
	v_cmpx_gt_i32_e64 s3, v0
	s_cbranch_execz .LBB202_69
; %bb.60:
	s_sub_co_i32 s4, s0, s2
	s_and_b32 s2, s3, 7
	s_cmp_lt_u32 s4, -7
	s_mov_b32 s23, 0
	s_cselect_b32 s4, -1, 0
	s_and_b32 s5, s3, -8
	s_cmp_lg_u32 s2, 0
	s_sub_nc_u64 s[0:1], s[0:1], s[22:23]
	s_cselect_b32 s6, -1, 0
	s_mov_b32 s7, 0
	s_branch .LBB202_62
.LBB202_61:                             ;   in Loop: Header=BB202_62 Depth=1
	v_add_nc_u32_e32 v0, 0x80, v0
	s_delay_alu instid0(VALU_DEP_2) | instskip(NEXT) | instid1(VALU_DEP_2)
	v_lshl_add_u64 v[4:5], v[4:5], 3, s[34:35]
	v_cmp_le_i32_e32 vcc_lo, s3, v0
	s_wait_dscnt 0x0
	global_store_b64 v[4:5], v[2:3], off
	s_or_b32 s7, vcc_lo, s7
	s_wait_xcnt 0x0
	s_and_not1_b32 exec_lo, exec_lo, s7
	s_cbranch_execz .LBB202_69
.LBB202_62:                             ; =>This Loop Header: Depth=1
                                        ;     Child Loop BB202_64 Depth 2
                                        ;     Child Loop BB202_68 Depth 2
	v_lshlrev_b32_e32 v1, 2, v0
	v_mov_b64_e32 v[4:5], s[0:1]
	s_and_not1_b32 vcc_lo, exec_lo, s4
	s_mov_b32 s8, 0
	s_delay_alu instid0(VALU_DEP_2) | instskip(NEXT) | instid1(VALU_DEP_1)
	v_add_nc_u32_e32 v2, 0, v1
	v_add3_u32 v3, v2, v1, 0x400
	ds_load_b32 v1, v2
	ds_load_2addr_b32 v[2:3], v3 offset1:1
	s_cbranch_vccnz .LBB202_66
; %bb.63:                               ;   in Loop: Header=BB202_62 Depth=1
	v_mov_b64_e32 v[4:5], s[0:1]
	s_mov_b32 s9, 0
.LBB202_64:                             ;   Parent Loop BB202_62 Depth=1
                                        ; =>  This Inner Loop Header: Depth=2
	s_delay_alu instid0(SALU_CYCLE_1)
	v_dual_mov_b32 v10, s9 :: v_dual_mov_b32 v11, s23
	v_mov_b32_e32 v17, s23
	s_add_co_i32 s8, s8, 8
	s_add_co_i32 s9, s9, 32
	ds_load_2addr_b32 v[6:7], v10 offset1:1
	ds_load_2addr_b32 v[8:9], v10 offset0:2 offset1:3
	ds_load_2addr_b32 v[12:13], v10 offset0:4 offset1:5
	;; [unrolled: 1-line block ×3, first 2 shown]
	s_cmp_eq_u32 s5, s8
	s_wait_dscnt 0x3
	v_cmp_gt_i32_e32 vcc_lo, v1, v6
	v_cndmask_b32_e64 v10, 0, 1, vcc_lo
	v_cmp_gt_i32_e32 vcc_lo, v1, v7
	v_mov_b32_e32 v7, s23
	s_delay_alu instid0(VALU_DEP_3) | instskip(SKIP_4) | instid1(VALU_DEP_3)
	v_add_nc_u64_e32 v[4:5], v[4:5], v[10:11]
	v_cndmask_b32_e64 v16, 0, 1, vcc_lo
	s_wait_dscnt 0x2
	v_cmp_gt_i32_e32 vcc_lo, v1, v8
	v_cndmask_b32_e64 v6, 0, 1, vcc_lo
	v_add_nc_u64_e32 v[4:5], v[4:5], v[16:17]
	v_cmp_gt_i32_e32 vcc_lo, v1, v9
	v_mov_b32_e32 v9, s23
	v_cndmask_b32_e64 v10, 0, 1, vcc_lo
	s_delay_alu instid0(VALU_DEP_4) | instskip(SKIP_3) | instid1(VALU_DEP_3)
	v_add_nc_u64_e32 v[4:5], v[4:5], v[6:7]
	s_wait_dscnt 0x1
	v_cmp_gt_i32_e32 vcc_lo, v1, v12
	v_cndmask_b32_e64 v6, 0, 1, vcc_lo
	v_add_nc_u64_e32 v[4:5], v[4:5], v[10:11]
	v_cmp_gt_i32_e32 vcc_lo, v1, v13
	v_cndmask_b32_e64 v8, 0, 1, vcc_lo
	s_delay_alu instid0(VALU_DEP_3) | instskip(SKIP_3) | instid1(VALU_DEP_3)
	v_add_nc_u64_e32 v[4:5], v[4:5], v[6:7]
	s_wait_dscnt 0x0
	v_cmp_gt_i32_e32 vcc_lo, v1, v14
	v_cndmask_b32_e64 v6, 0, 1, vcc_lo
	v_add_nc_u64_e32 v[4:5], v[4:5], v[8:9]
	v_cmp_gt_i32_e32 vcc_lo, v1, v15
	v_cndmask_b32_e64 v8, 0, 1, vcc_lo
	s_delay_alu instid0(VALU_DEP_3) | instskip(NEXT) | instid1(VALU_DEP_1)
	v_add_nc_u64_e32 v[4:5], v[4:5], v[6:7]
	v_add_nc_u64_e32 v[4:5], v[4:5], v[8:9]
	s_cbranch_scc0 .LBB202_64
; %bb.65:                               ;   in Loop: Header=BB202_62 Depth=1
	s_mov_b32 s8, s5
.LBB202_66:                             ;   in Loop: Header=BB202_62 Depth=1
	s_and_not1_b32 vcc_lo, exec_lo, s6
	s_cbranch_vccnz .LBB202_61
; %bb.67:                               ;   in Loop: Header=BB202_62 Depth=1
	s_lshl_b32 s8, s8, 2
	s_mov_b32 s9, s2
	s_add_co_i32 s8, s8, 0
.LBB202_68:                             ;   Parent Loop BB202_62 Depth=1
                                        ; =>  This Inner Loop Header: Depth=2
	s_delay_alu instid0(SALU_CYCLE_1)
	v_dual_mov_b32 v6, s8 :: v_dual_mov_b32 v7, s23
	s_add_co_i32 s9, s9, -1
	s_add_co_i32 s8, s8, 4
	s_cmp_lg_u32 s9, 0
	ds_load_b32 v6, v6
	s_wait_dscnt 0x0
	v_cmp_gt_i32_e32 vcc_lo, v1, v6
	v_cndmask_b32_e64 v6, 0, 1, vcc_lo
	s_delay_alu instid0(VALU_DEP_1)
	v_add_nc_u64_e32 v[4:5], v[4:5], v[6:7]
	s_cbranch_scc1 .LBB202_68
	s_branch .LBB202_61
.LBB202_69:
	s_endpgm
	.section	.rodata,"a",@progbits
	.p2align	6, 0x0
	.amdhsa_kernel _ZN9rocsparseL41csrgemm_numeric_fill_block_per_row_kernelILj128ELj16ELj256ELj137ELj32Eli21rocsparse_complex_numIfEEEvT5_PKS3_S5_NS_24const_host_device_scalarIT6_EEPKT4_S5_PKS7_SB_S5_SD_S8_SB_S5_SD_SB_S5_PS7_21rocsparse_index_base_SF_SF_SF_bbb
		.amdhsa_group_segment_fixed_size 0
		.amdhsa_private_segment_fixed_size 0
		.amdhsa_kernarg_size 156
		.amdhsa_user_sgpr_count 2
		.amdhsa_user_sgpr_dispatch_ptr 0
		.amdhsa_user_sgpr_queue_ptr 0
		.amdhsa_user_sgpr_kernarg_segment_ptr 1
		.amdhsa_user_sgpr_dispatch_id 0
		.amdhsa_user_sgpr_kernarg_preload_length 0
		.amdhsa_user_sgpr_kernarg_preload_offset 0
		.amdhsa_user_sgpr_private_segment_size 0
		.amdhsa_wavefront_size32 1
		.amdhsa_uses_dynamic_stack 0
		.amdhsa_enable_private_segment 0
		.amdhsa_system_sgpr_workgroup_id_x 1
		.amdhsa_system_sgpr_workgroup_id_y 0
		.amdhsa_system_sgpr_workgroup_id_z 0
		.amdhsa_system_sgpr_workgroup_info 0
		.amdhsa_system_vgpr_workitem_id 0
		.amdhsa_next_free_vgpr 20
		.amdhsa_next_free_sgpr 48
		.amdhsa_named_barrier_count 0
		.amdhsa_reserve_vcc 1
		.amdhsa_float_round_mode_32 0
		.amdhsa_float_round_mode_16_64 0
		.amdhsa_float_denorm_mode_32 3
		.amdhsa_float_denorm_mode_16_64 3
		.amdhsa_fp16_overflow 0
		.amdhsa_memory_ordered 1
		.amdhsa_forward_progress 1
		.amdhsa_inst_pref_size 22
		.amdhsa_round_robin_scheduling 0
		.amdhsa_exception_fp_ieee_invalid_op 0
		.amdhsa_exception_fp_denorm_src 0
		.amdhsa_exception_fp_ieee_div_zero 0
		.amdhsa_exception_fp_ieee_overflow 0
		.amdhsa_exception_fp_ieee_underflow 0
		.amdhsa_exception_fp_ieee_inexact 0
		.amdhsa_exception_int_div_zero 0
	.end_amdhsa_kernel
	.section	.text._ZN9rocsparseL41csrgemm_numeric_fill_block_per_row_kernelILj128ELj16ELj256ELj137ELj32Eli21rocsparse_complex_numIfEEEvT5_PKS3_S5_NS_24const_host_device_scalarIT6_EEPKT4_S5_PKS7_SB_S5_SD_S8_SB_S5_SD_SB_S5_PS7_21rocsparse_index_base_SF_SF_SF_bbb,"axG",@progbits,_ZN9rocsparseL41csrgemm_numeric_fill_block_per_row_kernelILj128ELj16ELj256ELj137ELj32Eli21rocsparse_complex_numIfEEEvT5_PKS3_S5_NS_24const_host_device_scalarIT6_EEPKT4_S5_PKS7_SB_S5_SD_S8_SB_S5_SD_SB_S5_PS7_21rocsparse_index_base_SF_SF_SF_bbb,comdat
.Lfunc_end202:
	.size	_ZN9rocsparseL41csrgemm_numeric_fill_block_per_row_kernelILj128ELj16ELj256ELj137ELj32Eli21rocsparse_complex_numIfEEEvT5_PKS3_S5_NS_24const_host_device_scalarIT6_EEPKT4_S5_PKS7_SB_S5_SD_S8_SB_S5_SD_SB_S5_PS7_21rocsparse_index_base_SF_SF_SF_bbb, .Lfunc_end202-_ZN9rocsparseL41csrgemm_numeric_fill_block_per_row_kernelILj128ELj16ELj256ELj137ELj32Eli21rocsparse_complex_numIfEEEvT5_PKS3_S5_NS_24const_host_device_scalarIT6_EEPKT4_S5_PKS7_SB_S5_SD_S8_SB_S5_SD_SB_S5_PS7_21rocsparse_index_base_SF_SF_SF_bbb
                                        ; -- End function
	.set _ZN9rocsparseL41csrgemm_numeric_fill_block_per_row_kernelILj128ELj16ELj256ELj137ELj32Eli21rocsparse_complex_numIfEEEvT5_PKS3_S5_NS_24const_host_device_scalarIT6_EEPKT4_S5_PKS7_SB_S5_SD_S8_SB_S5_SD_SB_S5_PS7_21rocsparse_index_base_SF_SF_SF_bbb.num_vgpr, 20
	.set _ZN9rocsparseL41csrgemm_numeric_fill_block_per_row_kernelILj128ELj16ELj256ELj137ELj32Eli21rocsparse_complex_numIfEEEvT5_PKS3_S5_NS_24const_host_device_scalarIT6_EEPKT4_S5_PKS7_SB_S5_SD_S8_SB_S5_SD_SB_S5_PS7_21rocsparse_index_base_SF_SF_SF_bbb.num_agpr, 0
	.set _ZN9rocsparseL41csrgemm_numeric_fill_block_per_row_kernelILj128ELj16ELj256ELj137ELj32Eli21rocsparse_complex_numIfEEEvT5_PKS3_S5_NS_24const_host_device_scalarIT6_EEPKT4_S5_PKS7_SB_S5_SD_S8_SB_S5_SD_SB_S5_PS7_21rocsparse_index_base_SF_SF_SF_bbb.numbered_sgpr, 48
	.set _ZN9rocsparseL41csrgemm_numeric_fill_block_per_row_kernelILj128ELj16ELj256ELj137ELj32Eli21rocsparse_complex_numIfEEEvT5_PKS3_S5_NS_24const_host_device_scalarIT6_EEPKT4_S5_PKS7_SB_S5_SD_S8_SB_S5_SD_SB_S5_PS7_21rocsparse_index_base_SF_SF_SF_bbb.num_named_barrier, 0
	.set _ZN9rocsparseL41csrgemm_numeric_fill_block_per_row_kernelILj128ELj16ELj256ELj137ELj32Eli21rocsparse_complex_numIfEEEvT5_PKS3_S5_NS_24const_host_device_scalarIT6_EEPKT4_S5_PKS7_SB_S5_SD_S8_SB_S5_SD_SB_S5_PS7_21rocsparse_index_base_SF_SF_SF_bbb.private_seg_size, 0
	.set _ZN9rocsparseL41csrgemm_numeric_fill_block_per_row_kernelILj128ELj16ELj256ELj137ELj32Eli21rocsparse_complex_numIfEEEvT5_PKS3_S5_NS_24const_host_device_scalarIT6_EEPKT4_S5_PKS7_SB_S5_SD_S8_SB_S5_SD_SB_S5_PS7_21rocsparse_index_base_SF_SF_SF_bbb.uses_vcc, 1
	.set _ZN9rocsparseL41csrgemm_numeric_fill_block_per_row_kernelILj128ELj16ELj256ELj137ELj32Eli21rocsparse_complex_numIfEEEvT5_PKS3_S5_NS_24const_host_device_scalarIT6_EEPKT4_S5_PKS7_SB_S5_SD_S8_SB_S5_SD_SB_S5_PS7_21rocsparse_index_base_SF_SF_SF_bbb.uses_flat_scratch, 0
	.set _ZN9rocsparseL41csrgemm_numeric_fill_block_per_row_kernelILj128ELj16ELj256ELj137ELj32Eli21rocsparse_complex_numIfEEEvT5_PKS3_S5_NS_24const_host_device_scalarIT6_EEPKT4_S5_PKS7_SB_S5_SD_S8_SB_S5_SD_SB_S5_PS7_21rocsparse_index_base_SF_SF_SF_bbb.has_dyn_sized_stack, 0
	.set _ZN9rocsparseL41csrgemm_numeric_fill_block_per_row_kernelILj128ELj16ELj256ELj137ELj32Eli21rocsparse_complex_numIfEEEvT5_PKS3_S5_NS_24const_host_device_scalarIT6_EEPKT4_S5_PKS7_SB_S5_SD_S8_SB_S5_SD_SB_S5_PS7_21rocsparse_index_base_SF_SF_SF_bbb.has_recursion, 0
	.set _ZN9rocsparseL41csrgemm_numeric_fill_block_per_row_kernelILj128ELj16ELj256ELj137ELj32Eli21rocsparse_complex_numIfEEEvT5_PKS3_S5_NS_24const_host_device_scalarIT6_EEPKT4_S5_PKS7_SB_S5_SD_S8_SB_S5_SD_SB_S5_PS7_21rocsparse_index_base_SF_SF_SF_bbb.has_indirect_call, 0
	.section	.AMDGPU.csdata,"",@progbits
; Kernel info:
; codeLenInByte = 2784
; TotalNumSgprs: 50
; NumVgprs: 20
; ScratchSize: 0
; MemoryBound: 0
; FloatMode: 240
; IeeeMode: 1
; LDSByteSize: 0 bytes/workgroup (compile time only)
; SGPRBlocks: 0
; VGPRBlocks: 1
; NumSGPRsForWavesPerEU: 50
; NumVGPRsForWavesPerEU: 20
; NamedBarCnt: 0
; Occupancy: 16
; WaveLimiterHint : 1
; COMPUTE_PGM_RSRC2:SCRATCH_EN: 0
; COMPUTE_PGM_RSRC2:USER_SGPR: 2
; COMPUTE_PGM_RSRC2:TRAP_HANDLER: 0
; COMPUTE_PGM_RSRC2:TGID_X_EN: 1
; COMPUTE_PGM_RSRC2:TGID_Y_EN: 0
; COMPUTE_PGM_RSRC2:TGID_Z_EN: 0
; COMPUTE_PGM_RSRC2:TIDIG_COMP_CNT: 0
	.section	.text._ZN9rocsparseL41csrgemm_numeric_fill_block_per_row_kernelILj128ELj16ELj256ELj137ELj64Eli21rocsparse_complex_numIfEEEvT5_PKS3_S5_NS_24const_host_device_scalarIT6_EEPKT4_S5_PKS7_SB_S5_SD_S8_SB_S5_SD_SB_S5_PS7_21rocsparse_index_base_SF_SF_SF_bbb,"axG",@progbits,_ZN9rocsparseL41csrgemm_numeric_fill_block_per_row_kernelILj128ELj16ELj256ELj137ELj64Eli21rocsparse_complex_numIfEEEvT5_PKS3_S5_NS_24const_host_device_scalarIT6_EEPKT4_S5_PKS7_SB_S5_SD_S8_SB_S5_SD_SB_S5_PS7_21rocsparse_index_base_SF_SF_SF_bbb,comdat
	.globl	_ZN9rocsparseL41csrgemm_numeric_fill_block_per_row_kernelILj128ELj16ELj256ELj137ELj64Eli21rocsparse_complex_numIfEEEvT5_PKS3_S5_NS_24const_host_device_scalarIT6_EEPKT4_S5_PKS7_SB_S5_SD_S8_SB_S5_SD_SB_S5_PS7_21rocsparse_index_base_SF_SF_SF_bbb ; -- Begin function _ZN9rocsparseL41csrgemm_numeric_fill_block_per_row_kernelILj128ELj16ELj256ELj137ELj64Eli21rocsparse_complex_numIfEEEvT5_PKS3_S5_NS_24const_host_device_scalarIT6_EEPKT4_S5_PKS7_SB_S5_SD_S8_SB_S5_SD_SB_S5_PS7_21rocsparse_index_base_SF_SF_SF_bbb
	.p2align	8
	.type	_ZN9rocsparseL41csrgemm_numeric_fill_block_per_row_kernelILj128ELj16ELj256ELj137ELj64Eli21rocsparse_complex_numIfEEEvT5_PKS3_S5_NS_24const_host_device_scalarIT6_EEPKT4_S5_PKS7_SB_S5_SD_S8_SB_S5_SD_SB_S5_PS7_21rocsparse_index_base_SF_SF_SF_bbb,@function
_ZN9rocsparseL41csrgemm_numeric_fill_block_per_row_kernelILj128ELj16ELj256ELj137ELj64Eli21rocsparse_complex_numIfEEEvT5_PKS3_S5_NS_24const_host_device_scalarIT6_EEPKT4_S5_PKS7_SB_S5_SD_S8_SB_S5_SD_SB_S5_PS7_21rocsparse_index_base_SF_SF_SF_bbb: ; @_ZN9rocsparseL41csrgemm_numeric_fill_block_per_row_kernelILj128ELj16ELj256ELj137ELj64Eli21rocsparse_complex_numIfEEEvT5_PKS3_S5_NS_24const_host_device_scalarIT6_EEPKT4_S5_PKS7_SB_S5_SD_S8_SB_S5_SD_SB_S5_PS7_21rocsparse_index_base_SF_SF_SF_bbb
; %bb.0:
	s_clause 0x3
	s_load_b32 s33, s[0:1], 0x98
	s_load_b128 s[20:23], s[0:1], 0x88
	s_load_b128 s[28:31], s[0:1], 0x8
	s_load_b64 s[2:3], s[0:1], 0x50
	s_mov_b32 s37, 0
	s_mov_b32 s39, 0
	s_wait_kmcnt 0x0
	s_bitcmp1_b32 s33, 0
	s_cselect_b32 s41, -1, 0
	s_bitcmp1_b32 s33, 16
	s_cselect_b32 s4, -1, 0
	s_delay_alu instid0(SALU_CYCLE_1) | instskip(SKIP_2) | instid1(VALU_DEP_1)
	s_xor_b32 s4, s4, -1
	s_bitcmp0_b32 s33, 0
	v_cndmask_b32_e64 v1, 0, 1, s4
	v_cmp_ne_u32_e32 vcc_lo, 1, v1
	s_cbranch_scc1 .LBB203_5
; %bb.1:
	s_load_b64 s[36:37], s[0:1], 0x18
	s_and_b32 vcc_lo, exec_lo, vcc_lo
	s_wait_kmcnt 0x0
	s_mov_b32 s39, s36
	s_cbranch_vccnz .LBB203_3
; %bb.2:
	s_load_b32 s39, s[36:37], 0x0
.LBB203_3:
	s_and_not1_b32 vcc_lo, exec_lo, s4
	s_cbranch_vccnz .LBB203_5
; %bb.4:
	s_wait_xcnt 0x0
	s_load_b32 s37, s[36:37], 0x4
.LBB203_5:
	s_clause 0x3
	s_load_b64 s[34:35], s[0:1], 0x80
	s_load_b256 s[4:11], s[0:1], 0x58
	s_load_b128 s[24:27], s[0:1], 0x40
	s_load_b256 s[12:19], s[0:1], 0x20
	s_bitcmp1_b32 s33, 8
	s_wait_xcnt 0x0
	s_mov_b32 s36, 0
	s_cselect_b32 s40, -1, 0
	s_bfe_u32 s33, s33, 0x10008
	s_mov_b32 s38, 0
	s_cmp_eq_u32 s33, 0
	s_cbranch_scc1 .LBB203_11
; %bb.6:
	v_cmp_ne_u32_e32 vcc_lo, 1, v1
	s_mov_b32 s36, s2
	s_cbranch_vccnz .LBB203_8
; %bb.7:
	s_load_b32 s36, s[2:3], 0x0
.LBB203_8:
	v_cmp_ne_u32_e32 vcc_lo, 1, v1
	s_cbranch_vccnz .LBB203_10
; %bb.9:
	s_wait_xcnt 0x0
	s_load_b32 s3, s[2:3], 0x4
.LBB203_10:
	s_wait_kmcnt 0x0
	s_mov_b32 s38, s3
.LBB203_11:
	s_load_b32 s33, s[0:1], 0x0
	s_wait_xcnt 0x0
	v_cmp_gt_u32_e64 s0, 0x100, v0
	v_lshlrev_b32_e32 v16, 3, v0
	v_or_b32_e32 v14, 0xffffff80, v0
	v_lshl_add_u32 v15, v0, 2, 0
	s_and_saveexec_b32 s1, s0
	s_cbranch_execz .LBB203_14
; %bb.12:
	v_add3_u32 v1, v16, 0, 0x400
	v_or_b32_e32 v2, 0xffffff80, v0
	v_lshl_add_u32 v3, v0, 2, 0
	s_wait_kmcnt 0x0
	v_dual_mov_b32 v4, s33 :: v_dual_mov_b32 v5, 0
	s_mov_b32 s2, 0
.LBB203_13:                             ; =>This Inner Loop Header: Depth=1
	v_add_co_u32 v2, s3, 0x80, v2
	s_xor_b32 s3, s3, -1
	ds_store_b32 v3, v4
	ds_store_2addr_b32 v1, v5, v5 offset1:1
	v_add_nc_u32_e32 v1, 0x400, v1
	v_add_nc_u32_e32 v3, 0x200, v3
	s_and_b32 s3, exec_lo, s3
	s_delay_alu instid0(SALU_CYCLE_1) | instskip(NEXT) | instid1(SALU_CYCLE_1)
	s_or_b32 s2, s3, s2
	s_and_not1_b32 exec_lo, exec_lo, s2
	s_cbranch_execnz .LBB203_13
.LBB203_14:
	s_or_b32 exec_lo, exec_lo, s1
	s_wait_dscnt 0x0
	s_barrier_signal -1
	s_barrier_wait -1
	s_load_b32 s1, s[28:29], 0x0
	s_bfe_u32 s2, ttmp6, 0x4000c
	s_and_b32 s3, ttmp6, 15
	s_add_co_i32 s2, s2, 1
	s_wait_xcnt 0x0
	s_getreg_b32 s28, hwreg(HW_REG_IB_STS2, 6, 4)
	s_mul_i32 s2, ttmp9, s2
	v_lshrrev_b32_e32 v2, 4, v0
	s_add_co_i32 s3, s3, s2
	s_cmp_eq_u32 s28, 0
	s_mov_b32 s29, 0
	s_cselect_b32 s2, ttmp9, s3
	s_and_b32 vcc_lo, exec_lo, s41
	s_wait_kmcnt 0x0
	s_add_co_i32 s1, s1, s2
	s_load_b32 s2, s[30:31], s1 offset:0x0 scale_offset
	s_cbranch_vccz .LBB203_32
; %bb.15:
	s_wait_kmcnt 0x0
	s_ashr_i32 s3, s2, 31
	v_mov_b32_e32 v3, 0
	s_lshl_b64 s[30:31], s[2:3], 3
	s_mov_b32 s28, s20
	s_add_nc_u64 s[12:13], s[12:13], s[30:31]
	s_mov_b32 s1, exec_lo
	s_load_b128 s[44:47], s[12:13], 0x0
	v_sub_nc_u64_e64 v[4:5], v[2:3], s[28:29]
	s_wait_kmcnt 0x0
	s_delay_alu instid0(VALU_DEP_1)
	v_add_nc_u64_e32 v[4:5], s[44:45], v[4:5]
	s_sub_nc_u64 s[12:13], s[46:47], s[28:29]
	s_delay_alu instid0(VALU_DEP_1) | instid1(SALU_CYCLE_1)
	v_cmpx_gt_i64_e64 s[12:13], v[4:5]
	s_cbranch_execz .LBB203_31
; %bb.16:
	v_dual_mov_b32 v7, v3 :: v_dual_bitop2_b32 v6, 15, v0 bitop3:0x40
	s_mov_b32 s28, s21
	s_mov_b32 s3, s29
	s_delay_alu instid0(VALU_DEP_1)
	v_sub_nc_u64_e64 v[6:7], v[6:7], s[28:29]
	s_branch .LBB203_18
.LBB203_17:                             ;   in Loop: Header=BB203_18 Depth=1
	s_or_b32 exec_lo, exec_lo, s30
	v_add_nc_u64_e32 v[4:5], 8, v[4:5]
	s_delay_alu instid0(VALU_DEP_1) | instskip(SKIP_1) | instid1(SALU_CYCLE_1)
	v_cmp_le_i64_e32 vcc_lo, s[12:13], v[4:5]
	s_or_b32 s3, vcc_lo, s3
	s_and_not1_b32 exec_lo, exec_lo, s3
	s_cbranch_execz .LBB203_31
.LBB203_18:                             ; =>This Loop Header: Depth=1
                                        ;     Child Loop BB203_22 Depth 2
                                        ;       Child Loop BB203_25 Depth 3
	v_lshl_add_u64 v[8:9], v[4:5], 2, s[14:15]
	s_mov_b32 s30, exec_lo
	global_load_b32 v1, v[8:9], off
	s_wait_loadcnt 0x0
	s_wait_xcnt 0x0
	v_subrev_nc_u32_e32 v8, s20, v1
	s_delay_alu instid0(VALU_DEP_1) | instskip(NEXT) | instid1(VALU_DEP_1)
	v_ashrrev_i32_e32 v9, 31, v8
	v_lshl_add_u64 v[8:9], v[8:9], 3, s[18:19]
	global_load_b128 v[10:13], v[8:9], off
	s_wait_loadcnt 0x0
	s_wait_xcnt 0x0
	v_sub_nc_u64_e64 v[8:9], v[12:13], s[28:29]
	v_add_nc_u64_e32 v[10:11], v[10:11], v[6:7]
	s_delay_alu instid0(VALU_DEP_1)
	v_cmpx_lt_i64_e64 v[10:11], v[8:9]
	s_cbranch_execz .LBB203_17
; %bb.19:                               ;   in Loop: Header=BB203_18 Depth=1
	v_lshl_add_u64 v[12:13], v[4:5], 3, s[16:17]
	s_mov_b32 s31, 0
	global_load_b64 v[12:13], v[12:13], off
	s_wait_loadcnt 0x0
	v_mul_f32_e64 v1, v13, -s37
	s_delay_alu instid0(VALU_DEP_1) | instskip(NEXT) | instid1(VALU_DEP_1)
	v_dual_mul_f32 v3, s39, v13 :: v_dual_fmac_f32 v1, s39, v12
	v_fmac_f32_e32 v3, s37, v12
	s_branch .LBB203_22
.LBB203_20:                             ;   in Loop: Header=BB203_22 Depth=2
	s_or_b32 exec_lo, exec_lo, s42
.LBB203_21:                             ;   in Loop: Header=BB203_22 Depth=2
	s_delay_alu instid0(SALU_CYCLE_1)
	s_or_b32 exec_lo, exec_lo, s41
	s_wait_loadcnt 0x0
	v_mul_f32_e64 v18, v13, -v3
	v_mul_f32_e32 v13, v1, v13
	v_lshl_add_u32 v17, v17, 3, 0
	v_add_nc_u64_e32 v[10:11], 16, v[10:11]
	s_delay_alu instid0(VALU_DEP_3) | instskip(SKIP_4) | instid1(SALU_CYCLE_1)
	v_dual_fmac_f32 v13, v3, v12 :: v_dual_fmac_f32 v18, v1, v12
	ds_add_f32 v17, v18 offset:1024
	ds_add_f32 v17, v13 offset:1028
	v_cmp_ge_i64_e32 vcc_lo, v[10:11], v[8:9]
	s_or_b32 s31, vcc_lo, s31
	s_and_not1_b32 exec_lo, exec_lo, s31
	s_cbranch_execz .LBB203_17
.LBB203_22:                             ;   Parent Loop BB203_18 Depth=1
                                        ; =>  This Loop Header: Depth=2
                                        ;       Child Loop BB203_25 Depth 3
	s_wait_xcnt 0x0
	v_lshl_add_u64 v[12:13], v[10:11], 2, s[24:25]
	s_mov_b32 s41, exec_lo
	global_load_b32 v17, v[12:13], off
	s_wait_xcnt 0x0
	v_lshl_add_u64 v[12:13], v[10:11], 3, s[26:27]
	global_load_b64 v[12:13], v[12:13], off
	s_wait_loadcnt 0x1
	v_subrev_nc_u32_e32 v18, s21, v17
	s_delay_alu instid0(VALU_DEP_1) | instskip(NEXT) | instid1(VALU_DEP_1)
	v_mul_lo_u32 v17, 0x89, v18
	v_and_b32_e32 v17, 0xff, v17
	s_delay_alu instid0(VALU_DEP_1)
	v_lshl_add_u32 v19, v17, 2, 0
	ds_load_b32 v20, v19
	s_wait_dscnt 0x0
	s_wait_xcnt 0x0
	v_cmpx_ne_u32_e64 v20, v18
	s_cbranch_execz .LBB203_21
; %bb.23:                               ;   in Loop: Header=BB203_22 Depth=2
	s_mov_b32 s42, 0
	s_branch .LBB203_25
.LBB203_24:                             ;   in Loop: Header=BB203_25 Depth=3
	s_or_b32 exec_lo, exec_lo, s45
	s_delay_alu instid0(SALU_CYCLE_1) | instskip(NEXT) | instid1(SALU_CYCLE_1)
	s_and_b32 s43, exec_lo, s44
	s_or_b32 s42, s43, s42
	s_delay_alu instid0(SALU_CYCLE_1)
	s_and_not1_b32 exec_lo, exec_lo, s42
	s_cbranch_execz .LBB203_20
.LBB203_25:                             ;   Parent Loop BB203_18 Depth=1
                                        ;     Parent Loop BB203_22 Depth=2
                                        ; =>    This Inner Loop Header: Depth=3
	s_mov_b32 s43, 0
	s_mov_b32 s44, exec_lo
	v_cmpx_ne_u32_e64 s33, v20
	s_xor_b32 s44, exec_lo, s44
	s_cbranch_execz .LBB203_27
; %bb.26:                               ;   in Loop: Header=BB203_25 Depth=3
	v_add_nc_u32_e32 v17, 1, v17
	s_mov_b32 s43, exec_lo
                                        ; implicit-def: $vgpr19
	s_delay_alu instid0(VALU_DEP_1)
	v_and_b32_e32 v17, 0xff, v17
	s_and_not1_saveexec_b32 s44, s44
	s_cbranch_execz .LBB203_29
	s_branch .LBB203_28
.LBB203_27:                             ;   in Loop: Header=BB203_25 Depth=3
	s_and_not1_saveexec_b32 s44, s44
	s_cbranch_execz .LBB203_29
.LBB203_28:                             ;   in Loop: Header=BB203_25 Depth=3
	v_mov_b32_e32 v20, s33
	s_and_not1_b32 s43, s43, exec_lo
	ds_cmpstore_rtn_b32 v19, v19, v18, v20
	s_wait_dscnt 0x0
	v_cmp_ne_u32_e32 vcc_lo, s33, v19
	s_and_b32 s45, vcc_lo, exec_lo
	s_delay_alu instid0(SALU_CYCLE_1)
	s_or_b32 s43, s43, s45
.LBB203_29:                             ;   in Loop: Header=BB203_25 Depth=3
	s_or_b32 exec_lo, exec_lo, s44
	s_mov_b32 s44, -1
                                        ; implicit-def: $vgpr19
                                        ; implicit-def: $vgpr20
	s_and_saveexec_b32 s45, s43
	s_cbranch_execz .LBB203_24
; %bb.30:                               ;   in Loop: Header=BB203_25 Depth=3
	v_lshl_add_u32 v19, v17, 2, 0
	ds_load_b32 v20, v19
	s_wait_dscnt 0x0
	v_cmp_eq_u32_e32 vcc_lo, v20, v18
	s_or_not1_b32 s44, vcc_lo, exec_lo
	s_branch .LBB203_24
.LBB203_31:
	s_or_b32 exec_lo, exec_lo, s1
.LBB203_32:
	s_delay_alu instid0(SALU_CYCLE_1)
	s_and_not1_b32 vcc_lo, exec_lo, s40
	s_cbranch_vccnz .LBB203_35
; %bb.33:
	s_wait_kmcnt 0x0
	s_ashr_i32 s3, s2, 31
	v_mov_b32_e32 v1, 0
	s_lshl_b64 s[12:13], s[2:3], 3
	s_mov_b32 s1, exec_lo
	s_add_nc_u64 s[4:5], s[4:5], s[12:13]
	s_load_b128 s[12:15], s[4:5], 0x0
	s_wait_xcnt 0x0
	s_mov_b32 s5, 0
	s_mov_b32 s4, s23
	s_delay_alu instid0(SALU_CYCLE_1) | instskip(SKIP_1) | instid1(VALU_DEP_1)
	v_sub_nc_u64_e64 v[4:5], v[0:1], s[4:5]
	s_wait_kmcnt 0x0
	v_add_nc_u64_e32 v[4:5], s[12:13], v[4:5]
	s_sub_nc_u64 s[12:13], s[14:15], s[4:5]
	s_delay_alu instid0(VALU_DEP_1) | instid1(SALU_CYCLE_1)
	v_cmpx_gt_i64_e64 s[12:13], v[4:5]
	s_cbranch_execnz .LBB203_46
.LBB203_34:
	s_or_b32 exec_lo, exec_lo, s1
.LBB203_35:
	s_wait_dscnt 0x0
	s_barrier_signal -1
	s_barrier_wait -1
	s_and_saveexec_b32 s3, s0
	s_cbranch_execz .LBB203_55
; %bb.36:
	v_mbcnt_lo_u32_b32 v3, -1, 0
	v_dual_mov_b32 v1, 0 :: v_dual_bitop2_b32 v2, 4, v2 bitop3:0x40
	v_cmp_eq_u32_e64 s0, 0x7f, v0
	s_delay_alu instid0(VALU_DEP_3) | instskip(SKIP_1) | instid1(VALU_DEP_4)
	v_dual_mov_b32 v7, 0 :: v_dual_bitop2_b32 v4, 31, v3 bitop3:0x14
	v_add3_u32 v3, v16, 0, 0x400
	v_add_nc_u32_e32 v6, 0, v2
	s_mov_b32 s4, 0
	v_cmp_lt_u32_e32 vcc_lo, 63, v0
	v_lshrrev_b32_e64 v2, v4, -1
	s_branch .LBB203_38
.LBB203_37:                             ;   in Loop: Header=BB203_38 Depth=1
	s_or_b32 exec_lo, exec_lo, s1
	s_wait_dscnt 0x0
	s_barrier_signal -1
	s_barrier_wait -1
	ds_load_b32 v4, v1 offset:3076
	v_add_co_u32 v14, s1, 0x80, v14
	s_xor_b32 s1, s1, -1
	v_add_nc_u32_e32 v3, 0x400, v3
	v_add_nc_u32_e32 v15, 0x200, v15
	s_and_b32 s1, exec_lo, s1
	s_delay_alu instid0(SALU_CYCLE_1)
	s_or_b32 s4, s1, s4
	s_wait_dscnt 0x0
	v_add_nc_u32_e32 v7, v4, v7
	s_and_not1_b32 exec_lo, exec_lo, s4
	s_cbranch_execz .LBB203_55
.LBB203_38:                             ; =>This Inner Loop Header: Depth=1
	ds_load_b32 v8, v15
	ds_load_2addr_b32 v[4:5], v3 offset1:1
	s_wait_dscnt 0x0
	s_barrier_signal -1
	s_barrier_wait -1
	s_wait_xcnt 0x0
	v_cmp_gt_i32_e64 s1, s33, v8
	s_bcnt1_i32_b32 s5, s1
	s_delay_alu instid0(SALU_CYCLE_1) | instskip(NEXT) | instid1(VALU_DEP_1)
	v_dual_mov_b32 v10, s5 :: v_dual_bitop2_b32 v9, s1, v2 bitop3:0x40
	v_bcnt_u32_b32 v9, v9, 0
	ds_store_b32 v6, v10 offset:3072
	s_wait_dscnt 0x0
	s_barrier_signal -1
	s_barrier_wait -1
	s_and_saveexec_b32 s5, vcc_lo
	s_cbranch_execz .LBB203_41
; %bb.39:                               ;   in Loop: Header=BB203_38 Depth=1
	ds_load_b32 v10, v1 offset:3072
	s_wait_dscnt 0x0
	v_add_nc_u32_e32 v9, v10, v9
	s_or_b32 exec_lo, exec_lo, s5
	s_and_saveexec_b32 s5, s1
	s_cbranch_execnz .LBB203_42
.LBB203_40:                             ;   in Loop: Header=BB203_38 Depth=1
	s_or_b32 exec_lo, exec_lo, s5
	s_and_saveexec_b32 s1, s0
	s_cbranch_execz .LBB203_37
	s_branch .LBB203_43
.LBB203_41:                             ;   in Loop: Header=BB203_38 Depth=1
	s_or_b32 exec_lo, exec_lo, s5
	s_and_saveexec_b32 s5, s1
	s_cbranch_execz .LBB203_40
.LBB203_42:                             ;   in Loop: Header=BB203_38 Depth=1
	s_delay_alu instid0(VALU_DEP_1) | instskip(SKIP_1) | instid1(VALU_DEP_2)
	v_add3_u32 v10, v7, -1, v9
	v_add_nc_u32_e32 v11, v7, v9
	v_lshl_add_u32 v10, v10, 2, 0
	s_delay_alu instid0(VALU_DEP_2)
	v_lshl_add_u32 v11, v11, 3, 0
	ds_store_b32 v10, v8
	ds_store_2addr_b32 v11, v4, v5 offset0:254 offset1:255
	s_or_b32 exec_lo, exec_lo, s5
	s_and_saveexec_b32 s1, s0
	s_cbranch_execz .LBB203_37
.LBB203_43:                             ;   in Loop: Header=BB203_38 Depth=1
	ds_store_b32 v1, v9 offset:3076
	s_branch .LBB203_37
.LBB203_44:                             ;   in Loop: Header=BB203_46 Depth=1
	s_or_b32 exec_lo, exec_lo, s4
.LBB203_45:                             ;   in Loop: Header=BB203_46 Depth=1
	s_delay_alu instid0(SALU_CYCLE_1)
	s_or_b32 exec_lo, exec_lo, s3
	s_wait_loadcnt 0x0
	v_mul_f32_e64 v3, v7, -s38
	v_mul_f32_e32 v7, s36, v7
	v_lshl_add_u32 v1, v1, 3, 0
	v_add_nc_u64_e32 v[4:5], 0x80, v[4:5]
	s_delay_alu instid0(VALU_DEP_4) | instskip(NEXT) | instid1(VALU_DEP_4)
	v_fmac_f32_e32 v3, s36, v6
	v_fmac_f32_e32 v7, s38, v6
	ds_add_f32 v1, v3 offset:1024
	ds_add_f32 v1, v7 offset:1028
	v_cmp_le_i64_e32 vcc_lo, s[12:13], v[4:5]
	s_or_b32 s5, vcc_lo, s5
	s_delay_alu instid0(SALU_CYCLE_1)
	s_and_not1_b32 exec_lo, exec_lo, s5
	s_cbranch_execz .LBB203_34
.LBB203_46:                             ; =>This Loop Header: Depth=1
                                        ;     Child Loop BB203_49 Depth 2
	v_lshl_add_u64 v[6:7], v[4:5], 2, s[6:7]
	s_mov_b32 s3, exec_lo
	global_load_b32 v1, v[6:7], off
	s_wait_xcnt 0x0
	v_lshl_add_u64 v[6:7], v[4:5], 3, s[8:9]
	global_load_b64 v[6:7], v[6:7], off
	s_wait_loadcnt 0x1
	v_subrev_nc_u32_e32 v3, s23, v1
	s_delay_alu instid0(VALU_DEP_1) | instskip(NEXT) | instid1(VALU_DEP_1)
	v_mul_lo_u32 v1, 0x89, v3
	v_and_b32_e32 v1, 0xff, v1
	s_delay_alu instid0(VALU_DEP_1)
	v_lshl_add_u32 v8, v1, 2, 0
	ds_load_b32 v9, v8
	s_wait_dscnt 0x0
	s_wait_xcnt 0x0
	v_cmpx_ne_u32_e64 v9, v3
	s_cbranch_execz .LBB203_45
; %bb.47:                               ;   in Loop: Header=BB203_46 Depth=1
	s_mov_b32 s4, 0
	s_branch .LBB203_49
.LBB203_48:                             ;   in Loop: Header=BB203_49 Depth=2
	s_or_b32 exec_lo, exec_lo, s16
	s_delay_alu instid0(SALU_CYCLE_1) | instskip(NEXT) | instid1(SALU_CYCLE_1)
	s_and_b32 s14, exec_lo, s15
	s_or_b32 s4, s14, s4
	s_delay_alu instid0(SALU_CYCLE_1)
	s_and_not1_b32 exec_lo, exec_lo, s4
	s_cbranch_execz .LBB203_44
.LBB203_49:                             ;   Parent Loop BB203_46 Depth=1
                                        ; =>  This Inner Loop Header: Depth=2
	s_mov_b32 s14, 0
	s_mov_b32 s15, exec_lo
	v_cmpx_ne_u32_e64 s33, v9
	s_xor_b32 s15, exec_lo, s15
	s_cbranch_execz .LBB203_51
; %bb.50:                               ;   in Loop: Header=BB203_49 Depth=2
	v_add_nc_u32_e32 v1, 1, v1
	s_mov_b32 s14, exec_lo
                                        ; implicit-def: $vgpr8
	s_delay_alu instid0(VALU_DEP_1)
	v_and_b32_e32 v1, 0xff, v1
	s_and_not1_saveexec_b32 s15, s15
	s_cbranch_execz .LBB203_53
	s_branch .LBB203_52
.LBB203_51:                             ;   in Loop: Header=BB203_49 Depth=2
	s_and_not1_saveexec_b32 s15, s15
	s_cbranch_execz .LBB203_53
.LBB203_52:                             ;   in Loop: Header=BB203_49 Depth=2
	v_mov_b32_e32 v9, s33
	s_and_not1_b32 s14, s14, exec_lo
	ds_cmpstore_rtn_b32 v8, v8, v3, v9
	s_wait_dscnt 0x0
	v_cmp_ne_u32_e32 vcc_lo, s33, v8
	s_and_b32 s16, vcc_lo, exec_lo
	s_delay_alu instid0(SALU_CYCLE_1)
	s_or_b32 s14, s14, s16
.LBB203_53:                             ;   in Loop: Header=BB203_49 Depth=2
	s_or_b32 exec_lo, exec_lo, s15
	s_mov_b32 s15, -1
                                        ; implicit-def: $vgpr8
                                        ; implicit-def: $vgpr9
	s_and_saveexec_b32 s16, s14
	s_cbranch_execz .LBB203_48
; %bb.54:                               ;   in Loop: Header=BB203_49 Depth=2
	v_lshl_add_u32 v8, v1, 2, 0
	ds_load_b32 v9, v8
	s_wait_dscnt 0x0
	v_cmp_eq_u32_e32 vcc_lo, v9, v3
	s_or_not1_b32 s15, vcc_lo, exec_lo
	s_branch .LBB203_48
.LBB203_55:
	s_or_b32 exec_lo, exec_lo, s3
	s_wait_kmcnt 0x0
	s_ashr_i32 s3, s2, 31
	s_delay_alu instid0(SALU_CYCLE_1) | instskip(NEXT) | instid1(SALU_CYCLE_1)
	s_lshl_b64 s[0:1], s[2:3], 3
	s_add_nc_u64 s[4:5], s[10:11], s[0:1]
	s_load_b128 s[0:3], s[4:5], 0x0
	s_wait_xcnt 0x0
	s_mov_b32 s4, exec_lo
	s_wait_kmcnt 0x0
	s_sub_co_i32 s3, s2, s0
	s_delay_alu instid0(SALU_CYCLE_1)
	v_cmpx_gt_i32_e64 s3, v0
	s_cbranch_execz .LBB203_65
; %bb.56:
	s_sub_co_i32 s4, s0, s2
	s_and_b32 s2, s3, 7
	s_cmp_lt_u32 s4, -7
	s_mov_b32 s23, 0
	s_cselect_b32 s4, -1, 0
	s_and_b32 s5, s3, -8
	s_cmp_lg_u32 s2, 0
	s_sub_nc_u64 s[0:1], s[0:1], s[22:23]
	s_cselect_b32 s6, -1, 0
	s_mov_b32 s7, 0
	s_branch .LBB203_58
.LBB203_57:                             ;   in Loop: Header=BB203_58 Depth=1
	v_add_nc_u32_e32 v0, 0x80, v0
	s_delay_alu instid0(VALU_DEP_2) | instskip(NEXT) | instid1(VALU_DEP_2)
	v_lshl_add_u64 v[4:5], v[4:5], 3, s[34:35]
	v_cmp_le_i32_e32 vcc_lo, s3, v0
	s_wait_dscnt 0x0
	global_store_b64 v[4:5], v[2:3], off
	s_or_b32 s7, vcc_lo, s7
	s_wait_xcnt 0x0
	s_and_not1_b32 exec_lo, exec_lo, s7
	s_cbranch_execz .LBB203_65
.LBB203_58:                             ; =>This Loop Header: Depth=1
                                        ;     Child Loop BB203_60 Depth 2
                                        ;     Child Loop BB203_64 Depth 2
	v_lshlrev_b32_e32 v1, 2, v0
	v_mov_b64_e32 v[4:5], s[0:1]
	s_and_not1_b32 vcc_lo, exec_lo, s4
	s_mov_b32 s8, 0
	s_delay_alu instid0(VALU_DEP_2) | instskip(NEXT) | instid1(VALU_DEP_1)
	v_add_nc_u32_e32 v2, 0, v1
	v_add3_u32 v3, v2, v1, 0x400
	ds_load_b32 v1, v2
	ds_load_2addr_b32 v[2:3], v3 offset1:1
	s_cbranch_vccnz .LBB203_62
; %bb.59:                               ;   in Loop: Header=BB203_58 Depth=1
	v_mov_b64_e32 v[4:5], s[0:1]
	s_mov_b32 s9, 0
.LBB203_60:                             ;   Parent Loop BB203_58 Depth=1
                                        ; =>  This Inner Loop Header: Depth=2
	s_delay_alu instid0(SALU_CYCLE_1)
	v_dual_mov_b32 v10, s9 :: v_dual_mov_b32 v11, s23
	v_mov_b32_e32 v17, s23
	s_add_co_i32 s8, s8, 8
	s_add_co_i32 s9, s9, 32
	ds_load_2addr_b32 v[6:7], v10 offset1:1
	ds_load_2addr_b32 v[8:9], v10 offset0:2 offset1:3
	ds_load_2addr_b32 v[12:13], v10 offset0:4 offset1:5
	;; [unrolled: 1-line block ×3, first 2 shown]
	s_cmp_eq_u32 s5, s8
	s_wait_dscnt 0x3
	v_cmp_gt_i32_e32 vcc_lo, v1, v6
	v_cndmask_b32_e64 v10, 0, 1, vcc_lo
	v_cmp_gt_i32_e32 vcc_lo, v1, v7
	v_mov_b32_e32 v7, s23
	s_delay_alu instid0(VALU_DEP_3) | instskip(SKIP_4) | instid1(VALU_DEP_3)
	v_add_nc_u64_e32 v[4:5], v[4:5], v[10:11]
	v_cndmask_b32_e64 v16, 0, 1, vcc_lo
	s_wait_dscnt 0x2
	v_cmp_gt_i32_e32 vcc_lo, v1, v8
	v_cndmask_b32_e64 v6, 0, 1, vcc_lo
	v_add_nc_u64_e32 v[4:5], v[4:5], v[16:17]
	v_cmp_gt_i32_e32 vcc_lo, v1, v9
	v_mov_b32_e32 v9, s23
	v_cndmask_b32_e64 v10, 0, 1, vcc_lo
	s_delay_alu instid0(VALU_DEP_4) | instskip(SKIP_3) | instid1(VALU_DEP_3)
	v_add_nc_u64_e32 v[4:5], v[4:5], v[6:7]
	s_wait_dscnt 0x1
	v_cmp_gt_i32_e32 vcc_lo, v1, v12
	v_cndmask_b32_e64 v6, 0, 1, vcc_lo
	v_add_nc_u64_e32 v[4:5], v[4:5], v[10:11]
	v_cmp_gt_i32_e32 vcc_lo, v1, v13
	v_cndmask_b32_e64 v8, 0, 1, vcc_lo
	s_delay_alu instid0(VALU_DEP_3) | instskip(SKIP_3) | instid1(VALU_DEP_3)
	v_add_nc_u64_e32 v[4:5], v[4:5], v[6:7]
	s_wait_dscnt 0x0
	v_cmp_gt_i32_e32 vcc_lo, v1, v14
	v_cndmask_b32_e64 v6, 0, 1, vcc_lo
	v_add_nc_u64_e32 v[4:5], v[4:5], v[8:9]
	v_cmp_gt_i32_e32 vcc_lo, v1, v15
	v_cndmask_b32_e64 v8, 0, 1, vcc_lo
	s_delay_alu instid0(VALU_DEP_3) | instskip(NEXT) | instid1(VALU_DEP_1)
	v_add_nc_u64_e32 v[4:5], v[4:5], v[6:7]
	v_add_nc_u64_e32 v[4:5], v[4:5], v[8:9]
	s_cbranch_scc0 .LBB203_60
; %bb.61:                               ;   in Loop: Header=BB203_58 Depth=1
	s_mov_b32 s8, s5
.LBB203_62:                             ;   in Loop: Header=BB203_58 Depth=1
	s_and_not1_b32 vcc_lo, exec_lo, s6
	s_cbranch_vccnz .LBB203_57
; %bb.63:                               ;   in Loop: Header=BB203_58 Depth=1
	s_lshl_b32 s8, s8, 2
	s_mov_b32 s9, s2
	s_add_co_i32 s8, s8, 0
.LBB203_64:                             ;   Parent Loop BB203_58 Depth=1
                                        ; =>  This Inner Loop Header: Depth=2
	s_delay_alu instid0(SALU_CYCLE_1)
	v_dual_mov_b32 v6, s8 :: v_dual_mov_b32 v7, s23
	s_add_co_i32 s9, s9, -1
	s_add_co_i32 s8, s8, 4
	s_cmp_lg_u32 s9, 0
	ds_load_b32 v6, v6
	s_wait_dscnt 0x0
	v_cmp_gt_i32_e32 vcc_lo, v1, v6
	v_cndmask_b32_e64 v6, 0, 1, vcc_lo
	s_delay_alu instid0(VALU_DEP_1)
	v_add_nc_u64_e32 v[4:5], v[4:5], v[6:7]
	s_cbranch_scc1 .LBB203_64
	s_branch .LBB203_57
.LBB203_65:
	s_endpgm
	.section	.rodata,"a",@progbits
	.p2align	6, 0x0
	.amdhsa_kernel _ZN9rocsparseL41csrgemm_numeric_fill_block_per_row_kernelILj128ELj16ELj256ELj137ELj64Eli21rocsparse_complex_numIfEEEvT5_PKS3_S5_NS_24const_host_device_scalarIT6_EEPKT4_S5_PKS7_SB_S5_SD_S8_SB_S5_SD_SB_S5_PS7_21rocsparse_index_base_SF_SF_SF_bbb
		.amdhsa_group_segment_fixed_size 0
		.amdhsa_private_segment_fixed_size 0
		.amdhsa_kernarg_size 156
		.amdhsa_user_sgpr_count 2
		.amdhsa_user_sgpr_dispatch_ptr 0
		.amdhsa_user_sgpr_queue_ptr 0
		.amdhsa_user_sgpr_kernarg_segment_ptr 1
		.amdhsa_user_sgpr_dispatch_id 0
		.amdhsa_user_sgpr_kernarg_preload_length 0
		.amdhsa_user_sgpr_kernarg_preload_offset 0
		.amdhsa_user_sgpr_private_segment_size 0
		.amdhsa_wavefront_size32 1
		.amdhsa_uses_dynamic_stack 0
		.amdhsa_enable_private_segment 0
		.amdhsa_system_sgpr_workgroup_id_x 1
		.amdhsa_system_sgpr_workgroup_id_y 0
		.amdhsa_system_sgpr_workgroup_id_z 0
		.amdhsa_system_sgpr_workgroup_info 0
		.amdhsa_system_vgpr_workitem_id 0
		.amdhsa_next_free_vgpr 21
		.amdhsa_next_free_sgpr 48
		.amdhsa_named_barrier_count 0
		.amdhsa_reserve_vcc 1
		.amdhsa_float_round_mode_32 0
		.amdhsa_float_round_mode_16_64 0
		.amdhsa_float_denorm_mode_32 3
		.amdhsa_float_denorm_mode_16_64 3
		.amdhsa_fp16_overflow 0
		.amdhsa_memory_ordered 1
		.amdhsa_forward_progress 1
		.amdhsa_inst_pref_size 21
		.amdhsa_round_robin_scheduling 0
		.amdhsa_exception_fp_ieee_invalid_op 0
		.amdhsa_exception_fp_denorm_src 0
		.amdhsa_exception_fp_ieee_div_zero 0
		.amdhsa_exception_fp_ieee_overflow 0
		.amdhsa_exception_fp_ieee_underflow 0
		.amdhsa_exception_fp_ieee_inexact 0
		.amdhsa_exception_int_div_zero 0
	.end_amdhsa_kernel
	.section	.text._ZN9rocsparseL41csrgemm_numeric_fill_block_per_row_kernelILj128ELj16ELj256ELj137ELj64Eli21rocsparse_complex_numIfEEEvT5_PKS3_S5_NS_24const_host_device_scalarIT6_EEPKT4_S5_PKS7_SB_S5_SD_S8_SB_S5_SD_SB_S5_PS7_21rocsparse_index_base_SF_SF_SF_bbb,"axG",@progbits,_ZN9rocsparseL41csrgemm_numeric_fill_block_per_row_kernelILj128ELj16ELj256ELj137ELj64Eli21rocsparse_complex_numIfEEEvT5_PKS3_S5_NS_24const_host_device_scalarIT6_EEPKT4_S5_PKS7_SB_S5_SD_S8_SB_S5_SD_SB_S5_PS7_21rocsparse_index_base_SF_SF_SF_bbb,comdat
.Lfunc_end203:
	.size	_ZN9rocsparseL41csrgemm_numeric_fill_block_per_row_kernelILj128ELj16ELj256ELj137ELj64Eli21rocsparse_complex_numIfEEEvT5_PKS3_S5_NS_24const_host_device_scalarIT6_EEPKT4_S5_PKS7_SB_S5_SD_S8_SB_S5_SD_SB_S5_PS7_21rocsparse_index_base_SF_SF_SF_bbb, .Lfunc_end203-_ZN9rocsparseL41csrgemm_numeric_fill_block_per_row_kernelILj128ELj16ELj256ELj137ELj64Eli21rocsparse_complex_numIfEEEvT5_PKS3_S5_NS_24const_host_device_scalarIT6_EEPKT4_S5_PKS7_SB_S5_SD_S8_SB_S5_SD_SB_S5_PS7_21rocsparse_index_base_SF_SF_SF_bbb
                                        ; -- End function
	.set _ZN9rocsparseL41csrgemm_numeric_fill_block_per_row_kernelILj128ELj16ELj256ELj137ELj64Eli21rocsparse_complex_numIfEEEvT5_PKS3_S5_NS_24const_host_device_scalarIT6_EEPKT4_S5_PKS7_SB_S5_SD_S8_SB_S5_SD_SB_S5_PS7_21rocsparse_index_base_SF_SF_SF_bbb.num_vgpr, 21
	.set _ZN9rocsparseL41csrgemm_numeric_fill_block_per_row_kernelILj128ELj16ELj256ELj137ELj64Eli21rocsparse_complex_numIfEEEvT5_PKS3_S5_NS_24const_host_device_scalarIT6_EEPKT4_S5_PKS7_SB_S5_SD_S8_SB_S5_SD_SB_S5_PS7_21rocsparse_index_base_SF_SF_SF_bbb.num_agpr, 0
	.set _ZN9rocsparseL41csrgemm_numeric_fill_block_per_row_kernelILj128ELj16ELj256ELj137ELj64Eli21rocsparse_complex_numIfEEEvT5_PKS3_S5_NS_24const_host_device_scalarIT6_EEPKT4_S5_PKS7_SB_S5_SD_S8_SB_S5_SD_SB_S5_PS7_21rocsparse_index_base_SF_SF_SF_bbb.numbered_sgpr, 48
	.set _ZN9rocsparseL41csrgemm_numeric_fill_block_per_row_kernelILj128ELj16ELj256ELj137ELj64Eli21rocsparse_complex_numIfEEEvT5_PKS3_S5_NS_24const_host_device_scalarIT6_EEPKT4_S5_PKS7_SB_S5_SD_S8_SB_S5_SD_SB_S5_PS7_21rocsparse_index_base_SF_SF_SF_bbb.num_named_barrier, 0
	.set _ZN9rocsparseL41csrgemm_numeric_fill_block_per_row_kernelILj128ELj16ELj256ELj137ELj64Eli21rocsparse_complex_numIfEEEvT5_PKS3_S5_NS_24const_host_device_scalarIT6_EEPKT4_S5_PKS7_SB_S5_SD_S8_SB_S5_SD_SB_S5_PS7_21rocsparse_index_base_SF_SF_SF_bbb.private_seg_size, 0
	.set _ZN9rocsparseL41csrgemm_numeric_fill_block_per_row_kernelILj128ELj16ELj256ELj137ELj64Eli21rocsparse_complex_numIfEEEvT5_PKS3_S5_NS_24const_host_device_scalarIT6_EEPKT4_S5_PKS7_SB_S5_SD_S8_SB_S5_SD_SB_S5_PS7_21rocsparse_index_base_SF_SF_SF_bbb.uses_vcc, 1
	.set _ZN9rocsparseL41csrgemm_numeric_fill_block_per_row_kernelILj128ELj16ELj256ELj137ELj64Eli21rocsparse_complex_numIfEEEvT5_PKS3_S5_NS_24const_host_device_scalarIT6_EEPKT4_S5_PKS7_SB_S5_SD_S8_SB_S5_SD_SB_S5_PS7_21rocsparse_index_base_SF_SF_SF_bbb.uses_flat_scratch, 0
	.set _ZN9rocsparseL41csrgemm_numeric_fill_block_per_row_kernelILj128ELj16ELj256ELj137ELj64Eli21rocsparse_complex_numIfEEEvT5_PKS3_S5_NS_24const_host_device_scalarIT6_EEPKT4_S5_PKS7_SB_S5_SD_S8_SB_S5_SD_SB_S5_PS7_21rocsparse_index_base_SF_SF_SF_bbb.has_dyn_sized_stack, 0
	.set _ZN9rocsparseL41csrgemm_numeric_fill_block_per_row_kernelILj128ELj16ELj256ELj137ELj64Eli21rocsparse_complex_numIfEEEvT5_PKS3_S5_NS_24const_host_device_scalarIT6_EEPKT4_S5_PKS7_SB_S5_SD_S8_SB_S5_SD_SB_S5_PS7_21rocsparse_index_base_SF_SF_SF_bbb.has_recursion, 0
	.set _ZN9rocsparseL41csrgemm_numeric_fill_block_per_row_kernelILj128ELj16ELj256ELj137ELj64Eli21rocsparse_complex_numIfEEEvT5_PKS3_S5_NS_24const_host_device_scalarIT6_EEPKT4_S5_PKS7_SB_S5_SD_S8_SB_S5_SD_SB_S5_PS7_21rocsparse_index_base_SF_SF_SF_bbb.has_indirect_call, 0
	.section	.AMDGPU.csdata,"",@progbits
; Kernel info:
; codeLenInByte = 2684
; TotalNumSgprs: 50
; NumVgprs: 21
; ScratchSize: 0
; MemoryBound: 0
; FloatMode: 240
; IeeeMode: 1
; LDSByteSize: 0 bytes/workgroup (compile time only)
; SGPRBlocks: 0
; VGPRBlocks: 1
; NumSGPRsForWavesPerEU: 50
; NumVGPRsForWavesPerEU: 21
; NamedBarCnt: 0
; Occupancy: 16
; WaveLimiterHint : 1
; COMPUTE_PGM_RSRC2:SCRATCH_EN: 0
; COMPUTE_PGM_RSRC2:USER_SGPR: 2
; COMPUTE_PGM_RSRC2:TRAP_HANDLER: 0
; COMPUTE_PGM_RSRC2:TGID_X_EN: 1
; COMPUTE_PGM_RSRC2:TGID_Y_EN: 0
; COMPUTE_PGM_RSRC2:TGID_Z_EN: 0
; COMPUTE_PGM_RSRC2:TIDIG_COMP_CNT: 0
	.section	.text._ZN9rocsparseL41csrgemm_numeric_fill_block_per_row_kernelILj256ELj32ELj512ELj137ELj32Eli21rocsparse_complex_numIfEEEvT5_PKS3_S5_NS_24const_host_device_scalarIT6_EEPKT4_S5_PKS7_SB_S5_SD_S8_SB_S5_SD_SB_S5_PS7_21rocsparse_index_base_SF_SF_SF_bbb,"axG",@progbits,_ZN9rocsparseL41csrgemm_numeric_fill_block_per_row_kernelILj256ELj32ELj512ELj137ELj32Eli21rocsparse_complex_numIfEEEvT5_PKS3_S5_NS_24const_host_device_scalarIT6_EEPKT4_S5_PKS7_SB_S5_SD_S8_SB_S5_SD_SB_S5_PS7_21rocsparse_index_base_SF_SF_SF_bbb,comdat
	.globl	_ZN9rocsparseL41csrgemm_numeric_fill_block_per_row_kernelILj256ELj32ELj512ELj137ELj32Eli21rocsparse_complex_numIfEEEvT5_PKS3_S5_NS_24const_host_device_scalarIT6_EEPKT4_S5_PKS7_SB_S5_SD_S8_SB_S5_SD_SB_S5_PS7_21rocsparse_index_base_SF_SF_SF_bbb ; -- Begin function _ZN9rocsparseL41csrgemm_numeric_fill_block_per_row_kernelILj256ELj32ELj512ELj137ELj32Eli21rocsparse_complex_numIfEEEvT5_PKS3_S5_NS_24const_host_device_scalarIT6_EEPKT4_S5_PKS7_SB_S5_SD_S8_SB_S5_SD_SB_S5_PS7_21rocsparse_index_base_SF_SF_SF_bbb
	.p2align	8
	.type	_ZN9rocsparseL41csrgemm_numeric_fill_block_per_row_kernelILj256ELj32ELj512ELj137ELj32Eli21rocsparse_complex_numIfEEEvT5_PKS3_S5_NS_24const_host_device_scalarIT6_EEPKT4_S5_PKS7_SB_S5_SD_S8_SB_S5_SD_SB_S5_PS7_21rocsparse_index_base_SF_SF_SF_bbb,@function
_ZN9rocsparseL41csrgemm_numeric_fill_block_per_row_kernelILj256ELj32ELj512ELj137ELj32Eli21rocsparse_complex_numIfEEEvT5_PKS3_S5_NS_24const_host_device_scalarIT6_EEPKT4_S5_PKS7_SB_S5_SD_S8_SB_S5_SD_SB_S5_PS7_21rocsparse_index_base_SF_SF_SF_bbb: ; @_ZN9rocsparseL41csrgemm_numeric_fill_block_per_row_kernelILj256ELj32ELj512ELj137ELj32Eli21rocsparse_complex_numIfEEEvT5_PKS3_S5_NS_24const_host_device_scalarIT6_EEPKT4_S5_PKS7_SB_S5_SD_S8_SB_S5_SD_SB_S5_PS7_21rocsparse_index_base_SF_SF_SF_bbb
; %bb.0:
	s_clause 0x3
	s_load_b32 s33, s[0:1], 0x98
	s_load_b128 s[20:23], s[0:1], 0x88
	s_load_b128 s[28:31], s[0:1], 0x8
	s_load_b64 s[36:37], s[0:1], 0x50
	s_mov_b32 s3, 0
	s_mov_b32 s40, 0
	s_wait_kmcnt 0x0
	s_bitcmp1_b32 s33, 0
	s_cselect_b32 s41, -1, 0
	s_bitcmp1_b32 s33, 16
	s_cselect_b32 s2, -1, 0
	s_delay_alu instid0(SALU_CYCLE_1) | instskip(SKIP_2) | instid1(VALU_DEP_1)
	s_xor_b32 s4, s2, -1
	s_bitcmp0_b32 s33, 0
	v_cndmask_b32_e64 v1, 0, 1, s4
	v_cmp_ne_u32_e32 vcc_lo, 1, v1
	s_cbranch_scc1 .LBB204_5
; %bb.1:
	s_load_b64 s[2:3], s[0:1], 0x18
	s_and_b32 vcc_lo, exec_lo, vcc_lo
	s_wait_kmcnt 0x0
	s_mov_b32 s40, s2
	s_cbranch_vccnz .LBB204_3
; %bb.2:
	s_load_b32 s40, s[2:3], 0x0
.LBB204_3:
	s_and_not1_b32 vcc_lo, exec_lo, s4
	s_cbranch_vccnz .LBB204_5
; %bb.4:
	s_wait_xcnt 0x0
	s_load_b32 s3, s[2:3], 0x4
.LBB204_5:
	s_clause 0x3
	s_load_b64 s[34:35], s[0:1], 0x80
	s_load_b256 s[4:11], s[0:1], 0x58
	s_load_b128 s[24:27], s[0:1], 0x40
	s_load_b256 s[12:19], s[0:1], 0x20
	s_bitcmp1_b32 s33, 8
	s_mov_b32 s38, 0
	s_wait_xcnt 0x0
	s_cselect_b32 s2, -1, 0
	s_bfe_u32 s33, s33, 0x10008
	s_mov_b32 s39, 0
	s_cmp_eq_u32 s33, 0
	s_cbranch_scc1 .LBB204_11
; %bb.6:
	v_cmp_ne_u32_e32 vcc_lo, 1, v1
	s_mov_b32 s38, s36
	s_cbranch_vccnz .LBB204_8
; %bb.7:
	s_load_b32 s38, s[36:37], 0x0
.LBB204_8:
	v_cmp_ne_u32_e32 vcc_lo, 1, v1
	s_cbranch_vccnz .LBB204_10
; %bb.9:
	s_wait_xcnt 0x0
	s_load_b32 s37, s[36:37], 0x4
.LBB204_10:
	s_wait_kmcnt 0x0
	s_mov_b32 s39, s37
.LBB204_11:
	s_load_b32 s33, s[0:1], 0x0
	s_wait_xcnt 0x0
	v_cmp_gt_u32_e64 s0, 0x200, v0
	v_lshlrev_b32_e32 v16, 3, v0
	v_or_b32_e32 v14, 0xffffff00, v0
	v_lshl_add_u32 v15, v0, 2, 0
	s_and_saveexec_b32 s1, s0
	s_cbranch_execz .LBB204_14
; %bb.12:
	v_add3_u32 v1, v16, 0, 0x800
	v_or_b32_e32 v2, 0xffffff00, v0
	v_lshl_add_u32 v3, v0, 2, 0
	s_wait_kmcnt 0x0
	v_dual_mov_b32 v4, s33 :: v_dual_mov_b32 v5, 0
	s_mov_b32 s36, 0
.LBB204_13:                             ; =>This Inner Loop Header: Depth=1
	v_add_co_u32 v2, s37, 0x100, v2
	s_xor_b32 s37, s37, -1
	ds_store_b32 v3, v4
	ds_store_2addr_b32 v1, v5, v5 offset1:1
	v_add_nc_u32_e32 v1, 0x800, v1
	v_add_nc_u32_e32 v3, 0x400, v3
	s_and_b32 s37, exec_lo, s37
	s_delay_alu instid0(SALU_CYCLE_1) | instskip(NEXT) | instid1(SALU_CYCLE_1)
	s_or_b32 s36, s37, s36
	s_and_not1_b32 exec_lo, exec_lo, s36
	s_cbranch_execnz .LBB204_13
.LBB204_14:
	s_or_b32 exec_lo, exec_lo, s1
	s_wait_dscnt 0x0
	s_barrier_signal -1
	s_barrier_wait -1
	s_load_b32 s1, s[28:29], 0x0
	s_wait_xcnt 0x0
	s_bfe_u32 s28, ttmp6, 0x4000c
	s_and_b32 s29, ttmp6, 15
	s_add_co_i32 s28, s28, 1
	s_getreg_b32 s36, hwreg(HW_REG_IB_STS2, 6, 4)
	s_mul_i32 s28, ttmp9, s28
	v_lshrrev_b32_e32 v2, 5, v0
	s_add_co_i32 s29, s29, s28
	s_cmp_eq_u32 s36, 0
	s_cselect_b32 s28, ttmp9, s29
	s_and_b32 vcc_lo, exec_lo, s41
	s_wait_kmcnt 0x0
	s_add_co_i32 s1, s1, s28
	s_load_b32 s28, s[30:31], s1 offset:0x0 scale_offset
	s_wait_xcnt 0x0
	s_mov_b32 s31, 0
	s_cbranch_vccz .LBB204_32
; %bb.15:
	s_wait_kmcnt 0x0
	s_ashr_i32 s29, s28, 31
	v_mov_b32_e32 v3, 0
	s_lshl_b64 s[36:37], s[28:29], 3
	s_mov_b32 s30, s20
	s_add_nc_u64 s[12:13], s[12:13], s[36:37]
	s_mov_b32 s1, exec_lo
	s_load_b128 s[44:47], s[12:13], 0x0
	v_sub_nc_u64_e64 v[4:5], v[2:3], s[30:31]
	s_wait_kmcnt 0x0
	s_delay_alu instid0(VALU_DEP_1)
	v_add_nc_u64_e32 v[4:5], s[44:45], v[4:5]
	s_sub_nc_u64 s[12:13], s[46:47], s[30:31]
	s_delay_alu instid0(VALU_DEP_1) | instid1(SALU_CYCLE_1)
	v_cmpx_gt_i64_e64 s[12:13], v[4:5]
	s_cbranch_execz .LBB204_31
; %bb.16:
	v_dual_mov_b32 v7, v3 :: v_dual_bitop2_b32 v6, 31, v0 bitop3:0x40
	s_mov_b32 s30, s21
	s_mov_b32 s29, s31
	s_delay_alu instid0(VALU_DEP_1)
	v_sub_nc_u64_e64 v[6:7], v[6:7], s[30:31]
	s_branch .LBB204_18
.LBB204_17:                             ;   in Loop: Header=BB204_18 Depth=1
	s_or_b32 exec_lo, exec_lo, s36
	v_add_nc_u64_e32 v[4:5], 8, v[4:5]
	s_delay_alu instid0(VALU_DEP_1) | instskip(SKIP_1) | instid1(SALU_CYCLE_1)
	v_cmp_le_i64_e32 vcc_lo, s[12:13], v[4:5]
	s_or_b32 s29, vcc_lo, s29
	s_and_not1_b32 exec_lo, exec_lo, s29
	s_cbranch_execz .LBB204_31
.LBB204_18:                             ; =>This Loop Header: Depth=1
                                        ;     Child Loop BB204_22 Depth 2
                                        ;       Child Loop BB204_25 Depth 3
	v_lshl_add_u64 v[8:9], v[4:5], 2, s[14:15]
	s_mov_b32 s36, exec_lo
	global_load_b32 v1, v[8:9], off
	s_wait_loadcnt 0x0
	s_wait_xcnt 0x0
	v_subrev_nc_u32_e32 v8, s20, v1
	s_delay_alu instid0(VALU_DEP_1) | instskip(NEXT) | instid1(VALU_DEP_1)
	v_ashrrev_i32_e32 v9, 31, v8
	v_lshl_add_u64 v[8:9], v[8:9], 3, s[18:19]
	global_load_b128 v[10:13], v[8:9], off
	s_wait_loadcnt 0x0
	s_wait_xcnt 0x0
	v_sub_nc_u64_e64 v[8:9], v[12:13], s[30:31]
	v_add_nc_u64_e32 v[10:11], v[10:11], v[6:7]
	s_delay_alu instid0(VALU_DEP_1)
	v_cmpx_lt_i64_e64 v[10:11], v[8:9]
	s_cbranch_execz .LBB204_17
; %bb.19:                               ;   in Loop: Header=BB204_18 Depth=1
	v_lshl_add_u64 v[12:13], v[4:5], 3, s[16:17]
	s_mov_b32 s37, 0
	global_load_b64 v[12:13], v[12:13], off
	s_wait_loadcnt 0x0
	v_mul_f32_e64 v1, v13, -s3
	s_delay_alu instid0(VALU_DEP_1) | instskip(NEXT) | instid1(VALU_DEP_1)
	v_dual_mul_f32 v3, s40, v13 :: v_dual_fmac_f32 v1, s40, v12
	v_fmac_f32_e32 v3, s3, v12
	s_branch .LBB204_22
.LBB204_20:                             ;   in Loop: Header=BB204_22 Depth=2
	s_or_b32 exec_lo, exec_lo, s42
.LBB204_21:                             ;   in Loop: Header=BB204_22 Depth=2
	s_delay_alu instid0(SALU_CYCLE_1)
	s_or_b32 exec_lo, exec_lo, s41
	s_wait_loadcnt 0x0
	v_mul_f32_e64 v18, v13, -v3
	v_mul_f32_e32 v13, v1, v13
	v_lshl_add_u32 v17, v17, 3, 0
	v_add_nc_u64_e32 v[10:11], 32, v[10:11]
	s_delay_alu instid0(VALU_DEP_3) | instskip(SKIP_4) | instid1(SALU_CYCLE_1)
	v_dual_fmac_f32 v13, v3, v12 :: v_dual_fmac_f32 v18, v1, v12
	ds_add_f32 v17, v18 offset:2048
	ds_add_f32 v17, v13 offset:2052
	v_cmp_ge_i64_e32 vcc_lo, v[10:11], v[8:9]
	s_or_b32 s37, vcc_lo, s37
	s_and_not1_b32 exec_lo, exec_lo, s37
	s_cbranch_execz .LBB204_17
.LBB204_22:                             ;   Parent Loop BB204_18 Depth=1
                                        ; =>  This Loop Header: Depth=2
                                        ;       Child Loop BB204_25 Depth 3
	s_wait_xcnt 0x0
	v_lshl_add_u64 v[12:13], v[10:11], 2, s[24:25]
	s_mov_b32 s41, exec_lo
	global_load_b32 v17, v[12:13], off
	s_wait_xcnt 0x0
	v_lshl_add_u64 v[12:13], v[10:11], 3, s[26:27]
	global_load_b64 v[12:13], v[12:13], off
	s_wait_loadcnt 0x1
	v_subrev_nc_u32_e32 v18, s21, v17
	s_delay_alu instid0(VALU_DEP_1) | instskip(NEXT) | instid1(VALU_DEP_1)
	v_mul_lo_u32 v17, 0x89, v18
	v_and_b32_e32 v17, 0x1ff, v17
	s_delay_alu instid0(VALU_DEP_1)
	v_lshl_add_u32 v19, v17, 2, 0
	ds_load_b32 v20, v19
	s_wait_dscnt 0x0
	s_wait_xcnt 0x0
	v_cmpx_ne_u32_e64 v20, v18
	s_cbranch_execz .LBB204_21
; %bb.23:                               ;   in Loop: Header=BB204_22 Depth=2
	s_mov_b32 s42, 0
	s_branch .LBB204_25
.LBB204_24:                             ;   in Loop: Header=BB204_25 Depth=3
	s_or_b32 exec_lo, exec_lo, s45
	s_delay_alu instid0(SALU_CYCLE_1) | instskip(NEXT) | instid1(SALU_CYCLE_1)
	s_and_b32 s43, exec_lo, s44
	s_or_b32 s42, s43, s42
	s_delay_alu instid0(SALU_CYCLE_1)
	s_and_not1_b32 exec_lo, exec_lo, s42
	s_cbranch_execz .LBB204_20
.LBB204_25:                             ;   Parent Loop BB204_18 Depth=1
                                        ;     Parent Loop BB204_22 Depth=2
                                        ; =>    This Inner Loop Header: Depth=3
	s_mov_b32 s43, 0
	s_mov_b32 s44, exec_lo
	v_cmpx_ne_u32_e64 s33, v20
	s_xor_b32 s44, exec_lo, s44
	s_cbranch_execz .LBB204_27
; %bb.26:                               ;   in Loop: Header=BB204_25 Depth=3
	v_add_nc_u32_e32 v17, 1, v17
	s_mov_b32 s43, exec_lo
                                        ; implicit-def: $vgpr19
	s_delay_alu instid0(VALU_DEP_1)
	v_and_b32_e32 v17, 0x1ff, v17
	s_and_not1_saveexec_b32 s44, s44
	s_cbranch_execz .LBB204_29
	s_branch .LBB204_28
.LBB204_27:                             ;   in Loop: Header=BB204_25 Depth=3
	s_and_not1_saveexec_b32 s44, s44
	s_cbranch_execz .LBB204_29
.LBB204_28:                             ;   in Loop: Header=BB204_25 Depth=3
	v_mov_b32_e32 v20, s33
	s_and_not1_b32 s43, s43, exec_lo
	ds_cmpstore_rtn_b32 v19, v19, v18, v20
	s_wait_dscnt 0x0
	v_cmp_ne_u32_e32 vcc_lo, s33, v19
	s_and_b32 s45, vcc_lo, exec_lo
	s_delay_alu instid0(SALU_CYCLE_1)
	s_or_b32 s43, s43, s45
.LBB204_29:                             ;   in Loop: Header=BB204_25 Depth=3
	s_or_b32 exec_lo, exec_lo, s44
	s_mov_b32 s44, -1
                                        ; implicit-def: $vgpr19
                                        ; implicit-def: $vgpr20
	s_and_saveexec_b32 s45, s43
	s_cbranch_execz .LBB204_24
; %bb.30:                               ;   in Loop: Header=BB204_25 Depth=3
	v_lshl_add_u32 v19, v17, 2, 0
	ds_load_b32 v20, v19
	s_wait_dscnt 0x0
	v_cmp_eq_u32_e32 vcc_lo, v20, v18
	s_or_not1_b32 s44, vcc_lo, exec_lo
	s_branch .LBB204_24
.LBB204_31:
	s_or_b32 exec_lo, exec_lo, s1
.LBB204_32:
	s_delay_alu instid0(SALU_CYCLE_1)
	s_and_not1_b32 vcc_lo, exec_lo, s2
	s_cbranch_vccnz .LBB204_35
; %bb.33:
	s_wait_kmcnt 0x0
	s_ashr_i32 s29, s28, 31
	v_mov_b32_e32 v1, 0
	s_lshl_b64 s[2:3], s[28:29], 3
	s_mov_b32 s1, exec_lo
	s_add_nc_u64 s[2:3], s[4:5], s[2:3]
	s_load_b128 s[12:15], s[2:3], 0x0
	s_wait_xcnt 0x0
	s_mov_b32 s3, 0
	s_mov_b32 s2, s23
	s_delay_alu instid0(SALU_CYCLE_1) | instskip(SKIP_1) | instid1(VALU_DEP_1)
	v_sub_nc_u64_e64 v[4:5], v[0:1], s[2:3]
	s_wait_kmcnt 0x0
	v_add_nc_u64_e32 v[4:5], s[12:13], v[4:5]
	s_sub_nc_u64 s[4:5], s[14:15], s[2:3]
	s_delay_alu instid0(VALU_DEP_1) | instid1(SALU_CYCLE_1)
	v_cmpx_gt_i64_e64 s[4:5], v[4:5]
	s_cbranch_execnz .LBB204_58
.LBB204_34:
	s_or_b32 exec_lo, exec_lo, s1
.LBB204_35:
	s_wait_dscnt 0x0
	s_barrier_signal -1
	s_barrier_wait -1
	s_and_saveexec_b32 s8, s0
	s_cbranch_execz .LBB204_67
; %bb.36:
	v_mbcnt_lo_u32_b32 v4, -1, 0
	v_mov_b32_e32 v1, 0
	v_lshl_add_u32 v3, v2, 2, 0
	v_cmp_lt_u32_e64 s0, 31, v0
	v_cmp_lt_u32_e64 s1, 63, v0
	v_xor_b32_e32 v2, 31, v4
	v_cmp_lt_u32_e64 s2, 0x5f, v0
	v_cmp_lt_u32_e64 s3, 0x7f, v0
	;; [unrolled: 1-line block ×4, first 2 shown]
	v_lshrrev_b32_e64 v2, v2, -1
	v_cmp_lt_u32_e64 s6, 0xdf, v0
	v_add3_u32 v6, v16, 0, 0x800
	v_mov_b32_e32 v7, 0
	s_mov_b32 s9, 0
	v_cmp_eq_u32_e32 vcc_lo, 0xff, v0
	s_branch .LBB204_38
.LBB204_37:                             ;   in Loop: Header=BB204_38 Depth=1
	s_or_b32 exec_lo, exec_lo, s7
	s_wait_dscnt 0x0
	s_barrier_signal -1
	s_barrier_wait -1
	ds_load_b32 v4, v1 offset:6172
	v_add_co_u32 v14, s7, 0x100, v14
	s_xor_b32 s7, s7, -1
	v_add_nc_u32_e32 v6, 0x800, v6
	v_add_nc_u32_e32 v15, 0x400, v15
	s_and_b32 s7, exec_lo, s7
	s_delay_alu instid0(SALU_CYCLE_1)
	s_or_b32 s9, s7, s9
	s_wait_dscnt 0x0
	v_add_nc_u32_e32 v7, v4, v7
	s_and_not1_b32 exec_lo, exec_lo, s9
	s_cbranch_execz .LBB204_67
.LBB204_38:                             ; =>This Inner Loop Header: Depth=1
	ds_load_b32 v8, v15
	ds_load_2addr_b32 v[4:5], v6 offset1:1
	s_wait_dscnt 0x0
	s_barrier_signal -1
	s_barrier_wait -1
	v_cmp_gt_i32_e64 s7, s33, v8
	s_bcnt1_i32_b32 s12, s7
	s_delay_alu instid0(SALU_CYCLE_1) | instskip(NEXT) | instid1(VALU_DEP_1)
	v_dual_mov_b32 v10, s12 :: v_dual_bitop2_b32 v9, s7, v2 bitop3:0x40
	v_bcnt_u32_b32 v9, v9, 0
	ds_store_b32 v3, v10 offset:6144
	s_wait_dscnt 0x0
	s_barrier_signal -1
	s_barrier_wait -1
	s_and_saveexec_b32 s12, s0
	s_cbranch_execz .LBB204_47
; %bb.39:                               ;   in Loop: Header=BB204_38 Depth=1
	ds_load_b32 v10, v1 offset:6144
	s_wait_dscnt 0x0
	v_add_nc_u32_e32 v9, v10, v9
	s_or_b32 exec_lo, exec_lo, s12
	s_and_saveexec_b32 s12, s1
	s_cbranch_execnz .LBB204_48
.LBB204_40:                             ;   in Loop: Header=BB204_38 Depth=1
	s_or_b32 exec_lo, exec_lo, s12
	s_and_saveexec_b32 s12, s2
	s_cbranch_execz .LBB204_49
.LBB204_41:                             ;   in Loop: Header=BB204_38 Depth=1
	ds_load_b32 v10, v1 offset:6152
	s_wait_dscnt 0x0
	v_add_nc_u32_e32 v9, v10, v9
	s_or_b32 exec_lo, exec_lo, s12
	s_and_saveexec_b32 s12, s3
	s_cbranch_execnz .LBB204_50
.LBB204_42:                             ;   in Loop: Header=BB204_38 Depth=1
	s_or_b32 exec_lo, exec_lo, s12
	s_and_saveexec_b32 s12, s4
	s_cbranch_execz .LBB204_51
.LBB204_43:                             ;   in Loop: Header=BB204_38 Depth=1
	ds_load_b32 v10, v1 offset:6160
	s_wait_dscnt 0x0
	v_add_nc_u32_e32 v9, v10, v9
	s_or_b32 exec_lo, exec_lo, s12
	s_and_saveexec_b32 s12, s5
	s_cbranch_execnz .LBB204_52
.LBB204_44:                             ;   in Loop: Header=BB204_38 Depth=1
	s_or_b32 exec_lo, exec_lo, s12
	s_and_saveexec_b32 s12, s6
	s_cbranch_execz .LBB204_53
.LBB204_45:                             ;   in Loop: Header=BB204_38 Depth=1
	ds_load_b32 v10, v1 offset:6168
	s_wait_dscnt 0x0
	v_add_nc_u32_e32 v9, v10, v9
	s_or_b32 exec_lo, exec_lo, s12
	s_and_saveexec_b32 s12, s7
	s_cbranch_execnz .LBB204_54
.LBB204_46:                             ;   in Loop: Header=BB204_38 Depth=1
	s_or_b32 exec_lo, exec_lo, s12
	s_and_saveexec_b32 s7, vcc_lo
	s_cbranch_execz .LBB204_37
	s_branch .LBB204_55
.LBB204_47:                             ;   in Loop: Header=BB204_38 Depth=1
	s_or_b32 exec_lo, exec_lo, s12
	s_and_saveexec_b32 s12, s1
	s_cbranch_execz .LBB204_40
.LBB204_48:                             ;   in Loop: Header=BB204_38 Depth=1
	ds_load_b32 v10, v1 offset:6148
	s_wait_dscnt 0x0
	v_add_nc_u32_e32 v9, v10, v9
	s_or_b32 exec_lo, exec_lo, s12
	s_and_saveexec_b32 s12, s2
	s_cbranch_execnz .LBB204_41
.LBB204_49:                             ;   in Loop: Header=BB204_38 Depth=1
	s_or_b32 exec_lo, exec_lo, s12
	s_and_saveexec_b32 s12, s3
	s_cbranch_execz .LBB204_42
.LBB204_50:                             ;   in Loop: Header=BB204_38 Depth=1
	ds_load_b32 v10, v1 offset:6156
	s_wait_dscnt 0x0
	v_add_nc_u32_e32 v9, v10, v9
	s_or_b32 exec_lo, exec_lo, s12
	s_and_saveexec_b32 s12, s4
	s_cbranch_execnz .LBB204_43
.LBB204_51:                             ;   in Loop: Header=BB204_38 Depth=1
	s_or_b32 exec_lo, exec_lo, s12
	s_and_saveexec_b32 s12, s5
	s_cbranch_execz .LBB204_44
.LBB204_52:                             ;   in Loop: Header=BB204_38 Depth=1
	ds_load_b32 v10, v1 offset:6164
	s_wait_dscnt 0x0
	v_add_nc_u32_e32 v9, v10, v9
	s_or_b32 exec_lo, exec_lo, s12
	s_and_saveexec_b32 s12, s6
	s_cbranch_execnz .LBB204_45
.LBB204_53:                             ;   in Loop: Header=BB204_38 Depth=1
	s_or_b32 exec_lo, exec_lo, s12
	s_and_saveexec_b32 s12, s7
	s_cbranch_execz .LBB204_46
.LBB204_54:                             ;   in Loop: Header=BB204_38 Depth=1
	s_delay_alu instid0(VALU_DEP_1) | instskip(SKIP_1) | instid1(VALU_DEP_2)
	v_add3_u32 v10, v7, -1, v9
	v_add_lshl_u32 v11, v7, v9, 3
	v_lshl_add_u32 v10, v10, 2, 0
	s_delay_alu instid0(VALU_DEP_2)
	v_add3_u32 v11, 0, v11, 0x7f8
	ds_store_b32 v10, v8
	ds_store_2addr_b32 v11, v4, v5 offset1:1
	s_or_b32 exec_lo, exec_lo, s12
	s_and_saveexec_b32 s7, vcc_lo
	s_cbranch_execz .LBB204_37
.LBB204_55:                             ;   in Loop: Header=BB204_38 Depth=1
	ds_store_b32 v1, v9 offset:6172
	s_branch .LBB204_37
.LBB204_56:                             ;   in Loop: Header=BB204_58 Depth=1
	s_or_b32 exec_lo, exec_lo, s12
.LBB204_57:                             ;   in Loop: Header=BB204_58 Depth=1
	s_delay_alu instid0(SALU_CYCLE_1)
	s_or_b32 exec_lo, exec_lo, s2
	s_wait_loadcnt 0x0
	v_mul_f32_e64 v3, v7, -s39
	v_mul_f32_e32 v7, s38, v7
	v_lshl_add_u32 v1, v1, 3, 0
	v_add_nc_u64_e32 v[4:5], 0x100, v[4:5]
	s_delay_alu instid0(VALU_DEP_4) | instskip(NEXT) | instid1(VALU_DEP_4)
	v_fmac_f32_e32 v3, s38, v6
	v_fmac_f32_e32 v7, s39, v6
	ds_add_f32 v1, v3 offset:2048
	ds_add_f32 v1, v7 offset:2052
	v_cmp_le_i64_e32 vcc_lo, s[4:5], v[4:5]
	s_or_b32 s3, vcc_lo, s3
	s_delay_alu instid0(SALU_CYCLE_1)
	s_and_not1_b32 exec_lo, exec_lo, s3
	s_cbranch_execz .LBB204_34
.LBB204_58:                             ; =>This Loop Header: Depth=1
                                        ;     Child Loop BB204_61 Depth 2
	v_lshl_add_u64 v[6:7], v[4:5], 2, s[6:7]
	s_mov_b32 s2, exec_lo
	global_load_b32 v1, v[6:7], off
	s_wait_xcnt 0x0
	v_lshl_add_u64 v[6:7], v[4:5], 3, s[8:9]
	global_load_b64 v[6:7], v[6:7], off
	s_wait_loadcnt 0x1
	v_subrev_nc_u32_e32 v3, s23, v1
	s_delay_alu instid0(VALU_DEP_1) | instskip(NEXT) | instid1(VALU_DEP_1)
	v_mul_lo_u32 v1, 0x89, v3
	v_and_b32_e32 v1, 0x1ff, v1
	s_delay_alu instid0(VALU_DEP_1)
	v_lshl_add_u32 v8, v1, 2, 0
	ds_load_b32 v9, v8
	s_wait_dscnt 0x0
	s_wait_xcnt 0x0
	v_cmpx_ne_u32_e64 v9, v3
	s_cbranch_execz .LBB204_57
; %bb.59:                               ;   in Loop: Header=BB204_58 Depth=1
	s_mov_b32 s12, 0
	s_branch .LBB204_61
.LBB204_60:                             ;   in Loop: Header=BB204_61 Depth=2
	s_or_b32 exec_lo, exec_lo, s15
	s_delay_alu instid0(SALU_CYCLE_1) | instskip(NEXT) | instid1(SALU_CYCLE_1)
	s_and_b32 s13, exec_lo, s14
	s_or_b32 s12, s13, s12
	s_delay_alu instid0(SALU_CYCLE_1)
	s_and_not1_b32 exec_lo, exec_lo, s12
	s_cbranch_execz .LBB204_56
.LBB204_61:                             ;   Parent Loop BB204_58 Depth=1
                                        ; =>  This Inner Loop Header: Depth=2
	s_mov_b32 s13, 0
	s_mov_b32 s14, exec_lo
	v_cmpx_ne_u32_e64 s33, v9
	s_xor_b32 s14, exec_lo, s14
	s_cbranch_execz .LBB204_63
; %bb.62:                               ;   in Loop: Header=BB204_61 Depth=2
	v_add_nc_u32_e32 v1, 1, v1
	s_mov_b32 s13, exec_lo
                                        ; implicit-def: $vgpr8
	s_delay_alu instid0(VALU_DEP_1)
	v_and_b32_e32 v1, 0x1ff, v1
	s_and_not1_saveexec_b32 s14, s14
	s_cbranch_execz .LBB204_65
	s_branch .LBB204_64
.LBB204_63:                             ;   in Loop: Header=BB204_61 Depth=2
	s_and_not1_saveexec_b32 s14, s14
	s_cbranch_execz .LBB204_65
.LBB204_64:                             ;   in Loop: Header=BB204_61 Depth=2
	v_mov_b32_e32 v9, s33
	s_and_not1_b32 s13, s13, exec_lo
	ds_cmpstore_rtn_b32 v8, v8, v3, v9
	s_wait_dscnt 0x0
	v_cmp_ne_u32_e32 vcc_lo, s33, v8
	s_and_b32 s15, vcc_lo, exec_lo
	s_delay_alu instid0(SALU_CYCLE_1)
	s_or_b32 s13, s13, s15
.LBB204_65:                             ;   in Loop: Header=BB204_61 Depth=2
	s_or_b32 exec_lo, exec_lo, s14
	s_mov_b32 s14, -1
                                        ; implicit-def: $vgpr8
                                        ; implicit-def: $vgpr9
	s_and_saveexec_b32 s15, s13
	s_cbranch_execz .LBB204_60
; %bb.66:                               ;   in Loop: Header=BB204_61 Depth=2
	v_lshl_add_u32 v8, v1, 2, 0
	ds_load_b32 v9, v8
	s_wait_dscnt 0x0
	v_cmp_eq_u32_e32 vcc_lo, v9, v3
	s_or_not1_b32 s14, vcc_lo, exec_lo
	s_branch .LBB204_60
.LBB204_67:
	s_or_b32 exec_lo, exec_lo, s8
	s_wait_kmcnt 0x0
	s_ashr_i32 s29, s28, 31
	s_delay_alu instid0(SALU_CYCLE_1) | instskip(NEXT) | instid1(SALU_CYCLE_1)
	s_lshl_b64 s[0:1], s[28:29], 3
	s_add_nc_u64 s[4:5], s[10:11], s[0:1]
	s_load_b128 s[0:3], s[4:5], 0x0
	s_wait_xcnt 0x0
	s_mov_b32 s4, exec_lo
	s_wait_kmcnt 0x0
	s_sub_co_i32 s3, s2, s0
	s_delay_alu instid0(SALU_CYCLE_1)
	v_cmpx_gt_i32_e64 s3, v0
	s_cbranch_execz .LBB204_77
; %bb.68:
	s_sub_co_i32 s4, s0, s2
	s_and_b32 s2, s3, 7
	s_cmp_lt_u32 s4, -7
	s_mov_b32 s23, 0
	s_cselect_b32 s4, -1, 0
	s_and_b32 s5, s3, -8
	s_cmp_lg_u32 s2, 0
	s_sub_nc_u64 s[0:1], s[0:1], s[22:23]
	s_cselect_b32 s6, -1, 0
	s_mov_b32 s7, 0
	s_branch .LBB204_70
.LBB204_69:                             ;   in Loop: Header=BB204_70 Depth=1
	v_add_nc_u32_e32 v0, 0x100, v0
	s_delay_alu instid0(VALU_DEP_2) | instskip(NEXT) | instid1(VALU_DEP_2)
	v_lshl_add_u64 v[4:5], v[4:5], 3, s[34:35]
	v_cmp_le_i32_e32 vcc_lo, s3, v0
	s_wait_dscnt 0x0
	global_store_b64 v[4:5], v[2:3], off
	s_or_b32 s7, vcc_lo, s7
	s_wait_xcnt 0x0
	s_and_not1_b32 exec_lo, exec_lo, s7
	s_cbranch_execz .LBB204_77
.LBB204_70:                             ; =>This Loop Header: Depth=1
                                        ;     Child Loop BB204_72 Depth 2
                                        ;     Child Loop BB204_76 Depth 2
	v_lshlrev_b32_e32 v1, 2, v0
	v_mov_b64_e32 v[4:5], s[0:1]
	s_and_not1_b32 vcc_lo, exec_lo, s4
	s_mov_b32 s8, 0
	s_delay_alu instid0(VALU_DEP_2) | instskip(NEXT) | instid1(VALU_DEP_1)
	v_add_nc_u32_e32 v2, 0, v1
	v_add3_u32 v3, v2, v1, 0x800
	ds_load_b32 v1, v2
	ds_load_2addr_b32 v[2:3], v3 offset1:1
	s_cbranch_vccnz .LBB204_74
; %bb.71:                               ;   in Loop: Header=BB204_70 Depth=1
	v_mov_b64_e32 v[4:5], s[0:1]
	s_mov_b32 s9, 0
.LBB204_72:                             ;   Parent Loop BB204_70 Depth=1
                                        ; =>  This Inner Loop Header: Depth=2
	s_delay_alu instid0(SALU_CYCLE_1)
	v_dual_mov_b32 v10, s9 :: v_dual_mov_b32 v11, s23
	v_mov_b32_e32 v17, s23
	s_add_co_i32 s8, s8, 8
	s_add_co_i32 s9, s9, 32
	ds_load_2addr_b32 v[6:7], v10 offset1:1
	ds_load_2addr_b32 v[8:9], v10 offset0:2 offset1:3
	ds_load_2addr_b32 v[12:13], v10 offset0:4 offset1:5
	;; [unrolled: 1-line block ×3, first 2 shown]
	s_cmp_eq_u32 s5, s8
	s_wait_dscnt 0x3
	v_cmp_gt_i32_e32 vcc_lo, v1, v6
	v_cndmask_b32_e64 v10, 0, 1, vcc_lo
	v_cmp_gt_i32_e32 vcc_lo, v1, v7
	v_mov_b32_e32 v7, s23
	s_delay_alu instid0(VALU_DEP_3) | instskip(SKIP_4) | instid1(VALU_DEP_3)
	v_add_nc_u64_e32 v[4:5], v[4:5], v[10:11]
	v_cndmask_b32_e64 v16, 0, 1, vcc_lo
	s_wait_dscnt 0x2
	v_cmp_gt_i32_e32 vcc_lo, v1, v8
	v_cndmask_b32_e64 v6, 0, 1, vcc_lo
	v_add_nc_u64_e32 v[4:5], v[4:5], v[16:17]
	v_cmp_gt_i32_e32 vcc_lo, v1, v9
	v_mov_b32_e32 v9, s23
	v_cndmask_b32_e64 v10, 0, 1, vcc_lo
	s_delay_alu instid0(VALU_DEP_4) | instskip(SKIP_3) | instid1(VALU_DEP_3)
	v_add_nc_u64_e32 v[4:5], v[4:5], v[6:7]
	s_wait_dscnt 0x1
	v_cmp_gt_i32_e32 vcc_lo, v1, v12
	v_cndmask_b32_e64 v6, 0, 1, vcc_lo
	v_add_nc_u64_e32 v[4:5], v[4:5], v[10:11]
	v_cmp_gt_i32_e32 vcc_lo, v1, v13
	v_cndmask_b32_e64 v8, 0, 1, vcc_lo
	s_delay_alu instid0(VALU_DEP_3) | instskip(SKIP_3) | instid1(VALU_DEP_3)
	v_add_nc_u64_e32 v[4:5], v[4:5], v[6:7]
	s_wait_dscnt 0x0
	v_cmp_gt_i32_e32 vcc_lo, v1, v14
	v_cndmask_b32_e64 v6, 0, 1, vcc_lo
	v_add_nc_u64_e32 v[4:5], v[4:5], v[8:9]
	v_cmp_gt_i32_e32 vcc_lo, v1, v15
	v_cndmask_b32_e64 v8, 0, 1, vcc_lo
	s_delay_alu instid0(VALU_DEP_3) | instskip(NEXT) | instid1(VALU_DEP_1)
	v_add_nc_u64_e32 v[4:5], v[4:5], v[6:7]
	v_add_nc_u64_e32 v[4:5], v[4:5], v[8:9]
	s_cbranch_scc0 .LBB204_72
; %bb.73:                               ;   in Loop: Header=BB204_70 Depth=1
	s_mov_b32 s8, s5
.LBB204_74:                             ;   in Loop: Header=BB204_70 Depth=1
	s_and_not1_b32 vcc_lo, exec_lo, s6
	s_cbranch_vccnz .LBB204_69
; %bb.75:                               ;   in Loop: Header=BB204_70 Depth=1
	s_lshl_b32 s8, s8, 2
	s_mov_b32 s9, s2
	s_add_co_i32 s8, s8, 0
.LBB204_76:                             ;   Parent Loop BB204_70 Depth=1
                                        ; =>  This Inner Loop Header: Depth=2
	s_delay_alu instid0(SALU_CYCLE_1)
	v_dual_mov_b32 v6, s8 :: v_dual_mov_b32 v7, s23
	s_add_co_i32 s9, s9, -1
	s_add_co_i32 s8, s8, 4
	s_cmp_lg_u32 s9, 0
	ds_load_b32 v6, v6
	s_wait_dscnt 0x0
	v_cmp_gt_i32_e32 vcc_lo, v1, v6
	v_cndmask_b32_e64 v6, 0, 1, vcc_lo
	s_delay_alu instid0(VALU_DEP_1)
	v_add_nc_u64_e32 v[4:5], v[4:5], v[6:7]
	s_cbranch_scc1 .LBB204_76
	s_branch .LBB204_69
.LBB204_77:
	s_endpgm
	.section	.rodata,"a",@progbits
	.p2align	6, 0x0
	.amdhsa_kernel _ZN9rocsparseL41csrgemm_numeric_fill_block_per_row_kernelILj256ELj32ELj512ELj137ELj32Eli21rocsparse_complex_numIfEEEvT5_PKS3_S5_NS_24const_host_device_scalarIT6_EEPKT4_S5_PKS7_SB_S5_SD_S8_SB_S5_SD_SB_S5_PS7_21rocsparse_index_base_SF_SF_SF_bbb
		.amdhsa_group_segment_fixed_size 0
		.amdhsa_private_segment_fixed_size 0
		.amdhsa_kernarg_size 156
		.amdhsa_user_sgpr_count 2
		.amdhsa_user_sgpr_dispatch_ptr 0
		.amdhsa_user_sgpr_queue_ptr 0
		.amdhsa_user_sgpr_kernarg_segment_ptr 1
		.amdhsa_user_sgpr_dispatch_id 0
		.amdhsa_user_sgpr_kernarg_preload_length 0
		.amdhsa_user_sgpr_kernarg_preload_offset 0
		.amdhsa_user_sgpr_private_segment_size 0
		.amdhsa_wavefront_size32 1
		.amdhsa_uses_dynamic_stack 0
		.amdhsa_enable_private_segment 0
		.amdhsa_system_sgpr_workgroup_id_x 1
		.amdhsa_system_sgpr_workgroup_id_y 0
		.amdhsa_system_sgpr_workgroup_id_z 0
		.amdhsa_system_sgpr_workgroup_info 0
		.amdhsa_system_vgpr_workitem_id 0
		.amdhsa_next_free_vgpr 21
		.amdhsa_next_free_sgpr 48
		.amdhsa_named_barrier_count 0
		.amdhsa_reserve_vcc 1
		.amdhsa_float_round_mode_32 0
		.amdhsa_float_round_mode_16_64 0
		.amdhsa_float_denorm_mode_32 3
		.amdhsa_float_denorm_mode_16_64 3
		.amdhsa_fp16_overflow 0
		.amdhsa_memory_ordered 1
		.amdhsa_forward_progress 1
		.amdhsa_inst_pref_size 24
		.amdhsa_round_robin_scheduling 0
		.amdhsa_exception_fp_ieee_invalid_op 0
		.amdhsa_exception_fp_denorm_src 0
		.amdhsa_exception_fp_ieee_div_zero 0
		.amdhsa_exception_fp_ieee_overflow 0
		.amdhsa_exception_fp_ieee_underflow 0
		.amdhsa_exception_fp_ieee_inexact 0
		.amdhsa_exception_int_div_zero 0
	.end_amdhsa_kernel
	.section	.text._ZN9rocsparseL41csrgemm_numeric_fill_block_per_row_kernelILj256ELj32ELj512ELj137ELj32Eli21rocsparse_complex_numIfEEEvT5_PKS3_S5_NS_24const_host_device_scalarIT6_EEPKT4_S5_PKS7_SB_S5_SD_S8_SB_S5_SD_SB_S5_PS7_21rocsparse_index_base_SF_SF_SF_bbb,"axG",@progbits,_ZN9rocsparseL41csrgemm_numeric_fill_block_per_row_kernelILj256ELj32ELj512ELj137ELj32Eli21rocsparse_complex_numIfEEEvT5_PKS3_S5_NS_24const_host_device_scalarIT6_EEPKT4_S5_PKS7_SB_S5_SD_S8_SB_S5_SD_SB_S5_PS7_21rocsparse_index_base_SF_SF_SF_bbb,comdat
.Lfunc_end204:
	.size	_ZN9rocsparseL41csrgemm_numeric_fill_block_per_row_kernelILj256ELj32ELj512ELj137ELj32Eli21rocsparse_complex_numIfEEEvT5_PKS3_S5_NS_24const_host_device_scalarIT6_EEPKT4_S5_PKS7_SB_S5_SD_S8_SB_S5_SD_SB_S5_PS7_21rocsparse_index_base_SF_SF_SF_bbb, .Lfunc_end204-_ZN9rocsparseL41csrgemm_numeric_fill_block_per_row_kernelILj256ELj32ELj512ELj137ELj32Eli21rocsparse_complex_numIfEEEvT5_PKS3_S5_NS_24const_host_device_scalarIT6_EEPKT4_S5_PKS7_SB_S5_SD_S8_SB_S5_SD_SB_S5_PS7_21rocsparse_index_base_SF_SF_SF_bbb
                                        ; -- End function
	.set _ZN9rocsparseL41csrgemm_numeric_fill_block_per_row_kernelILj256ELj32ELj512ELj137ELj32Eli21rocsparse_complex_numIfEEEvT5_PKS3_S5_NS_24const_host_device_scalarIT6_EEPKT4_S5_PKS7_SB_S5_SD_S8_SB_S5_SD_SB_S5_PS7_21rocsparse_index_base_SF_SF_SF_bbb.num_vgpr, 21
	.set _ZN9rocsparseL41csrgemm_numeric_fill_block_per_row_kernelILj256ELj32ELj512ELj137ELj32Eli21rocsparse_complex_numIfEEEvT5_PKS3_S5_NS_24const_host_device_scalarIT6_EEPKT4_S5_PKS7_SB_S5_SD_S8_SB_S5_SD_SB_S5_PS7_21rocsparse_index_base_SF_SF_SF_bbb.num_agpr, 0
	.set _ZN9rocsparseL41csrgemm_numeric_fill_block_per_row_kernelILj256ELj32ELj512ELj137ELj32Eli21rocsparse_complex_numIfEEEvT5_PKS3_S5_NS_24const_host_device_scalarIT6_EEPKT4_S5_PKS7_SB_S5_SD_S8_SB_S5_SD_SB_S5_PS7_21rocsparse_index_base_SF_SF_SF_bbb.numbered_sgpr, 48
	.set _ZN9rocsparseL41csrgemm_numeric_fill_block_per_row_kernelILj256ELj32ELj512ELj137ELj32Eli21rocsparse_complex_numIfEEEvT5_PKS3_S5_NS_24const_host_device_scalarIT6_EEPKT4_S5_PKS7_SB_S5_SD_S8_SB_S5_SD_SB_S5_PS7_21rocsparse_index_base_SF_SF_SF_bbb.num_named_barrier, 0
	.set _ZN9rocsparseL41csrgemm_numeric_fill_block_per_row_kernelILj256ELj32ELj512ELj137ELj32Eli21rocsparse_complex_numIfEEEvT5_PKS3_S5_NS_24const_host_device_scalarIT6_EEPKT4_S5_PKS7_SB_S5_SD_S8_SB_S5_SD_SB_S5_PS7_21rocsparse_index_base_SF_SF_SF_bbb.private_seg_size, 0
	.set _ZN9rocsparseL41csrgemm_numeric_fill_block_per_row_kernelILj256ELj32ELj512ELj137ELj32Eli21rocsparse_complex_numIfEEEvT5_PKS3_S5_NS_24const_host_device_scalarIT6_EEPKT4_S5_PKS7_SB_S5_SD_S8_SB_S5_SD_SB_S5_PS7_21rocsparse_index_base_SF_SF_SF_bbb.uses_vcc, 1
	.set _ZN9rocsparseL41csrgemm_numeric_fill_block_per_row_kernelILj256ELj32ELj512ELj137ELj32Eli21rocsparse_complex_numIfEEEvT5_PKS3_S5_NS_24const_host_device_scalarIT6_EEPKT4_S5_PKS7_SB_S5_SD_S8_SB_S5_SD_SB_S5_PS7_21rocsparse_index_base_SF_SF_SF_bbb.uses_flat_scratch, 0
	.set _ZN9rocsparseL41csrgemm_numeric_fill_block_per_row_kernelILj256ELj32ELj512ELj137ELj32Eli21rocsparse_complex_numIfEEEvT5_PKS3_S5_NS_24const_host_device_scalarIT6_EEPKT4_S5_PKS7_SB_S5_SD_S8_SB_S5_SD_SB_S5_PS7_21rocsparse_index_base_SF_SF_SF_bbb.has_dyn_sized_stack, 0
	.set _ZN9rocsparseL41csrgemm_numeric_fill_block_per_row_kernelILj256ELj32ELj512ELj137ELj32Eli21rocsparse_complex_numIfEEEvT5_PKS3_S5_NS_24const_host_device_scalarIT6_EEPKT4_S5_PKS7_SB_S5_SD_S8_SB_S5_SD_SB_S5_PS7_21rocsparse_index_base_SF_SF_SF_bbb.has_recursion, 0
	.set _ZN9rocsparseL41csrgemm_numeric_fill_block_per_row_kernelILj256ELj32ELj512ELj137ELj32Eli21rocsparse_complex_numIfEEEvT5_PKS3_S5_NS_24const_host_device_scalarIT6_EEPKT4_S5_PKS7_SB_S5_SD_S8_SB_S5_SD_SB_S5_PS7_21rocsparse_index_base_SF_SF_SF_bbb.has_indirect_call, 0
	.section	.AMDGPU.csdata,"",@progbits
; Kernel info:
; codeLenInByte = 2988
; TotalNumSgprs: 50
; NumVgprs: 21
; ScratchSize: 0
; MemoryBound: 0
; FloatMode: 240
; IeeeMode: 1
; LDSByteSize: 0 bytes/workgroup (compile time only)
; SGPRBlocks: 0
; VGPRBlocks: 1
; NumSGPRsForWavesPerEU: 50
; NumVGPRsForWavesPerEU: 21
; NamedBarCnt: 0
; Occupancy: 16
; WaveLimiterHint : 1
; COMPUTE_PGM_RSRC2:SCRATCH_EN: 0
; COMPUTE_PGM_RSRC2:USER_SGPR: 2
; COMPUTE_PGM_RSRC2:TRAP_HANDLER: 0
; COMPUTE_PGM_RSRC2:TGID_X_EN: 1
; COMPUTE_PGM_RSRC2:TGID_Y_EN: 0
; COMPUTE_PGM_RSRC2:TGID_Z_EN: 0
; COMPUTE_PGM_RSRC2:TIDIG_COMP_CNT: 0
	.section	.text._ZN9rocsparseL41csrgemm_numeric_fill_block_per_row_kernelILj256ELj32ELj512ELj137ELj64Eli21rocsparse_complex_numIfEEEvT5_PKS3_S5_NS_24const_host_device_scalarIT6_EEPKT4_S5_PKS7_SB_S5_SD_S8_SB_S5_SD_SB_S5_PS7_21rocsparse_index_base_SF_SF_SF_bbb,"axG",@progbits,_ZN9rocsparseL41csrgemm_numeric_fill_block_per_row_kernelILj256ELj32ELj512ELj137ELj64Eli21rocsparse_complex_numIfEEEvT5_PKS3_S5_NS_24const_host_device_scalarIT6_EEPKT4_S5_PKS7_SB_S5_SD_S8_SB_S5_SD_SB_S5_PS7_21rocsparse_index_base_SF_SF_SF_bbb,comdat
	.globl	_ZN9rocsparseL41csrgemm_numeric_fill_block_per_row_kernelILj256ELj32ELj512ELj137ELj64Eli21rocsparse_complex_numIfEEEvT5_PKS3_S5_NS_24const_host_device_scalarIT6_EEPKT4_S5_PKS7_SB_S5_SD_S8_SB_S5_SD_SB_S5_PS7_21rocsparse_index_base_SF_SF_SF_bbb ; -- Begin function _ZN9rocsparseL41csrgemm_numeric_fill_block_per_row_kernelILj256ELj32ELj512ELj137ELj64Eli21rocsparse_complex_numIfEEEvT5_PKS3_S5_NS_24const_host_device_scalarIT6_EEPKT4_S5_PKS7_SB_S5_SD_S8_SB_S5_SD_SB_S5_PS7_21rocsparse_index_base_SF_SF_SF_bbb
	.p2align	8
	.type	_ZN9rocsparseL41csrgemm_numeric_fill_block_per_row_kernelILj256ELj32ELj512ELj137ELj64Eli21rocsparse_complex_numIfEEEvT5_PKS3_S5_NS_24const_host_device_scalarIT6_EEPKT4_S5_PKS7_SB_S5_SD_S8_SB_S5_SD_SB_S5_PS7_21rocsparse_index_base_SF_SF_SF_bbb,@function
_ZN9rocsparseL41csrgemm_numeric_fill_block_per_row_kernelILj256ELj32ELj512ELj137ELj64Eli21rocsparse_complex_numIfEEEvT5_PKS3_S5_NS_24const_host_device_scalarIT6_EEPKT4_S5_PKS7_SB_S5_SD_S8_SB_S5_SD_SB_S5_PS7_21rocsparse_index_base_SF_SF_SF_bbb: ; @_ZN9rocsparseL41csrgemm_numeric_fill_block_per_row_kernelILj256ELj32ELj512ELj137ELj64Eli21rocsparse_complex_numIfEEEvT5_PKS3_S5_NS_24const_host_device_scalarIT6_EEPKT4_S5_PKS7_SB_S5_SD_S8_SB_S5_SD_SB_S5_PS7_21rocsparse_index_base_SF_SF_SF_bbb
; %bb.0:
	s_clause 0x3
	s_load_b32 s33, s[0:1], 0x98
	s_load_b128 s[20:23], s[0:1], 0x88
	s_load_b128 s[28:31], s[0:1], 0x8
	s_load_b64 s[36:37], s[0:1], 0x50
	s_mov_b32 s3, 0
	s_mov_b32 s40, 0
	s_wait_kmcnt 0x0
	s_bitcmp1_b32 s33, 0
	s_cselect_b32 s41, -1, 0
	s_bitcmp1_b32 s33, 16
	s_cselect_b32 s2, -1, 0
	s_delay_alu instid0(SALU_CYCLE_1) | instskip(SKIP_2) | instid1(VALU_DEP_1)
	s_xor_b32 s4, s2, -1
	s_bitcmp0_b32 s33, 0
	v_cndmask_b32_e64 v1, 0, 1, s4
	v_cmp_ne_u32_e32 vcc_lo, 1, v1
	s_cbranch_scc1 .LBB205_5
; %bb.1:
	s_load_b64 s[2:3], s[0:1], 0x18
	s_and_b32 vcc_lo, exec_lo, vcc_lo
	s_wait_kmcnt 0x0
	s_mov_b32 s40, s2
	s_cbranch_vccnz .LBB205_3
; %bb.2:
	s_load_b32 s40, s[2:3], 0x0
.LBB205_3:
	s_and_not1_b32 vcc_lo, exec_lo, s4
	s_cbranch_vccnz .LBB205_5
; %bb.4:
	s_wait_xcnt 0x0
	s_load_b32 s3, s[2:3], 0x4
.LBB205_5:
	s_clause 0x3
	s_load_b64 s[34:35], s[0:1], 0x80
	s_load_b256 s[4:11], s[0:1], 0x58
	s_load_b128 s[24:27], s[0:1], 0x40
	s_load_b256 s[12:19], s[0:1], 0x20
	s_bitcmp1_b32 s33, 8
	s_mov_b32 s38, 0
	s_wait_xcnt 0x0
	s_cselect_b32 s2, -1, 0
	s_bfe_u32 s33, s33, 0x10008
	s_mov_b32 s39, 0
	s_cmp_eq_u32 s33, 0
	s_cbranch_scc1 .LBB205_11
; %bb.6:
	v_cmp_ne_u32_e32 vcc_lo, 1, v1
	s_mov_b32 s38, s36
	s_cbranch_vccnz .LBB205_8
; %bb.7:
	s_load_b32 s38, s[36:37], 0x0
.LBB205_8:
	v_cmp_ne_u32_e32 vcc_lo, 1, v1
	s_cbranch_vccnz .LBB205_10
; %bb.9:
	s_wait_xcnt 0x0
	s_load_b32 s37, s[36:37], 0x4
.LBB205_10:
	s_wait_kmcnt 0x0
	s_mov_b32 s39, s37
.LBB205_11:
	s_load_b32 s33, s[0:1], 0x0
	s_wait_xcnt 0x0
	v_cmp_gt_u32_e64 s0, 0x200, v0
	v_lshlrev_b32_e32 v14, 3, v0
	v_or_b32_e32 v12, 0xffffff00, v0
	v_lshl_add_u32 v13, v0, 2, 0
	s_and_saveexec_b32 s1, s0
	s_cbranch_execz .LBB205_14
; %bb.12:
	v_add3_u32 v1, v14, 0, 0x800
	v_or_b32_e32 v2, 0xffffff00, v0
	v_lshl_add_u32 v3, v0, 2, 0
	s_wait_kmcnt 0x0
	v_dual_mov_b32 v4, s33 :: v_dual_mov_b32 v5, 0
	s_mov_b32 s36, 0
.LBB205_13:                             ; =>This Inner Loop Header: Depth=1
	v_add_co_u32 v2, s37, 0x100, v2
	s_xor_b32 s37, s37, -1
	ds_store_b32 v3, v4
	ds_store_2addr_b32 v1, v5, v5 offset1:1
	v_add_nc_u32_e32 v1, 0x800, v1
	v_add_nc_u32_e32 v3, 0x400, v3
	s_and_b32 s37, exec_lo, s37
	s_delay_alu instid0(SALU_CYCLE_1) | instskip(NEXT) | instid1(SALU_CYCLE_1)
	s_or_b32 s36, s37, s36
	s_and_not1_b32 exec_lo, exec_lo, s36
	s_cbranch_execnz .LBB205_13
.LBB205_14:
	s_or_b32 exec_lo, exec_lo, s1
	s_wait_dscnt 0x0
	s_barrier_signal -1
	s_barrier_wait -1
	s_load_b32 s1, s[28:29], 0x0
	s_wait_xcnt 0x0
	s_bfe_u32 s28, ttmp6, 0x4000c
	s_and_b32 s29, ttmp6, 15
	s_add_co_i32 s28, s28, 1
	s_getreg_b32 s36, hwreg(HW_REG_IB_STS2, 6, 4)
	s_mul_i32 s28, ttmp9, s28
	s_delay_alu instid0(SALU_CYCLE_1)
	s_add_co_i32 s29, s29, s28
	s_cmp_eq_u32 s36, 0
	s_cselect_b32 s28, ttmp9, s29
	s_and_b32 vcc_lo, exec_lo, s41
	s_wait_kmcnt 0x0
	s_add_co_i32 s1, s1, s28
	s_load_b32 s28, s[30:31], s1 offset:0x0 scale_offset
	s_wait_xcnt 0x0
	s_mov_b32 s31, 0
	s_cbranch_vccz .LBB205_32
; %bb.15:
	s_wait_kmcnt 0x0
	s_ashr_i32 s29, s28, 31
	v_dual_mov_b32 v5, 0 :: v_dual_lshrrev_b32 v4, 5, v0
	s_lshl_b64 s[36:37], s[28:29], 3
	s_mov_b32 s30, s20
	s_add_nc_u64 s[12:13], s[12:13], s[36:37]
	s_mov_b32 s1, exec_lo
	s_load_b128 s[44:47], s[12:13], 0x0
	v_sub_nc_u64_e64 v[2:3], v[4:5], s[30:31]
	s_wait_kmcnt 0x0
	s_delay_alu instid0(VALU_DEP_1)
	v_add_nc_u64_e32 v[2:3], s[44:45], v[2:3]
	s_sub_nc_u64 s[12:13], s[46:47], s[30:31]
	s_delay_alu instid0(VALU_DEP_1) | instid1(SALU_CYCLE_1)
	v_cmpx_gt_i64_e64 s[12:13], v[2:3]
	s_cbranch_execz .LBB205_31
; %bb.16:
	v_and_b32_e32 v4, 31, v0
	s_mov_b32 s30, s21
	s_mov_b32 s29, s31
	s_delay_alu instid0(VALU_DEP_1)
	v_sub_nc_u64_e64 v[4:5], v[4:5], s[30:31]
	s_branch .LBB205_18
.LBB205_17:                             ;   in Loop: Header=BB205_18 Depth=1
	s_or_b32 exec_lo, exec_lo, s36
	v_add_nc_u64_e32 v[2:3], 8, v[2:3]
	s_delay_alu instid0(VALU_DEP_1) | instskip(SKIP_1) | instid1(SALU_CYCLE_1)
	v_cmp_le_i64_e32 vcc_lo, s[12:13], v[2:3]
	s_or_b32 s29, vcc_lo, s29
	s_and_not1_b32 exec_lo, exec_lo, s29
	s_cbranch_execz .LBB205_31
.LBB205_18:                             ; =>This Loop Header: Depth=1
                                        ;     Child Loop BB205_22 Depth 2
                                        ;       Child Loop BB205_25 Depth 3
	v_lshl_add_u64 v[6:7], v[2:3], 2, s[14:15]
	s_mov_b32 s36, exec_lo
	global_load_b32 v1, v[6:7], off
	s_wait_loadcnt 0x0
	s_wait_xcnt 0x0
	v_subrev_nc_u32_e32 v6, s20, v1
	s_delay_alu instid0(VALU_DEP_1) | instskip(NEXT) | instid1(VALU_DEP_1)
	v_ashrrev_i32_e32 v7, 31, v6
	v_lshl_add_u64 v[6:7], v[6:7], 3, s[18:19]
	global_load_b128 v[8:11], v[6:7], off
	s_wait_loadcnt 0x0
	s_wait_xcnt 0x0
	v_sub_nc_u64_e64 v[6:7], v[10:11], s[30:31]
	v_add_nc_u64_e32 v[8:9], v[8:9], v[4:5]
	s_delay_alu instid0(VALU_DEP_1)
	v_cmpx_lt_i64_e64 v[8:9], v[6:7]
	s_cbranch_execz .LBB205_17
; %bb.19:                               ;   in Loop: Header=BB205_18 Depth=1
	v_lshl_add_u64 v[10:11], v[2:3], 3, s[16:17]
	s_mov_b32 s37, 0
	global_load_b64 v[10:11], v[10:11], off
	s_wait_loadcnt 0x0
	v_mul_f32_e64 v1, v11, -s3
	s_delay_alu instid0(VALU_DEP_1) | instskip(NEXT) | instid1(VALU_DEP_1)
	v_dual_mul_f32 v15, s40, v11 :: v_dual_fmac_f32 v1, s40, v10
	v_fmac_f32_e32 v15, s3, v10
	s_branch .LBB205_22
.LBB205_20:                             ;   in Loop: Header=BB205_22 Depth=2
	s_or_b32 exec_lo, exec_lo, s42
.LBB205_21:                             ;   in Loop: Header=BB205_22 Depth=2
	s_delay_alu instid0(SALU_CYCLE_1)
	s_or_b32 exec_lo, exec_lo, s41
	s_wait_loadcnt 0x0
	v_mul_f32_e64 v17, v11, -v15
	v_mul_f32_e32 v11, v1, v11
	v_lshl_add_u32 v16, v16, 3, 0
	v_add_nc_u64_e32 v[8:9], 32, v[8:9]
	s_delay_alu instid0(VALU_DEP_3) | instskip(SKIP_4) | instid1(SALU_CYCLE_1)
	v_dual_fmac_f32 v17, v1, v10 :: v_dual_fmac_f32 v11, v15, v10
	ds_add_f32 v16, v17 offset:2048
	ds_add_f32 v16, v11 offset:2052
	v_cmp_ge_i64_e32 vcc_lo, v[8:9], v[6:7]
	s_or_b32 s37, vcc_lo, s37
	s_and_not1_b32 exec_lo, exec_lo, s37
	s_cbranch_execz .LBB205_17
.LBB205_22:                             ;   Parent Loop BB205_18 Depth=1
                                        ; =>  This Loop Header: Depth=2
                                        ;       Child Loop BB205_25 Depth 3
	s_wait_xcnt 0x0
	v_lshl_add_u64 v[10:11], v[8:9], 2, s[24:25]
	s_mov_b32 s41, exec_lo
	global_load_b32 v16, v[10:11], off
	s_wait_xcnt 0x0
	v_lshl_add_u64 v[10:11], v[8:9], 3, s[26:27]
	global_load_b64 v[10:11], v[10:11], off
	s_wait_loadcnt 0x1
	v_subrev_nc_u32_e32 v17, s21, v16
	s_delay_alu instid0(VALU_DEP_1) | instskip(NEXT) | instid1(VALU_DEP_1)
	v_mul_lo_u32 v16, 0x89, v17
	v_and_b32_e32 v16, 0x1ff, v16
	s_delay_alu instid0(VALU_DEP_1)
	v_lshl_add_u32 v18, v16, 2, 0
	ds_load_b32 v19, v18
	s_wait_dscnt 0x0
	s_wait_xcnt 0x0
	v_cmpx_ne_u32_e64 v19, v17
	s_cbranch_execz .LBB205_21
; %bb.23:                               ;   in Loop: Header=BB205_22 Depth=2
	s_mov_b32 s42, 0
	s_branch .LBB205_25
.LBB205_24:                             ;   in Loop: Header=BB205_25 Depth=3
	s_or_b32 exec_lo, exec_lo, s45
	s_delay_alu instid0(SALU_CYCLE_1) | instskip(NEXT) | instid1(SALU_CYCLE_1)
	s_and_b32 s43, exec_lo, s44
	s_or_b32 s42, s43, s42
	s_delay_alu instid0(SALU_CYCLE_1)
	s_and_not1_b32 exec_lo, exec_lo, s42
	s_cbranch_execz .LBB205_20
.LBB205_25:                             ;   Parent Loop BB205_18 Depth=1
                                        ;     Parent Loop BB205_22 Depth=2
                                        ; =>    This Inner Loop Header: Depth=3
	s_mov_b32 s43, 0
	s_mov_b32 s44, exec_lo
	v_cmpx_ne_u32_e64 s33, v19
	s_xor_b32 s44, exec_lo, s44
	s_cbranch_execz .LBB205_27
; %bb.26:                               ;   in Loop: Header=BB205_25 Depth=3
	v_add_nc_u32_e32 v16, 1, v16
	s_mov_b32 s43, exec_lo
                                        ; implicit-def: $vgpr18
	s_delay_alu instid0(VALU_DEP_1)
	v_and_b32_e32 v16, 0x1ff, v16
	s_and_not1_saveexec_b32 s44, s44
	s_cbranch_execz .LBB205_29
	s_branch .LBB205_28
.LBB205_27:                             ;   in Loop: Header=BB205_25 Depth=3
	s_and_not1_saveexec_b32 s44, s44
	s_cbranch_execz .LBB205_29
.LBB205_28:                             ;   in Loop: Header=BB205_25 Depth=3
	v_mov_b32_e32 v19, s33
	s_and_not1_b32 s43, s43, exec_lo
	ds_cmpstore_rtn_b32 v18, v18, v17, v19
	s_wait_dscnt 0x0
	v_cmp_ne_u32_e32 vcc_lo, s33, v18
	s_and_b32 s45, vcc_lo, exec_lo
	s_delay_alu instid0(SALU_CYCLE_1)
	s_or_b32 s43, s43, s45
.LBB205_29:                             ;   in Loop: Header=BB205_25 Depth=3
	s_or_b32 exec_lo, exec_lo, s44
	s_mov_b32 s44, -1
                                        ; implicit-def: $vgpr18
                                        ; implicit-def: $vgpr19
	s_and_saveexec_b32 s45, s43
	s_cbranch_execz .LBB205_24
; %bb.30:                               ;   in Loop: Header=BB205_25 Depth=3
	v_lshl_add_u32 v18, v16, 2, 0
	ds_load_b32 v19, v18
	s_wait_dscnt 0x0
	v_cmp_eq_u32_e32 vcc_lo, v19, v17
	s_or_not1_b32 s44, vcc_lo, exec_lo
	s_branch .LBB205_24
.LBB205_31:
	s_or_b32 exec_lo, exec_lo, s1
.LBB205_32:
	s_delay_alu instid0(SALU_CYCLE_1)
	s_and_not1_b32 vcc_lo, exec_lo, s2
	s_cbranch_vccnz .LBB205_35
; %bb.33:
	s_wait_kmcnt 0x0
	s_ashr_i32 s29, s28, 31
	v_mov_b32_e32 v1, 0
	s_lshl_b64 s[2:3], s[28:29], 3
	s_mov_b32 s1, exec_lo
	s_add_nc_u64 s[2:3], s[4:5], s[2:3]
	s_load_b128 s[12:15], s[2:3], 0x0
	s_wait_xcnt 0x0
	s_mov_b32 s3, 0
	s_mov_b32 s2, s23
	s_delay_alu instid0(SALU_CYCLE_1) | instskip(SKIP_1) | instid1(VALU_DEP_1)
	v_sub_nc_u64_e64 v[2:3], v[0:1], s[2:3]
	s_wait_kmcnt 0x0
	v_add_nc_u64_e32 v[2:3], s[12:13], v[2:3]
	s_sub_nc_u64 s[4:5], s[14:15], s[2:3]
	s_delay_alu instid0(VALU_DEP_1) | instid1(SALU_CYCLE_1)
	v_cmpx_gt_i64_e64 s[4:5], v[2:3]
	s_cbranch_execnz .LBB205_50
.LBB205_34:
	s_or_b32 exec_lo, exec_lo, s1
.LBB205_35:
	s_wait_dscnt 0x0
	s_barrier_signal -1
	s_barrier_wait -1
	s_and_saveexec_b32 s4, s0
	s_cbranch_execz .LBB205_59
; %bb.36:
	v_mbcnt_lo_u32_b32 v2, -1, 0
	v_dual_lshrrev_b32 v3, 4, v0 :: v_dual_mov_b32 v1, 0
	v_cmp_lt_u32_e64 s0, 63, v0
	v_cmp_lt_u32_e64 s1, 0x7f, v0
	s_delay_alu instid0(VALU_DEP_3)
	v_dual_mov_b32 v7, 0 :: v_dual_bitop2_b32 v3, 12, v3 bitop3:0x40
	v_xor_b32_e32 v2, 31, v2
	v_cmp_lt_u32_e64 s2, 0xbf, v0
	v_add3_u32 v6, v14, 0, 0x800
	s_mov_b32 s5, 0
	v_add_nc_u32_e32 v3, 0, v3
	v_lshrrev_b32_e64 v2, v2, -1
	v_cmp_eq_u32_e32 vcc_lo, 0xff, v0
	s_branch .LBB205_38
.LBB205_37:                             ;   in Loop: Header=BB205_38 Depth=1
	s_or_b32 exec_lo, exec_lo, s3
	s_wait_dscnt 0x0
	s_barrier_signal -1
	s_barrier_wait -1
	ds_load_b32 v4, v1 offset:6156
	v_add_co_u32 v12, s3, 0x100, v12
	s_xor_b32 s3, s3, -1
	v_add_nc_u32_e32 v6, 0x800, v6
	v_add_nc_u32_e32 v13, 0x400, v13
	s_and_b32 s3, exec_lo, s3
	s_delay_alu instid0(SALU_CYCLE_1)
	s_or_b32 s5, s3, s5
	s_wait_dscnt 0x0
	v_add_nc_u32_e32 v7, v4, v7
	s_and_not1_b32 exec_lo, exec_lo, s5
	s_cbranch_execz .LBB205_59
.LBB205_38:                             ; =>This Inner Loop Header: Depth=1
	ds_load_b32 v8, v13
	ds_load_2addr_b32 v[4:5], v6 offset1:1
	s_wait_dscnt 0x0
	s_barrier_signal -1
	s_barrier_wait -1
	v_cmp_gt_i32_e64 s3, s33, v8
	s_bcnt1_i32_b32 s6, s3
	s_delay_alu instid0(SALU_CYCLE_1) | instskip(NEXT) | instid1(VALU_DEP_1)
	v_dual_mov_b32 v10, s6 :: v_dual_bitop2_b32 v9, s3, v2 bitop3:0x40
	v_bcnt_u32_b32 v9, v9, 0
	ds_store_b32 v3, v10 offset:6144
	s_wait_dscnt 0x0
	s_barrier_signal -1
	s_barrier_wait -1
	s_and_saveexec_b32 s6, s0
	s_cbranch_execz .LBB205_43
; %bb.39:                               ;   in Loop: Header=BB205_38 Depth=1
	ds_load_b32 v10, v1 offset:6144
	s_wait_dscnt 0x0
	v_add_nc_u32_e32 v9, v10, v9
	s_or_b32 exec_lo, exec_lo, s6
	s_and_saveexec_b32 s6, s1
	s_cbranch_execnz .LBB205_44
.LBB205_40:                             ;   in Loop: Header=BB205_38 Depth=1
	s_or_b32 exec_lo, exec_lo, s6
	s_and_saveexec_b32 s6, s2
	s_cbranch_execz .LBB205_45
.LBB205_41:                             ;   in Loop: Header=BB205_38 Depth=1
	ds_load_b32 v10, v1 offset:6152
	s_wait_dscnt 0x0
	v_add_nc_u32_e32 v9, v10, v9
	s_or_b32 exec_lo, exec_lo, s6
	s_and_saveexec_b32 s6, s3
	s_cbranch_execnz .LBB205_46
.LBB205_42:                             ;   in Loop: Header=BB205_38 Depth=1
	s_or_b32 exec_lo, exec_lo, s6
	s_and_saveexec_b32 s3, vcc_lo
	s_cbranch_execz .LBB205_37
	s_branch .LBB205_47
.LBB205_43:                             ;   in Loop: Header=BB205_38 Depth=1
	s_or_b32 exec_lo, exec_lo, s6
	s_and_saveexec_b32 s6, s1
	s_cbranch_execz .LBB205_40
.LBB205_44:                             ;   in Loop: Header=BB205_38 Depth=1
	ds_load_b32 v10, v1 offset:6148
	s_wait_dscnt 0x0
	v_add_nc_u32_e32 v9, v10, v9
	s_or_b32 exec_lo, exec_lo, s6
	s_and_saveexec_b32 s6, s2
	s_cbranch_execnz .LBB205_41
.LBB205_45:                             ;   in Loop: Header=BB205_38 Depth=1
	s_or_b32 exec_lo, exec_lo, s6
	s_and_saveexec_b32 s6, s3
	s_cbranch_execz .LBB205_42
.LBB205_46:                             ;   in Loop: Header=BB205_38 Depth=1
	s_delay_alu instid0(VALU_DEP_1) | instskip(SKIP_1) | instid1(VALU_DEP_2)
	v_add3_u32 v10, v7, -1, v9
	v_add_lshl_u32 v11, v7, v9, 3
	v_lshl_add_u32 v10, v10, 2, 0
	s_delay_alu instid0(VALU_DEP_2)
	v_add3_u32 v11, 0, v11, 0x7f8
	ds_store_b32 v10, v8
	ds_store_2addr_b32 v11, v4, v5 offset1:1
	s_or_b32 exec_lo, exec_lo, s6
	s_and_saveexec_b32 s3, vcc_lo
	s_cbranch_execz .LBB205_37
.LBB205_47:                             ;   in Loop: Header=BB205_38 Depth=1
	ds_store_b32 v1, v9 offset:6156
	s_branch .LBB205_37
.LBB205_48:                             ;   in Loop: Header=BB205_50 Depth=1
	s_or_b32 exec_lo, exec_lo, s12
.LBB205_49:                             ;   in Loop: Header=BB205_50 Depth=1
	s_delay_alu instid0(SALU_CYCLE_1)
	s_or_b32 exec_lo, exec_lo, s2
	s_wait_loadcnt 0x0
	v_mul_f32_e64 v6, v5, -s39
	v_mul_f32_e32 v5, s38, v5
	v_lshl_add_u32 v1, v1, 3, 0
	v_add_nc_u64_e32 v[2:3], 0x100, v[2:3]
	s_delay_alu instid0(VALU_DEP_3) | instskip(SKIP_4) | instid1(SALU_CYCLE_1)
	v_dual_fmac_f32 v6, s38, v4 :: v_dual_fmac_f32 v5, s39, v4
	ds_add_f32 v1, v6 offset:2048
	ds_add_f32 v1, v5 offset:2052
	v_cmp_le_i64_e32 vcc_lo, s[4:5], v[2:3]
	s_or_b32 s3, vcc_lo, s3
	s_and_not1_b32 exec_lo, exec_lo, s3
	s_cbranch_execz .LBB205_34
.LBB205_50:                             ; =>This Loop Header: Depth=1
                                        ;     Child Loop BB205_53 Depth 2
	v_lshl_add_u64 v[4:5], v[2:3], 2, s[6:7]
	s_mov_b32 s2, exec_lo
	global_load_b32 v1, v[4:5], off
	s_wait_xcnt 0x0
	v_lshl_add_u64 v[4:5], v[2:3], 3, s[8:9]
	global_load_b64 v[4:5], v[4:5], off
	s_wait_loadcnt 0x1
	v_subrev_nc_u32_e32 v6, s23, v1
	s_delay_alu instid0(VALU_DEP_1) | instskip(NEXT) | instid1(VALU_DEP_1)
	v_mul_lo_u32 v1, 0x89, v6
	v_and_b32_e32 v1, 0x1ff, v1
	s_delay_alu instid0(VALU_DEP_1)
	v_lshl_add_u32 v7, v1, 2, 0
	ds_load_b32 v8, v7
	s_wait_dscnt 0x0
	s_wait_xcnt 0x0
	v_cmpx_ne_u32_e64 v8, v6
	s_cbranch_execz .LBB205_49
; %bb.51:                               ;   in Loop: Header=BB205_50 Depth=1
	s_mov_b32 s12, 0
	s_branch .LBB205_53
.LBB205_52:                             ;   in Loop: Header=BB205_53 Depth=2
	s_or_b32 exec_lo, exec_lo, s15
	s_delay_alu instid0(SALU_CYCLE_1) | instskip(NEXT) | instid1(SALU_CYCLE_1)
	s_and_b32 s13, exec_lo, s14
	s_or_b32 s12, s13, s12
	s_delay_alu instid0(SALU_CYCLE_1)
	s_and_not1_b32 exec_lo, exec_lo, s12
	s_cbranch_execz .LBB205_48
.LBB205_53:                             ;   Parent Loop BB205_50 Depth=1
                                        ; =>  This Inner Loop Header: Depth=2
	s_mov_b32 s13, 0
	s_mov_b32 s14, exec_lo
	v_cmpx_ne_u32_e64 s33, v8
	s_xor_b32 s14, exec_lo, s14
	s_cbranch_execz .LBB205_55
; %bb.54:                               ;   in Loop: Header=BB205_53 Depth=2
	v_add_nc_u32_e32 v1, 1, v1
	s_mov_b32 s13, exec_lo
                                        ; implicit-def: $vgpr7
	s_delay_alu instid0(VALU_DEP_1)
	v_and_b32_e32 v1, 0x1ff, v1
	s_and_not1_saveexec_b32 s14, s14
	s_cbranch_execz .LBB205_57
	s_branch .LBB205_56
.LBB205_55:                             ;   in Loop: Header=BB205_53 Depth=2
	s_and_not1_saveexec_b32 s14, s14
	s_cbranch_execz .LBB205_57
.LBB205_56:                             ;   in Loop: Header=BB205_53 Depth=2
	v_mov_b32_e32 v8, s33
	s_and_not1_b32 s13, s13, exec_lo
	ds_cmpstore_rtn_b32 v7, v7, v6, v8
	s_wait_dscnt 0x0
	v_cmp_ne_u32_e32 vcc_lo, s33, v7
	s_and_b32 s15, vcc_lo, exec_lo
	s_delay_alu instid0(SALU_CYCLE_1)
	s_or_b32 s13, s13, s15
.LBB205_57:                             ;   in Loop: Header=BB205_53 Depth=2
	s_or_b32 exec_lo, exec_lo, s14
	s_mov_b32 s14, -1
                                        ; implicit-def: $vgpr7
                                        ; implicit-def: $vgpr8
	s_and_saveexec_b32 s15, s13
	s_cbranch_execz .LBB205_52
; %bb.58:                               ;   in Loop: Header=BB205_53 Depth=2
	v_lshl_add_u32 v7, v1, 2, 0
	ds_load_b32 v8, v7
	s_wait_dscnt 0x0
	v_cmp_eq_u32_e32 vcc_lo, v8, v6
	s_or_not1_b32 s14, vcc_lo, exec_lo
	s_branch .LBB205_52
.LBB205_59:
	s_or_b32 exec_lo, exec_lo, s4
	s_wait_kmcnt 0x0
	s_ashr_i32 s29, s28, 31
	s_delay_alu instid0(SALU_CYCLE_1) | instskip(NEXT) | instid1(SALU_CYCLE_1)
	s_lshl_b64 s[0:1], s[28:29], 3
	s_add_nc_u64 s[4:5], s[10:11], s[0:1]
	s_load_b128 s[0:3], s[4:5], 0x0
	s_wait_xcnt 0x0
	s_mov_b32 s4, exec_lo
	s_wait_kmcnt 0x0
	s_sub_co_i32 s3, s2, s0
	s_delay_alu instid0(SALU_CYCLE_1)
	v_cmpx_gt_i32_e64 s3, v0
	s_cbranch_execz .LBB205_69
; %bb.60:
	s_sub_co_i32 s4, s0, s2
	s_and_b32 s2, s3, 7
	s_cmp_lt_u32 s4, -7
	s_mov_b32 s23, 0
	s_cselect_b32 s4, -1, 0
	s_and_b32 s5, s3, -8
	s_cmp_lg_u32 s2, 0
	s_sub_nc_u64 s[0:1], s[0:1], s[22:23]
	s_cselect_b32 s6, -1, 0
	s_mov_b32 s7, 0
	s_branch .LBB205_62
.LBB205_61:                             ;   in Loop: Header=BB205_62 Depth=1
	v_add_nc_u32_e32 v0, 0x100, v0
	s_delay_alu instid0(VALU_DEP_2) | instskip(NEXT) | instid1(VALU_DEP_2)
	v_lshl_add_u64 v[4:5], v[4:5], 3, s[34:35]
	v_cmp_le_i32_e32 vcc_lo, s3, v0
	s_wait_dscnt 0x0
	global_store_b64 v[4:5], v[2:3], off
	s_or_b32 s7, vcc_lo, s7
	s_wait_xcnt 0x0
	s_and_not1_b32 exec_lo, exec_lo, s7
	s_cbranch_execz .LBB205_69
.LBB205_62:                             ; =>This Loop Header: Depth=1
                                        ;     Child Loop BB205_64 Depth 2
                                        ;     Child Loop BB205_68 Depth 2
	v_lshlrev_b32_e32 v1, 2, v0
	v_mov_b64_e32 v[4:5], s[0:1]
	s_and_not1_b32 vcc_lo, exec_lo, s4
	s_mov_b32 s8, 0
	s_delay_alu instid0(VALU_DEP_2) | instskip(NEXT) | instid1(VALU_DEP_1)
	v_add_nc_u32_e32 v2, 0, v1
	v_add3_u32 v3, v2, v1, 0x800
	ds_load_b32 v1, v2
	ds_load_2addr_b32 v[2:3], v3 offset1:1
	s_cbranch_vccnz .LBB205_66
; %bb.63:                               ;   in Loop: Header=BB205_62 Depth=1
	v_mov_b64_e32 v[4:5], s[0:1]
	s_mov_b32 s9, 0
.LBB205_64:                             ;   Parent Loop BB205_62 Depth=1
                                        ; =>  This Inner Loop Header: Depth=2
	s_delay_alu instid0(SALU_CYCLE_1)
	v_dual_mov_b32 v10, s9 :: v_dual_mov_b32 v11, s23
	v_mov_b32_e32 v17, s23
	s_add_co_i32 s8, s8, 8
	s_add_co_i32 s9, s9, 32
	ds_load_2addr_b32 v[6:7], v10 offset1:1
	ds_load_2addr_b32 v[8:9], v10 offset0:2 offset1:3
	ds_load_2addr_b32 v[12:13], v10 offset0:4 offset1:5
	;; [unrolled: 1-line block ×3, first 2 shown]
	s_cmp_eq_u32 s5, s8
	s_wait_dscnt 0x3
	v_cmp_gt_i32_e32 vcc_lo, v1, v6
	v_cndmask_b32_e64 v10, 0, 1, vcc_lo
	v_cmp_gt_i32_e32 vcc_lo, v1, v7
	v_mov_b32_e32 v7, s23
	s_delay_alu instid0(VALU_DEP_3) | instskip(SKIP_4) | instid1(VALU_DEP_3)
	v_add_nc_u64_e32 v[4:5], v[4:5], v[10:11]
	v_cndmask_b32_e64 v16, 0, 1, vcc_lo
	s_wait_dscnt 0x2
	v_cmp_gt_i32_e32 vcc_lo, v1, v8
	v_cndmask_b32_e64 v6, 0, 1, vcc_lo
	v_add_nc_u64_e32 v[4:5], v[4:5], v[16:17]
	v_cmp_gt_i32_e32 vcc_lo, v1, v9
	v_mov_b32_e32 v9, s23
	v_cndmask_b32_e64 v10, 0, 1, vcc_lo
	s_delay_alu instid0(VALU_DEP_4) | instskip(SKIP_3) | instid1(VALU_DEP_3)
	v_add_nc_u64_e32 v[4:5], v[4:5], v[6:7]
	s_wait_dscnt 0x1
	v_cmp_gt_i32_e32 vcc_lo, v1, v12
	v_cndmask_b32_e64 v6, 0, 1, vcc_lo
	v_add_nc_u64_e32 v[4:5], v[4:5], v[10:11]
	v_cmp_gt_i32_e32 vcc_lo, v1, v13
	v_cndmask_b32_e64 v8, 0, 1, vcc_lo
	s_delay_alu instid0(VALU_DEP_3) | instskip(SKIP_3) | instid1(VALU_DEP_3)
	v_add_nc_u64_e32 v[4:5], v[4:5], v[6:7]
	s_wait_dscnt 0x0
	v_cmp_gt_i32_e32 vcc_lo, v1, v14
	v_cndmask_b32_e64 v6, 0, 1, vcc_lo
	v_add_nc_u64_e32 v[4:5], v[4:5], v[8:9]
	v_cmp_gt_i32_e32 vcc_lo, v1, v15
	v_cndmask_b32_e64 v8, 0, 1, vcc_lo
	s_delay_alu instid0(VALU_DEP_3) | instskip(NEXT) | instid1(VALU_DEP_1)
	v_add_nc_u64_e32 v[4:5], v[4:5], v[6:7]
	v_add_nc_u64_e32 v[4:5], v[4:5], v[8:9]
	s_cbranch_scc0 .LBB205_64
; %bb.65:                               ;   in Loop: Header=BB205_62 Depth=1
	s_mov_b32 s8, s5
.LBB205_66:                             ;   in Loop: Header=BB205_62 Depth=1
	s_and_not1_b32 vcc_lo, exec_lo, s6
	s_cbranch_vccnz .LBB205_61
; %bb.67:                               ;   in Loop: Header=BB205_62 Depth=1
	s_lshl_b32 s8, s8, 2
	s_mov_b32 s9, s2
	s_add_co_i32 s8, s8, 0
.LBB205_68:                             ;   Parent Loop BB205_62 Depth=1
                                        ; =>  This Inner Loop Header: Depth=2
	s_delay_alu instid0(SALU_CYCLE_1)
	v_dual_mov_b32 v6, s8 :: v_dual_mov_b32 v7, s23
	s_add_co_i32 s9, s9, -1
	s_add_co_i32 s8, s8, 4
	s_cmp_lg_u32 s9, 0
	ds_load_b32 v6, v6
	s_wait_dscnt 0x0
	v_cmp_gt_i32_e32 vcc_lo, v1, v6
	v_cndmask_b32_e64 v6, 0, 1, vcc_lo
	s_delay_alu instid0(VALU_DEP_1)
	v_add_nc_u64_e32 v[4:5], v[4:5], v[6:7]
	s_cbranch_scc1 .LBB205_68
	s_branch .LBB205_61
.LBB205_69:
	s_endpgm
	.section	.rodata,"a",@progbits
	.p2align	6, 0x0
	.amdhsa_kernel _ZN9rocsparseL41csrgemm_numeric_fill_block_per_row_kernelILj256ELj32ELj512ELj137ELj64Eli21rocsparse_complex_numIfEEEvT5_PKS3_S5_NS_24const_host_device_scalarIT6_EEPKT4_S5_PKS7_SB_S5_SD_S8_SB_S5_SD_SB_S5_PS7_21rocsparse_index_base_SF_SF_SF_bbb
		.amdhsa_group_segment_fixed_size 0
		.amdhsa_private_segment_fixed_size 0
		.amdhsa_kernarg_size 156
		.amdhsa_user_sgpr_count 2
		.amdhsa_user_sgpr_dispatch_ptr 0
		.amdhsa_user_sgpr_queue_ptr 0
		.amdhsa_user_sgpr_kernarg_segment_ptr 1
		.amdhsa_user_sgpr_dispatch_id 0
		.amdhsa_user_sgpr_kernarg_preload_length 0
		.amdhsa_user_sgpr_kernarg_preload_offset 0
		.amdhsa_user_sgpr_private_segment_size 0
		.amdhsa_wavefront_size32 1
		.amdhsa_uses_dynamic_stack 0
		.amdhsa_enable_private_segment 0
		.amdhsa_system_sgpr_workgroup_id_x 1
		.amdhsa_system_sgpr_workgroup_id_y 0
		.amdhsa_system_sgpr_workgroup_id_z 0
		.amdhsa_system_sgpr_workgroup_info 0
		.amdhsa_system_vgpr_workitem_id 0
		.amdhsa_next_free_vgpr 20
		.amdhsa_next_free_sgpr 48
		.amdhsa_named_barrier_count 0
		.amdhsa_reserve_vcc 1
		.amdhsa_float_round_mode_32 0
		.amdhsa_float_round_mode_16_64 0
		.amdhsa_float_denorm_mode_32 3
		.amdhsa_float_denorm_mode_16_64 3
		.amdhsa_fp16_overflow 0
		.amdhsa_memory_ordered 1
		.amdhsa_forward_progress 1
		.amdhsa_inst_pref_size 22
		.amdhsa_round_robin_scheduling 0
		.amdhsa_exception_fp_ieee_invalid_op 0
		.amdhsa_exception_fp_denorm_src 0
		.amdhsa_exception_fp_ieee_div_zero 0
		.amdhsa_exception_fp_ieee_overflow 0
		.amdhsa_exception_fp_ieee_underflow 0
		.amdhsa_exception_fp_ieee_inexact 0
		.amdhsa_exception_int_div_zero 0
	.end_amdhsa_kernel
	.section	.text._ZN9rocsparseL41csrgemm_numeric_fill_block_per_row_kernelILj256ELj32ELj512ELj137ELj64Eli21rocsparse_complex_numIfEEEvT5_PKS3_S5_NS_24const_host_device_scalarIT6_EEPKT4_S5_PKS7_SB_S5_SD_S8_SB_S5_SD_SB_S5_PS7_21rocsparse_index_base_SF_SF_SF_bbb,"axG",@progbits,_ZN9rocsparseL41csrgemm_numeric_fill_block_per_row_kernelILj256ELj32ELj512ELj137ELj64Eli21rocsparse_complex_numIfEEEvT5_PKS3_S5_NS_24const_host_device_scalarIT6_EEPKT4_S5_PKS7_SB_S5_SD_S8_SB_S5_SD_SB_S5_PS7_21rocsparse_index_base_SF_SF_SF_bbb,comdat
.Lfunc_end205:
	.size	_ZN9rocsparseL41csrgemm_numeric_fill_block_per_row_kernelILj256ELj32ELj512ELj137ELj64Eli21rocsparse_complex_numIfEEEvT5_PKS3_S5_NS_24const_host_device_scalarIT6_EEPKT4_S5_PKS7_SB_S5_SD_S8_SB_S5_SD_SB_S5_PS7_21rocsparse_index_base_SF_SF_SF_bbb, .Lfunc_end205-_ZN9rocsparseL41csrgemm_numeric_fill_block_per_row_kernelILj256ELj32ELj512ELj137ELj64Eli21rocsparse_complex_numIfEEEvT5_PKS3_S5_NS_24const_host_device_scalarIT6_EEPKT4_S5_PKS7_SB_S5_SD_S8_SB_S5_SD_SB_S5_PS7_21rocsparse_index_base_SF_SF_SF_bbb
                                        ; -- End function
	.set _ZN9rocsparseL41csrgemm_numeric_fill_block_per_row_kernelILj256ELj32ELj512ELj137ELj64Eli21rocsparse_complex_numIfEEEvT5_PKS3_S5_NS_24const_host_device_scalarIT6_EEPKT4_S5_PKS7_SB_S5_SD_S8_SB_S5_SD_SB_S5_PS7_21rocsparse_index_base_SF_SF_SF_bbb.num_vgpr, 20
	.set _ZN9rocsparseL41csrgemm_numeric_fill_block_per_row_kernelILj256ELj32ELj512ELj137ELj64Eli21rocsparse_complex_numIfEEEvT5_PKS3_S5_NS_24const_host_device_scalarIT6_EEPKT4_S5_PKS7_SB_S5_SD_S8_SB_S5_SD_SB_S5_PS7_21rocsparse_index_base_SF_SF_SF_bbb.num_agpr, 0
	.set _ZN9rocsparseL41csrgemm_numeric_fill_block_per_row_kernelILj256ELj32ELj512ELj137ELj64Eli21rocsparse_complex_numIfEEEvT5_PKS3_S5_NS_24const_host_device_scalarIT6_EEPKT4_S5_PKS7_SB_S5_SD_S8_SB_S5_SD_SB_S5_PS7_21rocsparse_index_base_SF_SF_SF_bbb.numbered_sgpr, 48
	.set _ZN9rocsparseL41csrgemm_numeric_fill_block_per_row_kernelILj256ELj32ELj512ELj137ELj64Eli21rocsparse_complex_numIfEEEvT5_PKS3_S5_NS_24const_host_device_scalarIT6_EEPKT4_S5_PKS7_SB_S5_SD_S8_SB_S5_SD_SB_S5_PS7_21rocsparse_index_base_SF_SF_SF_bbb.num_named_barrier, 0
	.set _ZN9rocsparseL41csrgemm_numeric_fill_block_per_row_kernelILj256ELj32ELj512ELj137ELj64Eli21rocsparse_complex_numIfEEEvT5_PKS3_S5_NS_24const_host_device_scalarIT6_EEPKT4_S5_PKS7_SB_S5_SD_S8_SB_S5_SD_SB_S5_PS7_21rocsparse_index_base_SF_SF_SF_bbb.private_seg_size, 0
	.set _ZN9rocsparseL41csrgemm_numeric_fill_block_per_row_kernelILj256ELj32ELj512ELj137ELj64Eli21rocsparse_complex_numIfEEEvT5_PKS3_S5_NS_24const_host_device_scalarIT6_EEPKT4_S5_PKS7_SB_S5_SD_S8_SB_S5_SD_SB_S5_PS7_21rocsparse_index_base_SF_SF_SF_bbb.uses_vcc, 1
	.set _ZN9rocsparseL41csrgemm_numeric_fill_block_per_row_kernelILj256ELj32ELj512ELj137ELj64Eli21rocsparse_complex_numIfEEEvT5_PKS3_S5_NS_24const_host_device_scalarIT6_EEPKT4_S5_PKS7_SB_S5_SD_S8_SB_S5_SD_SB_S5_PS7_21rocsparse_index_base_SF_SF_SF_bbb.uses_flat_scratch, 0
	.set _ZN9rocsparseL41csrgemm_numeric_fill_block_per_row_kernelILj256ELj32ELj512ELj137ELj64Eli21rocsparse_complex_numIfEEEvT5_PKS3_S5_NS_24const_host_device_scalarIT6_EEPKT4_S5_PKS7_SB_S5_SD_S8_SB_S5_SD_SB_S5_PS7_21rocsparse_index_base_SF_SF_SF_bbb.has_dyn_sized_stack, 0
	.set _ZN9rocsparseL41csrgemm_numeric_fill_block_per_row_kernelILj256ELj32ELj512ELj137ELj64Eli21rocsparse_complex_numIfEEEvT5_PKS3_S5_NS_24const_host_device_scalarIT6_EEPKT4_S5_PKS7_SB_S5_SD_S8_SB_S5_SD_SB_S5_PS7_21rocsparse_index_base_SF_SF_SF_bbb.has_recursion, 0
	.set _ZN9rocsparseL41csrgemm_numeric_fill_block_per_row_kernelILj256ELj32ELj512ELj137ELj64Eli21rocsparse_complex_numIfEEEvT5_PKS3_S5_NS_24const_host_device_scalarIT6_EEPKT4_S5_PKS7_SB_S5_SD_S8_SB_S5_SD_SB_S5_PS7_21rocsparse_index_base_SF_SF_SF_bbb.has_indirect_call, 0
	.section	.AMDGPU.csdata,"",@progbits
; Kernel info:
; codeLenInByte = 2796
; TotalNumSgprs: 50
; NumVgprs: 20
; ScratchSize: 0
; MemoryBound: 0
; FloatMode: 240
; IeeeMode: 1
; LDSByteSize: 0 bytes/workgroup (compile time only)
; SGPRBlocks: 0
; VGPRBlocks: 1
; NumSGPRsForWavesPerEU: 50
; NumVGPRsForWavesPerEU: 20
; NamedBarCnt: 0
; Occupancy: 16
; WaveLimiterHint : 1
; COMPUTE_PGM_RSRC2:SCRATCH_EN: 0
; COMPUTE_PGM_RSRC2:USER_SGPR: 2
; COMPUTE_PGM_RSRC2:TRAP_HANDLER: 0
; COMPUTE_PGM_RSRC2:TGID_X_EN: 1
; COMPUTE_PGM_RSRC2:TGID_Y_EN: 0
; COMPUTE_PGM_RSRC2:TGID_Z_EN: 0
; COMPUTE_PGM_RSRC2:TIDIG_COMP_CNT: 0
	.section	.text._ZN9rocsparseL41csrgemm_numeric_fill_block_per_row_kernelILj512ELj32ELj1024ELj137ELj32Eli21rocsparse_complex_numIfEEEvT5_PKS3_S5_NS_24const_host_device_scalarIT6_EEPKT4_S5_PKS7_SB_S5_SD_S8_SB_S5_SD_SB_S5_PS7_21rocsparse_index_base_SF_SF_SF_bbb,"axG",@progbits,_ZN9rocsparseL41csrgemm_numeric_fill_block_per_row_kernelILj512ELj32ELj1024ELj137ELj32Eli21rocsparse_complex_numIfEEEvT5_PKS3_S5_NS_24const_host_device_scalarIT6_EEPKT4_S5_PKS7_SB_S5_SD_S8_SB_S5_SD_SB_S5_PS7_21rocsparse_index_base_SF_SF_SF_bbb,comdat
	.globl	_ZN9rocsparseL41csrgemm_numeric_fill_block_per_row_kernelILj512ELj32ELj1024ELj137ELj32Eli21rocsparse_complex_numIfEEEvT5_PKS3_S5_NS_24const_host_device_scalarIT6_EEPKT4_S5_PKS7_SB_S5_SD_S8_SB_S5_SD_SB_S5_PS7_21rocsparse_index_base_SF_SF_SF_bbb ; -- Begin function _ZN9rocsparseL41csrgemm_numeric_fill_block_per_row_kernelILj512ELj32ELj1024ELj137ELj32Eli21rocsparse_complex_numIfEEEvT5_PKS3_S5_NS_24const_host_device_scalarIT6_EEPKT4_S5_PKS7_SB_S5_SD_S8_SB_S5_SD_SB_S5_PS7_21rocsparse_index_base_SF_SF_SF_bbb
	.p2align	8
	.type	_ZN9rocsparseL41csrgemm_numeric_fill_block_per_row_kernelILj512ELj32ELj1024ELj137ELj32Eli21rocsparse_complex_numIfEEEvT5_PKS3_S5_NS_24const_host_device_scalarIT6_EEPKT4_S5_PKS7_SB_S5_SD_S8_SB_S5_SD_SB_S5_PS7_21rocsparse_index_base_SF_SF_SF_bbb,@function
_ZN9rocsparseL41csrgemm_numeric_fill_block_per_row_kernelILj512ELj32ELj1024ELj137ELj32Eli21rocsparse_complex_numIfEEEvT5_PKS3_S5_NS_24const_host_device_scalarIT6_EEPKT4_S5_PKS7_SB_S5_SD_S8_SB_S5_SD_SB_S5_PS7_21rocsparse_index_base_SF_SF_SF_bbb: ; @_ZN9rocsparseL41csrgemm_numeric_fill_block_per_row_kernelILj512ELj32ELj1024ELj137ELj32Eli21rocsparse_complex_numIfEEEvT5_PKS3_S5_NS_24const_host_device_scalarIT6_EEPKT4_S5_PKS7_SB_S5_SD_S8_SB_S5_SD_SB_S5_PS7_21rocsparse_index_base_SF_SF_SF_bbb
; %bb.0:
	s_clause 0x3
	s_load_b32 s33, s[0:1], 0x98
	s_load_b128 s[20:23], s[0:1], 0x88
	s_load_b128 s[28:31], s[0:1], 0x8
	s_load_b64 s[36:37], s[0:1], 0x50
	s_mov_b32 s3, 0
	s_mov_b32 s40, 0
	s_wait_kmcnt 0x0
	s_bitcmp1_b32 s33, 0
	s_cselect_b32 s41, -1, 0
	s_bitcmp1_b32 s33, 16
	s_cselect_b32 s2, -1, 0
	s_delay_alu instid0(SALU_CYCLE_1) | instskip(SKIP_2) | instid1(VALU_DEP_1)
	s_xor_b32 s4, s2, -1
	s_bitcmp0_b32 s33, 0
	v_cndmask_b32_e64 v1, 0, 1, s4
	v_cmp_ne_u32_e32 vcc_lo, 1, v1
	s_cbranch_scc1 .LBB206_5
; %bb.1:
	s_load_b64 s[2:3], s[0:1], 0x18
	s_and_b32 vcc_lo, exec_lo, vcc_lo
	s_wait_kmcnt 0x0
	s_mov_b32 s40, s2
	s_cbranch_vccnz .LBB206_3
; %bb.2:
	s_load_b32 s40, s[2:3], 0x0
.LBB206_3:
	s_and_not1_b32 vcc_lo, exec_lo, s4
	s_cbranch_vccnz .LBB206_5
; %bb.4:
	s_wait_xcnt 0x0
	s_load_b32 s3, s[2:3], 0x4
.LBB206_5:
	s_clause 0x3
	s_load_b64 s[34:35], s[0:1], 0x80
	s_load_b256 s[12:19], s[0:1], 0x58
	s_load_b128 s[24:27], s[0:1], 0x40
	s_load_b256 s[4:11], s[0:1], 0x20
	s_bitcmp1_b32 s33, 8
	s_mov_b32 s38, 0
	s_wait_xcnt 0x0
	s_cselect_b32 s2, -1, 0
	s_bfe_u32 s33, s33, 0x10008
	s_mov_b32 s39, 0
	s_cmp_eq_u32 s33, 0
	s_cbranch_scc1 .LBB206_11
; %bb.6:
	v_cmp_ne_u32_e32 vcc_lo, 1, v1
	s_mov_b32 s38, s36
	s_cbranch_vccnz .LBB206_8
; %bb.7:
	s_load_b32 s38, s[36:37], 0x0
.LBB206_8:
	v_cmp_ne_u32_e32 vcc_lo, 1, v1
	s_cbranch_vccnz .LBB206_10
; %bb.9:
	s_wait_xcnt 0x0
	s_load_b32 s37, s[36:37], 0x4
.LBB206_10:
	s_wait_kmcnt 0x0
	s_mov_b32 s39, s37
.LBB206_11:
	s_load_b32 s33, s[0:1], 0x0
	v_lshl_add_u32 v14, v0, 2, 0
	v_lshlrev_b32_e32 v1, 3, v0
	v_or_b32_e32 v15, 0xfffffe00, v0
	s_wait_xcnt 0x0
	s_mov_b32 s0, 0
	v_mov_b32_e32 v2, v14
	v_add3_u32 v16, v1, 0, 0x1000
	v_dual_mov_b32 v1, 0 :: v_dual_mov_b32 v3, v15
	s_wait_kmcnt 0x0
	s_delay_alu instid0(VALU_DEP_2)
	v_dual_mov_b32 v5, v16 :: v_dual_mov_b32 v4, s33
.LBB206_12:                             ; =>This Inner Loop Header: Depth=1
	s_delay_alu instid0(VALU_DEP_2)
	v_add_co_u32 v3, s1, 0x200, v3
	s_xor_b32 s1, s1, -1
	ds_store_b32 v2, v4
	ds_store_2addr_b32 v5, v1, v1 offset1:1
	v_add_nc_u32_e32 v5, 0x1000, v5
	v_add_nc_u32_e32 v2, 0x800, v2
	s_and_b32 s1, exec_lo, s1
	s_delay_alu instid0(SALU_CYCLE_1) | instskip(NEXT) | instid1(SALU_CYCLE_1)
	s_or_b32 s0, s1, s0
	s_and_not1_b32 exec_lo, exec_lo, s0
	s_cbranch_execnz .LBB206_12
; %bb.13:
	s_or_b32 exec_lo, exec_lo, s0
	s_wait_dscnt 0x0
	s_barrier_signal -1
	s_barrier_wait -1
	s_load_b32 s0, s[28:29], 0x0
	s_bfe_u32 s1, ttmp6, 0x4000c
	s_wait_xcnt 0x0
	s_and_b32 s28, ttmp6, 15
	s_add_co_i32 s1, s1, 1
	s_getreg_b32 s29, hwreg(HW_REG_IB_STS2, 6, 4)
	s_mul_i32 s1, ttmp9, s1
	v_lshrrev_b32_e32 v2, 5, v0
	s_add_co_i32 s28, s28, s1
	s_cmp_eq_u32 s29, 0
	s_cselect_b32 s1, ttmp9, s28
	s_and_b32 vcc_lo, exec_lo, s41
	s_wait_kmcnt 0x0
	s_add_co_i32 s0, s0, s1
	s_mov_b32 s1, 0
	s_load_b32 s28, s[30:31], s0 offset:0x0 scale_offset
	s_cbranch_vccz .LBB206_31
; %bb.14:
	s_wait_kmcnt 0x0
	s_ashr_i32 s29, s28, 31
	v_mov_b32_e32 v3, 0
	s_lshl_b64 s[30:31], s[28:29], 3
	s_mov_b32 s0, s20
	s_add_nc_u64 s[4:5], s[4:5], s[30:31]
	s_mov_b32 s29, exec_lo
	s_load_b128 s[44:47], s[4:5], 0x0
	v_sub_nc_u64_e64 v[4:5], v[2:3], s[0:1]
	s_wait_kmcnt 0x0
	s_delay_alu instid0(VALU_DEP_1)
	v_add_nc_u64_e32 v[4:5], s[44:45], v[4:5]
	s_sub_nc_u64 s[0:1], s[46:47], s[0:1]
	s_delay_alu instid0(VALU_DEP_1) | instid1(SALU_CYCLE_1)
	v_cmpx_gt_i64_e64 s[0:1], v[4:5]
	s_cbranch_execz .LBB206_30
; %bb.15:
	v_dual_mov_b32 v7, v3 :: v_dual_bitop2_b32 v6, 31, v0 bitop3:0x40
	s_mov_b32 s5, 0
	s_mov_b32 s4, s21
	;; [unrolled: 1-line block ×3, first 2 shown]
	s_delay_alu instid0(VALU_DEP_1)
	v_sub_nc_u64_e64 v[6:7], v[6:7], s[4:5]
	s_branch .LBB206_17
.LBB206_16:                             ;   in Loop: Header=BB206_17 Depth=1
	s_or_b32 exec_lo, exec_lo, s31
	v_add_nc_u64_e32 v[4:5], 16, v[4:5]
	s_delay_alu instid0(VALU_DEP_1) | instskip(SKIP_1) | instid1(SALU_CYCLE_1)
	v_cmp_le_i64_e32 vcc_lo, s[0:1], v[4:5]
	s_or_b32 s30, vcc_lo, s30
	s_and_not1_b32 exec_lo, exec_lo, s30
	s_cbranch_execz .LBB206_30
.LBB206_17:                             ; =>This Loop Header: Depth=1
                                        ;     Child Loop BB206_21 Depth 2
                                        ;       Child Loop BB206_24 Depth 3
	v_lshl_add_u64 v[8:9], v[4:5], 2, s[6:7]
	s_mov_b32 s31, exec_lo
	global_load_b32 v1, v[8:9], off
	s_wait_loadcnt 0x0
	s_wait_xcnt 0x0
	v_subrev_nc_u32_e32 v8, s20, v1
	s_delay_alu instid0(VALU_DEP_1) | instskip(NEXT) | instid1(VALU_DEP_1)
	v_ashrrev_i32_e32 v9, 31, v8
	v_lshl_add_u64 v[8:9], v[8:9], 3, s[10:11]
	global_load_b128 v[10:13], v[8:9], off
	s_wait_loadcnt 0x0
	s_wait_xcnt 0x0
	v_sub_nc_u64_e64 v[8:9], v[12:13], s[4:5]
	v_add_nc_u64_e32 v[10:11], v[10:11], v[6:7]
	s_delay_alu instid0(VALU_DEP_1)
	v_cmpx_lt_i64_e64 v[10:11], v[8:9]
	s_cbranch_execz .LBB206_16
; %bb.18:                               ;   in Loop: Header=BB206_17 Depth=1
	v_lshl_add_u64 v[12:13], v[4:5], 3, s[8:9]
	s_mov_b32 s36, 0
	global_load_b64 v[12:13], v[12:13], off
	s_wait_loadcnt 0x0
	v_mul_f32_e64 v1, v13, -s3
	s_delay_alu instid0(VALU_DEP_1) | instskip(NEXT) | instid1(VALU_DEP_1)
	v_dual_mul_f32 v3, s40, v13 :: v_dual_fmac_f32 v1, s40, v12
	v_fmac_f32_e32 v3, s3, v12
	s_branch .LBB206_21
.LBB206_19:                             ;   in Loop: Header=BB206_21 Depth=2
	s_or_b32 exec_lo, exec_lo, s41
.LBB206_20:                             ;   in Loop: Header=BB206_21 Depth=2
	s_delay_alu instid0(SALU_CYCLE_1)
	s_or_b32 exec_lo, exec_lo, s37
	s_wait_loadcnt 0x0
	v_mul_f32_e64 v18, v13, -v3
	v_mul_f32_e32 v13, v1, v13
	v_lshl_add_u32 v17, v17, 3, 0
	v_add_nc_u64_e32 v[10:11], 32, v[10:11]
	s_delay_alu instid0(VALU_DEP_3) | instskip(SKIP_4) | instid1(SALU_CYCLE_1)
	v_dual_fmac_f32 v13, v3, v12 :: v_dual_fmac_f32 v18, v1, v12
	ds_add_f32 v17, v18 offset:4096
	ds_add_f32 v17, v13 offset:4100
	v_cmp_ge_i64_e32 vcc_lo, v[10:11], v[8:9]
	s_or_b32 s36, vcc_lo, s36
	s_and_not1_b32 exec_lo, exec_lo, s36
	s_cbranch_execz .LBB206_16
.LBB206_21:                             ;   Parent Loop BB206_17 Depth=1
                                        ; =>  This Loop Header: Depth=2
                                        ;       Child Loop BB206_24 Depth 3
	s_wait_xcnt 0x0
	v_lshl_add_u64 v[12:13], v[10:11], 2, s[24:25]
	s_mov_b32 s37, exec_lo
	global_load_b32 v17, v[12:13], off
	s_wait_xcnt 0x0
	v_lshl_add_u64 v[12:13], v[10:11], 3, s[26:27]
	global_load_b64 v[12:13], v[12:13], off
	s_wait_loadcnt 0x1
	v_subrev_nc_u32_e32 v18, s21, v17
	s_delay_alu instid0(VALU_DEP_1) | instskip(NEXT) | instid1(VALU_DEP_1)
	v_mul_lo_u32 v17, 0x89, v18
	v_and_b32_e32 v17, 0x3ff, v17
	s_delay_alu instid0(VALU_DEP_1)
	v_lshl_add_u32 v19, v17, 2, 0
	ds_load_b32 v20, v19
	s_wait_dscnt 0x0
	s_wait_xcnt 0x0
	v_cmpx_ne_u32_e64 v20, v18
	s_cbranch_execz .LBB206_20
; %bb.22:                               ;   in Loop: Header=BB206_21 Depth=2
	s_mov_b32 s41, 0
	s_branch .LBB206_24
.LBB206_23:                             ;   in Loop: Header=BB206_24 Depth=3
	s_or_b32 exec_lo, exec_lo, s44
	s_delay_alu instid0(SALU_CYCLE_1) | instskip(NEXT) | instid1(SALU_CYCLE_1)
	s_and_b32 s42, exec_lo, s43
	s_or_b32 s41, s42, s41
	s_delay_alu instid0(SALU_CYCLE_1)
	s_and_not1_b32 exec_lo, exec_lo, s41
	s_cbranch_execz .LBB206_19
.LBB206_24:                             ;   Parent Loop BB206_17 Depth=1
                                        ;     Parent Loop BB206_21 Depth=2
                                        ; =>    This Inner Loop Header: Depth=3
	s_mov_b32 s42, 0
	s_mov_b32 s43, exec_lo
	v_cmpx_ne_u32_e64 s33, v20
	s_xor_b32 s43, exec_lo, s43
	s_cbranch_execz .LBB206_26
; %bb.25:                               ;   in Loop: Header=BB206_24 Depth=3
	v_add_nc_u32_e32 v17, 1, v17
	s_mov_b32 s42, exec_lo
                                        ; implicit-def: $vgpr19
	s_delay_alu instid0(VALU_DEP_1)
	v_and_b32_e32 v17, 0x3ff, v17
	s_and_not1_saveexec_b32 s43, s43
	s_cbranch_execz .LBB206_28
	s_branch .LBB206_27
.LBB206_26:                             ;   in Loop: Header=BB206_24 Depth=3
	s_and_not1_saveexec_b32 s43, s43
	s_cbranch_execz .LBB206_28
.LBB206_27:                             ;   in Loop: Header=BB206_24 Depth=3
	v_mov_b32_e32 v20, s33
	s_and_not1_b32 s42, s42, exec_lo
	ds_cmpstore_rtn_b32 v19, v19, v18, v20
	s_wait_dscnt 0x0
	v_cmp_ne_u32_e32 vcc_lo, s33, v19
	s_and_b32 s44, vcc_lo, exec_lo
	s_delay_alu instid0(SALU_CYCLE_1)
	s_or_b32 s42, s42, s44
.LBB206_28:                             ;   in Loop: Header=BB206_24 Depth=3
	s_or_b32 exec_lo, exec_lo, s43
	s_mov_b32 s43, -1
                                        ; implicit-def: $vgpr19
                                        ; implicit-def: $vgpr20
	s_and_saveexec_b32 s44, s42
	s_cbranch_execz .LBB206_23
; %bb.29:                               ;   in Loop: Header=BB206_24 Depth=3
	v_lshl_add_u32 v19, v17, 2, 0
	ds_load_b32 v20, v19
	s_wait_dscnt 0x0
	v_cmp_eq_u32_e32 vcc_lo, v20, v18
	s_or_not1_b32 s43, vcc_lo, exec_lo
	s_branch .LBB206_23
.LBB206_30:
	s_or_b32 exec_lo, exec_lo, s29
.LBB206_31:
	s_delay_alu instid0(SALU_CYCLE_1)
	s_and_not1_b32 vcc_lo, exec_lo, s2
	s_cbranch_vccnz .LBB206_34
; %bb.32:
	s_wait_kmcnt 0x0
	s_ashr_i32 s29, s28, 31
	v_mov_b32_e32 v1, 0
	s_lshl_b64 s[0:1], s[28:29], 3
	s_delay_alu instid0(SALU_CYCLE_1) | instskip(SKIP_4) | instid1(SALU_CYCLE_1)
	s_add_nc_u64 s[0:1], s[12:13], s[0:1]
	s_load_b128 s[4:7], s[0:1], 0x0
	s_wait_xcnt 0x0
	s_mov_b32 s1, 0
	s_mov_b32 s0, s23
	v_sub_nc_u64_e64 v[4:5], v[0:1], s[0:1]
	s_wait_kmcnt 0x0
	s_delay_alu instid0(VALU_DEP_1) | instskip(SKIP_2) | instid1(VALU_DEP_1)
	v_add_nc_u64_e32 v[4:5], s[4:5], v[4:5]
	s_sub_nc_u64 s[2:3], s[6:7], s[0:1]
	s_mov_b32 s0, exec_lo
	v_cmpx_gt_i64_e64 s[2:3], v[4:5]
	s_cbranch_execnz .LBB206_72
.LBB206_33:
	s_or_b32 exec_lo, exec_lo, s0
.LBB206_34:
	v_mbcnt_lo_u32_b32 v4, -1, 0
	v_mov_b32_e32 v1, 0
	v_lshl_add_u32 v3, v2, 2, 0
	s_wait_xcnt 0x0
	v_cmp_lt_u32_e64 s0, 31, v0
	v_cmp_lt_u32_e64 s1, 63, v0
	v_xor_b32_e32 v2, 31, v4
	v_cmp_lt_u32_e64 s2, 0x5f, v0
	v_cmp_lt_u32_e64 s3, 0x7f, v0
	;; [unrolled: 1-line block ×4, first 2 shown]
	v_lshrrev_b32_e64 v2, v2, -1
	v_cmp_lt_u32_e64 s6, 0xdf, v0
	v_cmp_lt_u32_e64 s7, 0xff, v0
	v_cmp_lt_u32_e64 s8, 0x11f, v0
	v_cmp_lt_u32_e64 s9, 0x13f, v0
	v_cmp_lt_u32_e64 s10, 0x15f, v0
	v_cmp_lt_u32_e64 s11, 0x17f, v0
	v_cmp_lt_u32_e64 s12, 0x19f, v0
	v_cmp_lt_u32_e64 s13, 0x1bf, v0
	v_cmp_lt_u32_e64 s14, 0x1df, v0
	v_mov_b32_e32 v6, 0
	s_mov_b32 s16, 0
	s_wait_dscnt 0x0
	v_cmp_eq_u32_e32 vcc_lo, 0x1ff, v0
	s_barrier_signal -1
	s_barrier_wait -1
	s_branch .LBB206_36
.LBB206_35:                             ;   in Loop: Header=BB206_36 Depth=1
	s_or_b32 exec_lo, exec_lo, s15
	s_wait_dscnt 0x0
	s_barrier_signal -1
	s_barrier_wait -1
	ds_load_b32 v4, v1 offset:12348
	v_add_co_u32 v15, s15, 0x200, v15
	s_xor_b32 s15, s15, -1
	v_add_nc_u32_e32 v16, 0x1000, v16
	v_add_nc_u32_e32 v14, 0x800, v14
	s_and_b32 s15, exec_lo, s15
	s_delay_alu instid0(SALU_CYCLE_1)
	s_or_b32 s16, s15, s16
	s_wait_dscnt 0x0
	v_add_nc_u32_e32 v6, v4, v6
	s_and_not1_b32 exec_lo, exec_lo, s16
	s_cbranch_execz .LBB206_81
.LBB206_36:                             ; =>This Inner Loop Header: Depth=1
	ds_load_b32 v7, v14
	ds_load_2addr_b32 v[4:5], v16 offset1:1
	s_wait_dscnt 0x0
	s_barrier_signal -1
	s_barrier_wait -1
	v_cmp_gt_i32_e64 s15, s33, v7
	s_bcnt1_i32_b32 s17, s15
	s_delay_alu instid0(SALU_CYCLE_1) | instskip(NEXT) | instid1(VALU_DEP_1)
	v_dual_mov_b32 v9, s17 :: v_dual_bitop2_b32 v8, s15, v2 bitop3:0x40
	v_bcnt_u32_b32 v8, v8, 0
	ds_store_b32 v3, v9 offset:12288
	s_wait_dscnt 0x0
	s_barrier_signal -1
	s_barrier_wait -1
	s_and_saveexec_b32 s17, s0
	s_cbranch_execz .LBB206_53
; %bb.37:                               ;   in Loop: Header=BB206_36 Depth=1
	ds_load_b32 v9, v1 offset:12288
	s_wait_dscnt 0x0
	v_add_nc_u32_e32 v8, v9, v8
	s_or_b32 exec_lo, exec_lo, s17
	s_and_saveexec_b32 s17, s1
	s_cbranch_execnz .LBB206_54
.LBB206_38:                             ;   in Loop: Header=BB206_36 Depth=1
	s_or_b32 exec_lo, exec_lo, s17
	s_and_saveexec_b32 s17, s2
	s_cbranch_execz .LBB206_55
.LBB206_39:                             ;   in Loop: Header=BB206_36 Depth=1
	ds_load_b32 v9, v1 offset:12296
	s_wait_dscnt 0x0
	v_add_nc_u32_e32 v8, v9, v8
	s_or_b32 exec_lo, exec_lo, s17
	s_and_saveexec_b32 s17, s3
	s_cbranch_execnz .LBB206_56
.LBB206_40:                             ;   in Loop: Header=BB206_36 Depth=1
	s_or_b32 exec_lo, exec_lo, s17
	s_and_saveexec_b32 s17, s4
	s_cbranch_execz .LBB206_57
.LBB206_41:                             ;   in Loop: Header=BB206_36 Depth=1
	ds_load_b32 v9, v1 offset:12304
	s_wait_dscnt 0x0
	v_add_nc_u32_e32 v8, v9, v8
	s_or_b32 exec_lo, exec_lo, s17
	s_and_saveexec_b32 s17, s5
	s_cbranch_execnz .LBB206_58
.LBB206_42:                             ;   in Loop: Header=BB206_36 Depth=1
	s_or_b32 exec_lo, exec_lo, s17
	s_and_saveexec_b32 s17, s6
	s_cbranch_execz .LBB206_59
.LBB206_43:                             ;   in Loop: Header=BB206_36 Depth=1
	ds_load_b32 v9, v1 offset:12312
	s_wait_dscnt 0x0
	v_add_nc_u32_e32 v8, v9, v8
	s_or_b32 exec_lo, exec_lo, s17
	s_and_saveexec_b32 s17, s7
	s_cbranch_execnz .LBB206_60
.LBB206_44:                             ;   in Loop: Header=BB206_36 Depth=1
	s_or_b32 exec_lo, exec_lo, s17
	s_and_saveexec_b32 s17, s8
	s_cbranch_execz .LBB206_61
.LBB206_45:                             ;   in Loop: Header=BB206_36 Depth=1
	ds_load_b32 v9, v1 offset:12320
	s_wait_dscnt 0x0
	v_add_nc_u32_e32 v8, v9, v8
	s_or_b32 exec_lo, exec_lo, s17
	s_and_saveexec_b32 s17, s9
	s_cbranch_execnz .LBB206_62
.LBB206_46:                             ;   in Loop: Header=BB206_36 Depth=1
	s_or_b32 exec_lo, exec_lo, s17
	s_and_saveexec_b32 s17, s10
	s_cbranch_execz .LBB206_63
.LBB206_47:                             ;   in Loop: Header=BB206_36 Depth=1
	ds_load_b32 v9, v1 offset:12328
	s_wait_dscnt 0x0
	v_add_nc_u32_e32 v8, v9, v8
	s_or_b32 exec_lo, exec_lo, s17
	s_and_saveexec_b32 s17, s11
	s_cbranch_execnz .LBB206_64
.LBB206_48:                             ;   in Loop: Header=BB206_36 Depth=1
	s_or_b32 exec_lo, exec_lo, s17
	s_and_saveexec_b32 s17, s12
	s_cbranch_execz .LBB206_65
.LBB206_49:                             ;   in Loop: Header=BB206_36 Depth=1
	ds_load_b32 v9, v1 offset:12336
	s_wait_dscnt 0x0
	v_add_nc_u32_e32 v8, v9, v8
	s_or_b32 exec_lo, exec_lo, s17
	s_and_saveexec_b32 s17, s13
	s_cbranch_execnz .LBB206_66
.LBB206_50:                             ;   in Loop: Header=BB206_36 Depth=1
	s_or_b32 exec_lo, exec_lo, s17
	s_and_saveexec_b32 s17, s14
	s_cbranch_execz .LBB206_67
.LBB206_51:                             ;   in Loop: Header=BB206_36 Depth=1
	ds_load_b32 v9, v1 offset:12344
	s_wait_dscnt 0x0
	v_add_nc_u32_e32 v8, v9, v8
	s_or_b32 exec_lo, exec_lo, s17
	s_and_saveexec_b32 s17, s15
	s_cbranch_execnz .LBB206_68
.LBB206_52:                             ;   in Loop: Header=BB206_36 Depth=1
	s_or_b32 exec_lo, exec_lo, s17
	s_and_saveexec_b32 s15, vcc_lo
	s_cbranch_execz .LBB206_35
	s_branch .LBB206_69
.LBB206_53:                             ;   in Loop: Header=BB206_36 Depth=1
	s_or_b32 exec_lo, exec_lo, s17
	s_and_saveexec_b32 s17, s1
	s_cbranch_execz .LBB206_38
.LBB206_54:                             ;   in Loop: Header=BB206_36 Depth=1
	ds_load_b32 v9, v1 offset:12292
	s_wait_dscnt 0x0
	v_add_nc_u32_e32 v8, v9, v8
	s_or_b32 exec_lo, exec_lo, s17
	s_and_saveexec_b32 s17, s2
	s_cbranch_execnz .LBB206_39
.LBB206_55:                             ;   in Loop: Header=BB206_36 Depth=1
	s_or_b32 exec_lo, exec_lo, s17
	s_and_saveexec_b32 s17, s3
	s_cbranch_execz .LBB206_40
.LBB206_56:                             ;   in Loop: Header=BB206_36 Depth=1
	ds_load_b32 v9, v1 offset:12300
	s_wait_dscnt 0x0
	v_add_nc_u32_e32 v8, v9, v8
	s_or_b32 exec_lo, exec_lo, s17
	s_and_saveexec_b32 s17, s4
	s_cbranch_execnz .LBB206_41
.LBB206_57:                             ;   in Loop: Header=BB206_36 Depth=1
	s_or_b32 exec_lo, exec_lo, s17
	s_and_saveexec_b32 s17, s5
	s_cbranch_execz .LBB206_42
.LBB206_58:                             ;   in Loop: Header=BB206_36 Depth=1
	ds_load_b32 v9, v1 offset:12308
	s_wait_dscnt 0x0
	v_add_nc_u32_e32 v8, v9, v8
	s_or_b32 exec_lo, exec_lo, s17
	s_and_saveexec_b32 s17, s6
	s_cbranch_execnz .LBB206_43
.LBB206_59:                             ;   in Loop: Header=BB206_36 Depth=1
	s_or_b32 exec_lo, exec_lo, s17
	s_and_saveexec_b32 s17, s7
	s_cbranch_execz .LBB206_44
.LBB206_60:                             ;   in Loop: Header=BB206_36 Depth=1
	ds_load_b32 v9, v1 offset:12316
	s_wait_dscnt 0x0
	v_add_nc_u32_e32 v8, v9, v8
	s_or_b32 exec_lo, exec_lo, s17
	s_and_saveexec_b32 s17, s8
	s_cbranch_execnz .LBB206_45
.LBB206_61:                             ;   in Loop: Header=BB206_36 Depth=1
	s_or_b32 exec_lo, exec_lo, s17
	s_and_saveexec_b32 s17, s9
	s_cbranch_execz .LBB206_46
.LBB206_62:                             ;   in Loop: Header=BB206_36 Depth=1
	ds_load_b32 v9, v1 offset:12324
	s_wait_dscnt 0x0
	v_add_nc_u32_e32 v8, v9, v8
	s_or_b32 exec_lo, exec_lo, s17
	s_and_saveexec_b32 s17, s10
	s_cbranch_execnz .LBB206_47
.LBB206_63:                             ;   in Loop: Header=BB206_36 Depth=1
	s_or_b32 exec_lo, exec_lo, s17
	s_and_saveexec_b32 s17, s11
	s_cbranch_execz .LBB206_48
.LBB206_64:                             ;   in Loop: Header=BB206_36 Depth=1
	ds_load_b32 v9, v1 offset:12332
	s_wait_dscnt 0x0
	v_add_nc_u32_e32 v8, v9, v8
	s_or_b32 exec_lo, exec_lo, s17
	s_and_saveexec_b32 s17, s12
	s_cbranch_execnz .LBB206_49
.LBB206_65:                             ;   in Loop: Header=BB206_36 Depth=1
	s_or_b32 exec_lo, exec_lo, s17
	s_and_saveexec_b32 s17, s13
	s_cbranch_execz .LBB206_50
.LBB206_66:                             ;   in Loop: Header=BB206_36 Depth=1
	ds_load_b32 v9, v1 offset:12340
	s_wait_dscnt 0x0
	v_add_nc_u32_e32 v8, v9, v8
	s_or_b32 exec_lo, exec_lo, s17
	s_and_saveexec_b32 s17, s14
	s_cbranch_execnz .LBB206_51
.LBB206_67:                             ;   in Loop: Header=BB206_36 Depth=1
	s_or_b32 exec_lo, exec_lo, s17
	s_and_saveexec_b32 s17, s15
	s_cbranch_execz .LBB206_52
.LBB206_68:                             ;   in Loop: Header=BB206_36 Depth=1
	s_delay_alu instid0(VALU_DEP_1) | instskip(SKIP_1) | instid1(VALU_DEP_2)
	v_add3_u32 v9, v6, -1, v8
	v_add_lshl_u32 v10, v6, v8, 3
	v_lshl_add_u32 v9, v9, 2, 0
	s_delay_alu instid0(VALU_DEP_2)
	v_add3_u32 v10, 0, v10, 0xff8
	ds_store_b32 v9, v7
	ds_store_2addr_b32 v10, v4, v5 offset1:1
	s_or_b32 exec_lo, exec_lo, s17
	s_and_saveexec_b32 s15, vcc_lo
	s_cbranch_execz .LBB206_35
.LBB206_69:                             ;   in Loop: Header=BB206_36 Depth=1
	ds_store_b32 v1, v8 offset:12348
	s_branch .LBB206_35
.LBB206_70:                             ;   in Loop: Header=BB206_72 Depth=1
	s_or_b32 exec_lo, exec_lo, s5
.LBB206_71:                             ;   in Loop: Header=BB206_72 Depth=1
	s_delay_alu instid0(SALU_CYCLE_1)
	s_or_b32 exec_lo, exec_lo, s4
	s_wait_loadcnt 0x0
	v_mul_f32_e64 v3, v7, -s39
	v_mul_f32_e32 v7, s38, v7
	v_lshl_add_u32 v1, v1, 3, 0
	v_add_nc_u64_e32 v[4:5], 0x200, v[4:5]
	s_delay_alu instid0(VALU_DEP_4) | instskip(NEXT) | instid1(VALU_DEP_4)
	v_fmac_f32_e32 v3, s38, v6
	v_fmac_f32_e32 v7, s39, v6
	ds_add_f32 v1, v3 offset:4096
	ds_add_f32 v1, v7 offset:4100
	v_cmp_le_i64_e32 vcc_lo, s[2:3], v[4:5]
	s_or_b32 s1, vcc_lo, s1
	s_delay_alu instid0(SALU_CYCLE_1)
	s_and_not1_b32 exec_lo, exec_lo, s1
	s_cbranch_execz .LBB206_33
.LBB206_72:                             ; =>This Loop Header: Depth=1
                                        ;     Child Loop BB206_75 Depth 2
	v_lshl_add_u64 v[6:7], v[4:5], 2, s[14:15]
	s_mov_b32 s4, exec_lo
	global_load_b32 v1, v[6:7], off
	s_wait_xcnt 0x0
	v_lshl_add_u64 v[6:7], v[4:5], 3, s[16:17]
	global_load_b64 v[6:7], v[6:7], off
	s_wait_loadcnt 0x1
	v_subrev_nc_u32_e32 v3, s23, v1
	s_delay_alu instid0(VALU_DEP_1) | instskip(NEXT) | instid1(VALU_DEP_1)
	v_mul_lo_u32 v1, 0x89, v3
	v_and_b32_e32 v1, 0x3ff, v1
	s_delay_alu instid0(VALU_DEP_1)
	v_lshl_add_u32 v8, v1, 2, 0
	ds_load_b32 v9, v8
	s_wait_dscnt 0x0
	s_wait_xcnt 0x0
	v_cmpx_ne_u32_e64 v9, v3
	s_cbranch_execz .LBB206_71
; %bb.73:                               ;   in Loop: Header=BB206_72 Depth=1
	s_mov_b32 s5, 0
	s_branch .LBB206_75
.LBB206_74:                             ;   in Loop: Header=BB206_75 Depth=2
	s_or_b32 exec_lo, exec_lo, s8
	s_delay_alu instid0(SALU_CYCLE_1) | instskip(NEXT) | instid1(SALU_CYCLE_1)
	s_and_b32 s6, exec_lo, s7
	s_or_b32 s5, s6, s5
	s_delay_alu instid0(SALU_CYCLE_1)
	s_and_not1_b32 exec_lo, exec_lo, s5
	s_cbranch_execz .LBB206_70
.LBB206_75:                             ;   Parent Loop BB206_72 Depth=1
                                        ; =>  This Inner Loop Header: Depth=2
	s_mov_b32 s6, 0
	s_mov_b32 s7, exec_lo
	v_cmpx_ne_u32_e64 s33, v9
	s_xor_b32 s7, exec_lo, s7
	s_cbranch_execz .LBB206_77
; %bb.76:                               ;   in Loop: Header=BB206_75 Depth=2
	v_add_nc_u32_e32 v1, 1, v1
	s_mov_b32 s6, exec_lo
                                        ; implicit-def: $vgpr8
	s_delay_alu instid0(VALU_DEP_1)
	v_and_b32_e32 v1, 0x3ff, v1
	s_and_not1_saveexec_b32 s7, s7
	s_cbranch_execz .LBB206_79
	s_branch .LBB206_78
.LBB206_77:                             ;   in Loop: Header=BB206_75 Depth=2
	s_and_not1_saveexec_b32 s7, s7
	s_cbranch_execz .LBB206_79
.LBB206_78:                             ;   in Loop: Header=BB206_75 Depth=2
	v_mov_b32_e32 v9, s33
	s_and_not1_b32 s6, s6, exec_lo
	ds_cmpstore_rtn_b32 v8, v8, v3, v9
	s_wait_dscnt 0x0
	v_cmp_ne_u32_e32 vcc_lo, s33, v8
	s_and_b32 s8, vcc_lo, exec_lo
	s_delay_alu instid0(SALU_CYCLE_1)
	s_or_b32 s6, s6, s8
.LBB206_79:                             ;   in Loop: Header=BB206_75 Depth=2
	s_or_b32 exec_lo, exec_lo, s7
	s_mov_b32 s7, -1
                                        ; implicit-def: $vgpr8
                                        ; implicit-def: $vgpr9
	s_and_saveexec_b32 s8, s6
	s_cbranch_execz .LBB206_74
; %bb.80:                               ;   in Loop: Header=BB206_75 Depth=2
	v_lshl_add_u32 v8, v1, 2, 0
	ds_load_b32 v9, v8
	s_wait_dscnt 0x0
	v_cmp_eq_u32_e32 vcc_lo, v9, v3
	s_or_not1_b32 s7, vcc_lo, exec_lo
	s_branch .LBB206_74
.LBB206_81:
	s_or_b32 exec_lo, exec_lo, s16
	s_wait_kmcnt 0x0
	s_ashr_i32 s29, s28, 31
	s_delay_alu instid0(SALU_CYCLE_1) | instskip(NEXT) | instid1(SALU_CYCLE_1)
	s_lshl_b64 s[0:1], s[28:29], 3
	s_add_nc_u64 s[4:5], s[18:19], s[0:1]
	s_load_b128 s[0:3], s[4:5], 0x0
	s_wait_xcnt 0x0
	s_mov_b32 s4, exec_lo
	s_wait_kmcnt 0x0
	s_sub_co_i32 s3, s2, s0
	s_delay_alu instid0(SALU_CYCLE_1)
	v_cmpx_gt_i32_e64 s3, v0
	s_cbranch_execz .LBB206_91
; %bb.82:
	s_sub_co_i32 s4, s0, s2
	s_and_b32 s2, s3, 7
	s_cmp_lt_u32 s4, -7
	s_mov_b32 s23, 0
	s_cselect_b32 s4, -1, 0
	s_and_b32 s5, s3, -8
	s_cmp_lg_u32 s2, 0
	s_sub_nc_u64 s[0:1], s[0:1], s[22:23]
	s_cselect_b32 s6, -1, 0
	s_mov_b32 s7, 0
	s_branch .LBB206_84
.LBB206_83:                             ;   in Loop: Header=BB206_84 Depth=1
	v_add_nc_u32_e32 v0, 0x200, v0
	s_delay_alu instid0(VALU_DEP_2) | instskip(NEXT) | instid1(VALU_DEP_2)
	v_lshl_add_u64 v[4:5], v[4:5], 3, s[34:35]
	v_cmp_le_i32_e32 vcc_lo, s3, v0
	s_wait_dscnt 0x0
	global_store_b64 v[4:5], v[2:3], off
	s_or_b32 s7, vcc_lo, s7
	s_wait_xcnt 0x0
	s_and_not1_b32 exec_lo, exec_lo, s7
	s_cbranch_execz .LBB206_91
.LBB206_84:                             ; =>This Loop Header: Depth=1
                                        ;     Child Loop BB206_86 Depth 2
                                        ;     Child Loop BB206_90 Depth 2
	v_lshlrev_b32_e32 v1, 2, v0
	v_mov_b64_e32 v[4:5], s[0:1]
	s_and_not1_b32 vcc_lo, exec_lo, s4
	s_mov_b32 s8, 0
	s_delay_alu instid0(VALU_DEP_2) | instskip(NEXT) | instid1(VALU_DEP_1)
	v_add_nc_u32_e32 v2, 0, v1
	v_add3_u32 v3, v2, v1, 0x1000
	ds_load_b32 v1, v2
	ds_load_2addr_b32 v[2:3], v3 offset1:1
	s_cbranch_vccnz .LBB206_88
; %bb.85:                               ;   in Loop: Header=BB206_84 Depth=1
	v_mov_b64_e32 v[4:5], s[0:1]
	s_mov_b32 s9, 0
.LBB206_86:                             ;   Parent Loop BB206_84 Depth=1
                                        ; =>  This Inner Loop Header: Depth=2
	s_delay_alu instid0(SALU_CYCLE_1)
	v_dual_mov_b32 v10, s9 :: v_dual_mov_b32 v11, s23
	v_mov_b32_e32 v17, s23
	s_add_co_i32 s8, s8, 8
	s_add_co_i32 s9, s9, 32
	ds_load_2addr_b32 v[6:7], v10 offset1:1
	ds_load_2addr_b32 v[8:9], v10 offset0:2 offset1:3
	ds_load_2addr_b32 v[12:13], v10 offset0:4 offset1:5
	;; [unrolled: 1-line block ×3, first 2 shown]
	s_cmp_eq_u32 s5, s8
	s_wait_dscnt 0x3
	v_cmp_gt_i32_e32 vcc_lo, v1, v6
	v_cndmask_b32_e64 v10, 0, 1, vcc_lo
	v_cmp_gt_i32_e32 vcc_lo, v1, v7
	v_mov_b32_e32 v7, s23
	s_delay_alu instid0(VALU_DEP_3) | instskip(SKIP_4) | instid1(VALU_DEP_3)
	v_add_nc_u64_e32 v[4:5], v[4:5], v[10:11]
	v_cndmask_b32_e64 v16, 0, 1, vcc_lo
	s_wait_dscnt 0x2
	v_cmp_gt_i32_e32 vcc_lo, v1, v8
	v_cndmask_b32_e64 v6, 0, 1, vcc_lo
	v_add_nc_u64_e32 v[4:5], v[4:5], v[16:17]
	v_cmp_gt_i32_e32 vcc_lo, v1, v9
	v_mov_b32_e32 v9, s23
	v_cndmask_b32_e64 v10, 0, 1, vcc_lo
	s_delay_alu instid0(VALU_DEP_4) | instskip(SKIP_3) | instid1(VALU_DEP_3)
	v_add_nc_u64_e32 v[4:5], v[4:5], v[6:7]
	s_wait_dscnt 0x1
	v_cmp_gt_i32_e32 vcc_lo, v1, v12
	v_cndmask_b32_e64 v6, 0, 1, vcc_lo
	v_add_nc_u64_e32 v[4:5], v[4:5], v[10:11]
	v_cmp_gt_i32_e32 vcc_lo, v1, v13
	v_cndmask_b32_e64 v8, 0, 1, vcc_lo
	s_delay_alu instid0(VALU_DEP_3) | instskip(SKIP_3) | instid1(VALU_DEP_3)
	v_add_nc_u64_e32 v[4:5], v[4:5], v[6:7]
	s_wait_dscnt 0x0
	v_cmp_gt_i32_e32 vcc_lo, v1, v14
	v_cndmask_b32_e64 v6, 0, 1, vcc_lo
	v_add_nc_u64_e32 v[4:5], v[4:5], v[8:9]
	v_cmp_gt_i32_e32 vcc_lo, v1, v15
	v_cndmask_b32_e64 v8, 0, 1, vcc_lo
	s_delay_alu instid0(VALU_DEP_3) | instskip(NEXT) | instid1(VALU_DEP_1)
	v_add_nc_u64_e32 v[4:5], v[4:5], v[6:7]
	v_add_nc_u64_e32 v[4:5], v[4:5], v[8:9]
	s_cbranch_scc0 .LBB206_86
; %bb.87:                               ;   in Loop: Header=BB206_84 Depth=1
	s_mov_b32 s8, s5
.LBB206_88:                             ;   in Loop: Header=BB206_84 Depth=1
	s_and_not1_b32 vcc_lo, exec_lo, s6
	s_cbranch_vccnz .LBB206_83
; %bb.89:                               ;   in Loop: Header=BB206_84 Depth=1
	s_lshl_b32 s8, s8, 2
	s_mov_b32 s9, s2
	s_add_co_i32 s8, s8, 0
.LBB206_90:                             ;   Parent Loop BB206_84 Depth=1
                                        ; =>  This Inner Loop Header: Depth=2
	s_delay_alu instid0(SALU_CYCLE_1)
	v_dual_mov_b32 v6, s8 :: v_dual_mov_b32 v7, s23
	s_add_co_i32 s9, s9, -1
	s_add_co_i32 s8, s8, 4
	s_cmp_lg_u32 s9, 0
	ds_load_b32 v6, v6
	s_wait_dscnt 0x0
	v_cmp_gt_i32_e32 vcc_lo, v1, v6
	v_cndmask_b32_e64 v6, 0, 1, vcc_lo
	s_delay_alu instid0(VALU_DEP_1)
	v_add_nc_u64_e32 v[4:5], v[4:5], v[6:7]
	s_cbranch_scc1 .LBB206_90
	s_branch .LBB206_83
.LBB206_91:
	s_endpgm
	.section	.rodata,"a",@progbits
	.p2align	6, 0x0
	.amdhsa_kernel _ZN9rocsparseL41csrgemm_numeric_fill_block_per_row_kernelILj512ELj32ELj1024ELj137ELj32Eli21rocsparse_complex_numIfEEEvT5_PKS3_S5_NS_24const_host_device_scalarIT6_EEPKT4_S5_PKS7_SB_S5_SD_S8_SB_S5_SD_SB_S5_PS7_21rocsparse_index_base_SF_SF_SF_bbb
		.amdhsa_group_segment_fixed_size 0
		.amdhsa_private_segment_fixed_size 0
		.amdhsa_kernarg_size 156
		.amdhsa_user_sgpr_count 2
		.amdhsa_user_sgpr_dispatch_ptr 0
		.amdhsa_user_sgpr_queue_ptr 0
		.amdhsa_user_sgpr_kernarg_segment_ptr 1
		.amdhsa_user_sgpr_dispatch_id 0
		.amdhsa_user_sgpr_kernarg_preload_length 0
		.amdhsa_user_sgpr_kernarg_preload_offset 0
		.amdhsa_user_sgpr_private_segment_size 0
		.amdhsa_wavefront_size32 1
		.amdhsa_uses_dynamic_stack 0
		.amdhsa_enable_private_segment 0
		.amdhsa_system_sgpr_workgroup_id_x 1
		.amdhsa_system_sgpr_workgroup_id_y 0
		.amdhsa_system_sgpr_workgroup_id_z 0
		.amdhsa_system_sgpr_workgroup_info 0
		.amdhsa_system_vgpr_workitem_id 0
		.amdhsa_next_free_vgpr 21
		.amdhsa_next_free_sgpr 48
		.amdhsa_named_barrier_count 0
		.amdhsa_reserve_vcc 1
		.amdhsa_float_round_mode_32 0
		.amdhsa_float_round_mode_16_64 0
		.amdhsa_float_denorm_mode_32 3
		.amdhsa_float_denorm_mode_16_64 3
		.amdhsa_fp16_overflow 0
		.amdhsa_memory_ordered 1
		.amdhsa_forward_progress 1
		.amdhsa_inst_pref_size 27
		.amdhsa_round_robin_scheduling 0
		.amdhsa_exception_fp_ieee_invalid_op 0
		.amdhsa_exception_fp_denorm_src 0
		.amdhsa_exception_fp_ieee_div_zero 0
		.amdhsa_exception_fp_ieee_overflow 0
		.amdhsa_exception_fp_ieee_underflow 0
		.amdhsa_exception_fp_ieee_inexact 0
		.amdhsa_exception_int_div_zero 0
	.end_amdhsa_kernel
	.section	.text._ZN9rocsparseL41csrgemm_numeric_fill_block_per_row_kernelILj512ELj32ELj1024ELj137ELj32Eli21rocsparse_complex_numIfEEEvT5_PKS3_S5_NS_24const_host_device_scalarIT6_EEPKT4_S5_PKS7_SB_S5_SD_S8_SB_S5_SD_SB_S5_PS7_21rocsparse_index_base_SF_SF_SF_bbb,"axG",@progbits,_ZN9rocsparseL41csrgemm_numeric_fill_block_per_row_kernelILj512ELj32ELj1024ELj137ELj32Eli21rocsparse_complex_numIfEEEvT5_PKS3_S5_NS_24const_host_device_scalarIT6_EEPKT4_S5_PKS7_SB_S5_SD_S8_SB_S5_SD_SB_S5_PS7_21rocsparse_index_base_SF_SF_SF_bbb,comdat
.Lfunc_end206:
	.size	_ZN9rocsparseL41csrgemm_numeric_fill_block_per_row_kernelILj512ELj32ELj1024ELj137ELj32Eli21rocsparse_complex_numIfEEEvT5_PKS3_S5_NS_24const_host_device_scalarIT6_EEPKT4_S5_PKS7_SB_S5_SD_S8_SB_S5_SD_SB_S5_PS7_21rocsparse_index_base_SF_SF_SF_bbb, .Lfunc_end206-_ZN9rocsparseL41csrgemm_numeric_fill_block_per_row_kernelILj512ELj32ELj1024ELj137ELj32Eli21rocsparse_complex_numIfEEEvT5_PKS3_S5_NS_24const_host_device_scalarIT6_EEPKT4_S5_PKS7_SB_S5_SD_S8_SB_S5_SD_SB_S5_PS7_21rocsparse_index_base_SF_SF_SF_bbb
                                        ; -- End function
	.set _ZN9rocsparseL41csrgemm_numeric_fill_block_per_row_kernelILj512ELj32ELj1024ELj137ELj32Eli21rocsparse_complex_numIfEEEvT5_PKS3_S5_NS_24const_host_device_scalarIT6_EEPKT4_S5_PKS7_SB_S5_SD_S8_SB_S5_SD_SB_S5_PS7_21rocsparse_index_base_SF_SF_SF_bbb.num_vgpr, 21
	.set _ZN9rocsparseL41csrgemm_numeric_fill_block_per_row_kernelILj512ELj32ELj1024ELj137ELj32Eli21rocsparse_complex_numIfEEEvT5_PKS3_S5_NS_24const_host_device_scalarIT6_EEPKT4_S5_PKS7_SB_S5_SD_S8_SB_S5_SD_SB_S5_PS7_21rocsparse_index_base_SF_SF_SF_bbb.num_agpr, 0
	.set _ZN9rocsparseL41csrgemm_numeric_fill_block_per_row_kernelILj512ELj32ELj1024ELj137ELj32Eli21rocsparse_complex_numIfEEEvT5_PKS3_S5_NS_24const_host_device_scalarIT6_EEPKT4_S5_PKS7_SB_S5_SD_S8_SB_S5_SD_SB_S5_PS7_21rocsparse_index_base_SF_SF_SF_bbb.numbered_sgpr, 48
	.set _ZN9rocsparseL41csrgemm_numeric_fill_block_per_row_kernelILj512ELj32ELj1024ELj137ELj32Eli21rocsparse_complex_numIfEEEvT5_PKS3_S5_NS_24const_host_device_scalarIT6_EEPKT4_S5_PKS7_SB_S5_SD_S8_SB_S5_SD_SB_S5_PS7_21rocsparse_index_base_SF_SF_SF_bbb.num_named_barrier, 0
	.set _ZN9rocsparseL41csrgemm_numeric_fill_block_per_row_kernelILj512ELj32ELj1024ELj137ELj32Eli21rocsparse_complex_numIfEEEvT5_PKS3_S5_NS_24const_host_device_scalarIT6_EEPKT4_S5_PKS7_SB_S5_SD_S8_SB_S5_SD_SB_S5_PS7_21rocsparse_index_base_SF_SF_SF_bbb.private_seg_size, 0
	.set _ZN9rocsparseL41csrgemm_numeric_fill_block_per_row_kernelILj512ELj32ELj1024ELj137ELj32Eli21rocsparse_complex_numIfEEEvT5_PKS3_S5_NS_24const_host_device_scalarIT6_EEPKT4_S5_PKS7_SB_S5_SD_S8_SB_S5_SD_SB_S5_PS7_21rocsparse_index_base_SF_SF_SF_bbb.uses_vcc, 1
	.set _ZN9rocsparseL41csrgemm_numeric_fill_block_per_row_kernelILj512ELj32ELj1024ELj137ELj32Eli21rocsparse_complex_numIfEEEvT5_PKS3_S5_NS_24const_host_device_scalarIT6_EEPKT4_S5_PKS7_SB_S5_SD_S8_SB_S5_SD_SB_S5_PS7_21rocsparse_index_base_SF_SF_SF_bbb.uses_flat_scratch, 0
	.set _ZN9rocsparseL41csrgemm_numeric_fill_block_per_row_kernelILj512ELj32ELj1024ELj137ELj32Eli21rocsparse_complex_numIfEEEvT5_PKS3_S5_NS_24const_host_device_scalarIT6_EEPKT4_S5_PKS7_SB_S5_SD_S8_SB_S5_SD_SB_S5_PS7_21rocsparse_index_base_SF_SF_SF_bbb.has_dyn_sized_stack, 0
	.set _ZN9rocsparseL41csrgemm_numeric_fill_block_per_row_kernelILj512ELj32ELj1024ELj137ELj32Eli21rocsparse_complex_numIfEEEvT5_PKS3_S5_NS_24const_host_device_scalarIT6_EEPKT4_S5_PKS7_SB_S5_SD_S8_SB_S5_SD_SB_S5_PS7_21rocsparse_index_base_SF_SF_SF_bbb.has_recursion, 0
	.set _ZN9rocsparseL41csrgemm_numeric_fill_block_per_row_kernelILj512ELj32ELj1024ELj137ELj32Eli21rocsparse_complex_numIfEEEvT5_PKS3_S5_NS_24const_host_device_scalarIT6_EEPKT4_S5_PKS7_SB_S5_SD_S8_SB_S5_SD_SB_S5_PS7_21rocsparse_index_base_SF_SF_SF_bbb.has_indirect_call, 0
	.section	.AMDGPU.csdata,"",@progbits
; Kernel info:
; codeLenInByte = 3376
; TotalNumSgprs: 50
; NumVgprs: 21
; ScratchSize: 0
; MemoryBound: 0
; FloatMode: 240
; IeeeMode: 1
; LDSByteSize: 0 bytes/workgroup (compile time only)
; SGPRBlocks: 0
; VGPRBlocks: 1
; NumSGPRsForWavesPerEU: 50
; NumVGPRsForWavesPerEU: 21
; NamedBarCnt: 0
; Occupancy: 16
; WaveLimiterHint : 1
; COMPUTE_PGM_RSRC2:SCRATCH_EN: 0
; COMPUTE_PGM_RSRC2:USER_SGPR: 2
; COMPUTE_PGM_RSRC2:TRAP_HANDLER: 0
; COMPUTE_PGM_RSRC2:TGID_X_EN: 1
; COMPUTE_PGM_RSRC2:TGID_Y_EN: 0
; COMPUTE_PGM_RSRC2:TGID_Z_EN: 0
; COMPUTE_PGM_RSRC2:TIDIG_COMP_CNT: 0
	.section	.text._ZN9rocsparseL41csrgemm_numeric_fill_block_per_row_kernelILj512ELj32ELj1024ELj137ELj64Eli21rocsparse_complex_numIfEEEvT5_PKS3_S5_NS_24const_host_device_scalarIT6_EEPKT4_S5_PKS7_SB_S5_SD_S8_SB_S5_SD_SB_S5_PS7_21rocsparse_index_base_SF_SF_SF_bbb,"axG",@progbits,_ZN9rocsparseL41csrgemm_numeric_fill_block_per_row_kernelILj512ELj32ELj1024ELj137ELj64Eli21rocsparse_complex_numIfEEEvT5_PKS3_S5_NS_24const_host_device_scalarIT6_EEPKT4_S5_PKS7_SB_S5_SD_S8_SB_S5_SD_SB_S5_PS7_21rocsparse_index_base_SF_SF_SF_bbb,comdat
	.globl	_ZN9rocsparseL41csrgemm_numeric_fill_block_per_row_kernelILj512ELj32ELj1024ELj137ELj64Eli21rocsparse_complex_numIfEEEvT5_PKS3_S5_NS_24const_host_device_scalarIT6_EEPKT4_S5_PKS7_SB_S5_SD_S8_SB_S5_SD_SB_S5_PS7_21rocsparse_index_base_SF_SF_SF_bbb ; -- Begin function _ZN9rocsparseL41csrgemm_numeric_fill_block_per_row_kernelILj512ELj32ELj1024ELj137ELj64Eli21rocsparse_complex_numIfEEEvT5_PKS3_S5_NS_24const_host_device_scalarIT6_EEPKT4_S5_PKS7_SB_S5_SD_S8_SB_S5_SD_SB_S5_PS7_21rocsparse_index_base_SF_SF_SF_bbb
	.p2align	8
	.type	_ZN9rocsparseL41csrgemm_numeric_fill_block_per_row_kernelILj512ELj32ELj1024ELj137ELj64Eli21rocsparse_complex_numIfEEEvT5_PKS3_S5_NS_24const_host_device_scalarIT6_EEPKT4_S5_PKS7_SB_S5_SD_S8_SB_S5_SD_SB_S5_PS7_21rocsparse_index_base_SF_SF_SF_bbb,@function
_ZN9rocsparseL41csrgemm_numeric_fill_block_per_row_kernelILj512ELj32ELj1024ELj137ELj64Eli21rocsparse_complex_numIfEEEvT5_PKS3_S5_NS_24const_host_device_scalarIT6_EEPKT4_S5_PKS7_SB_S5_SD_S8_SB_S5_SD_SB_S5_PS7_21rocsparse_index_base_SF_SF_SF_bbb: ; @_ZN9rocsparseL41csrgemm_numeric_fill_block_per_row_kernelILj512ELj32ELj1024ELj137ELj64Eli21rocsparse_complex_numIfEEEvT5_PKS3_S5_NS_24const_host_device_scalarIT6_EEPKT4_S5_PKS7_SB_S5_SD_S8_SB_S5_SD_SB_S5_PS7_21rocsparse_index_base_SF_SF_SF_bbb
; %bb.0:
	s_clause 0x3
	s_load_b32 s33, s[0:1], 0x98
	s_load_b128 s[20:23], s[0:1], 0x88
	s_load_b128 s[28:31], s[0:1], 0x8
	s_load_b64 s[36:37], s[0:1], 0x50
	s_mov_b32 s3, 0
	s_mov_b32 s40, 0
	s_wait_kmcnt 0x0
	s_bitcmp1_b32 s33, 0
	s_cselect_b32 s41, -1, 0
	s_bitcmp1_b32 s33, 16
	s_cselect_b32 s2, -1, 0
	s_delay_alu instid0(SALU_CYCLE_1) | instskip(SKIP_2) | instid1(VALU_DEP_1)
	s_xor_b32 s4, s2, -1
	s_bitcmp0_b32 s33, 0
	v_cndmask_b32_e64 v1, 0, 1, s4
	v_cmp_ne_u32_e32 vcc_lo, 1, v1
	s_cbranch_scc1 .LBB207_5
; %bb.1:
	s_load_b64 s[2:3], s[0:1], 0x18
	s_and_b32 vcc_lo, exec_lo, vcc_lo
	s_wait_kmcnt 0x0
	s_mov_b32 s40, s2
	s_cbranch_vccnz .LBB207_3
; %bb.2:
	s_load_b32 s40, s[2:3], 0x0
.LBB207_3:
	s_and_not1_b32 vcc_lo, exec_lo, s4
	s_cbranch_vccnz .LBB207_5
; %bb.4:
	s_wait_xcnt 0x0
	s_load_b32 s3, s[2:3], 0x4
.LBB207_5:
	s_clause 0x3
	s_load_b64 s[34:35], s[0:1], 0x80
	s_load_b256 s[4:11], s[0:1], 0x58
	s_load_b128 s[24:27], s[0:1], 0x40
	s_load_b256 s[12:19], s[0:1], 0x20
	s_bitcmp1_b32 s33, 8
	s_mov_b32 s38, 0
	s_wait_xcnt 0x0
	s_cselect_b32 s2, -1, 0
	s_bfe_u32 s33, s33, 0x10008
	s_mov_b32 s39, 0
	s_cmp_eq_u32 s33, 0
	s_cbranch_scc1 .LBB207_11
; %bb.6:
	v_cmp_ne_u32_e32 vcc_lo, 1, v1
	s_mov_b32 s38, s36
	s_cbranch_vccnz .LBB207_8
; %bb.7:
	s_load_b32 s38, s[36:37], 0x0
.LBB207_8:
	v_cmp_ne_u32_e32 vcc_lo, 1, v1
	s_cbranch_vccnz .LBB207_10
; %bb.9:
	s_wait_xcnt 0x0
	s_load_b32 s37, s[36:37], 0x4
.LBB207_10:
	s_wait_kmcnt 0x0
	s_mov_b32 s39, s37
.LBB207_11:
	s_load_b32 s33, s[0:1], 0x0
	v_lshl_add_u32 v12, v0, 2, 0
	v_lshlrev_b32_e32 v1, 3, v0
	v_or_b32_e32 v13, 0xfffffe00, v0
	s_wait_xcnt 0x0
	s_mov_b32 s0, 0
	v_mov_b32_e32 v2, v12
	v_add3_u32 v14, v1, 0, 0x1000
	v_dual_mov_b32 v1, 0 :: v_dual_mov_b32 v3, v13
	s_wait_kmcnt 0x0
	s_delay_alu instid0(VALU_DEP_2)
	v_dual_mov_b32 v5, v14 :: v_dual_mov_b32 v4, s33
.LBB207_12:                             ; =>This Inner Loop Header: Depth=1
	s_delay_alu instid0(VALU_DEP_2)
	v_add_co_u32 v3, s1, 0x200, v3
	s_xor_b32 s1, s1, -1
	ds_store_b32 v2, v4
	ds_store_2addr_b32 v5, v1, v1 offset1:1
	v_add_nc_u32_e32 v5, 0x1000, v5
	v_add_nc_u32_e32 v2, 0x800, v2
	s_and_b32 s1, exec_lo, s1
	s_delay_alu instid0(SALU_CYCLE_1) | instskip(NEXT) | instid1(SALU_CYCLE_1)
	s_or_b32 s0, s1, s0
	s_and_not1_b32 exec_lo, exec_lo, s0
	s_cbranch_execnz .LBB207_12
; %bb.13:
	s_or_b32 exec_lo, exec_lo, s0
	s_wait_dscnt 0x0
	s_barrier_signal -1
	s_barrier_wait -1
	s_load_b32 s0, s[28:29], 0x0
	s_bfe_u32 s1, ttmp6, 0x4000c
	s_wait_xcnt 0x0
	s_and_b32 s28, ttmp6, 15
	s_add_co_i32 s1, s1, 1
	s_getreg_b32 s29, hwreg(HW_REG_IB_STS2, 6, 4)
	s_mul_i32 s1, ttmp9, s1
	s_delay_alu instid0(SALU_CYCLE_1)
	s_add_co_i32 s28, s28, s1
	s_cmp_eq_u32 s29, 0
	s_cselect_b32 s1, ttmp9, s28
	s_and_b32 vcc_lo, exec_lo, s41
	s_wait_kmcnt 0x0
	s_add_co_i32 s0, s0, s1
	s_mov_b32 s1, 0
	s_load_b32 s28, s[30:31], s0 offset:0x0 scale_offset
	s_cbranch_vccz .LBB207_31
; %bb.14:
	s_wait_kmcnt 0x0
	s_ashr_i32 s29, s28, 31
	v_dual_mov_b32 v5, 0 :: v_dual_lshrrev_b32 v4, 5, v0
	s_lshl_b64 s[30:31], s[28:29], 3
	s_mov_b32 s0, s20
	s_add_nc_u64 s[12:13], s[12:13], s[30:31]
	s_mov_b32 s29, exec_lo
	s_load_b128 s[44:47], s[12:13], 0x0
	v_sub_nc_u64_e64 v[2:3], v[4:5], s[0:1]
	s_wait_kmcnt 0x0
	s_delay_alu instid0(VALU_DEP_1)
	v_add_nc_u64_e32 v[2:3], s[44:45], v[2:3]
	s_sub_nc_u64 s[0:1], s[46:47], s[0:1]
	s_delay_alu instid0(VALU_DEP_1) | instid1(SALU_CYCLE_1)
	v_cmpx_gt_i64_e64 s[0:1], v[2:3]
	s_cbranch_execz .LBB207_30
; %bb.15:
	v_and_b32_e32 v4, 31, v0
	s_mov_b32 s13, 0
	s_mov_b32 s12, s21
	;; [unrolled: 1-line block ×3, first 2 shown]
	s_delay_alu instid0(VALU_DEP_1)
	v_sub_nc_u64_e64 v[4:5], v[4:5], s[12:13]
	s_branch .LBB207_17
.LBB207_16:                             ;   in Loop: Header=BB207_17 Depth=1
	s_or_b32 exec_lo, exec_lo, s31
	v_add_nc_u64_e32 v[2:3], 16, v[2:3]
	s_delay_alu instid0(VALU_DEP_1) | instskip(SKIP_1) | instid1(SALU_CYCLE_1)
	v_cmp_le_i64_e32 vcc_lo, s[0:1], v[2:3]
	s_or_b32 s30, vcc_lo, s30
	s_and_not1_b32 exec_lo, exec_lo, s30
	s_cbranch_execz .LBB207_30
.LBB207_17:                             ; =>This Loop Header: Depth=1
                                        ;     Child Loop BB207_21 Depth 2
                                        ;       Child Loop BB207_24 Depth 3
	v_lshl_add_u64 v[6:7], v[2:3], 2, s[14:15]
	s_mov_b32 s31, exec_lo
	global_load_b32 v1, v[6:7], off
	s_wait_loadcnt 0x0
	s_wait_xcnt 0x0
	v_subrev_nc_u32_e32 v6, s20, v1
	s_delay_alu instid0(VALU_DEP_1) | instskip(NEXT) | instid1(VALU_DEP_1)
	v_ashrrev_i32_e32 v7, 31, v6
	v_lshl_add_u64 v[6:7], v[6:7], 3, s[18:19]
	global_load_b128 v[8:11], v[6:7], off
	s_wait_loadcnt 0x0
	s_wait_xcnt 0x0
	v_sub_nc_u64_e64 v[6:7], v[10:11], s[12:13]
	v_add_nc_u64_e32 v[8:9], v[8:9], v[4:5]
	s_delay_alu instid0(VALU_DEP_1)
	v_cmpx_lt_i64_e64 v[8:9], v[6:7]
	s_cbranch_execz .LBB207_16
; %bb.18:                               ;   in Loop: Header=BB207_17 Depth=1
	v_lshl_add_u64 v[10:11], v[2:3], 3, s[16:17]
	s_mov_b32 s36, 0
	global_load_b64 v[10:11], v[10:11], off
	s_wait_loadcnt 0x0
	v_mul_f32_e64 v1, v11, -s3
	s_delay_alu instid0(VALU_DEP_1) | instskip(NEXT) | instid1(VALU_DEP_1)
	v_dual_mul_f32 v15, s40, v11 :: v_dual_fmac_f32 v1, s40, v10
	v_fmac_f32_e32 v15, s3, v10
	s_branch .LBB207_21
.LBB207_19:                             ;   in Loop: Header=BB207_21 Depth=2
	s_or_b32 exec_lo, exec_lo, s41
.LBB207_20:                             ;   in Loop: Header=BB207_21 Depth=2
	s_delay_alu instid0(SALU_CYCLE_1)
	s_or_b32 exec_lo, exec_lo, s37
	s_wait_loadcnt 0x0
	v_mul_f32_e64 v17, v11, -v15
	v_mul_f32_e32 v11, v1, v11
	v_lshl_add_u32 v16, v16, 3, 0
	v_add_nc_u64_e32 v[8:9], 32, v[8:9]
	s_delay_alu instid0(VALU_DEP_3) | instskip(SKIP_4) | instid1(SALU_CYCLE_1)
	v_dual_fmac_f32 v17, v1, v10 :: v_dual_fmac_f32 v11, v15, v10
	ds_add_f32 v16, v17 offset:4096
	ds_add_f32 v16, v11 offset:4100
	v_cmp_ge_i64_e32 vcc_lo, v[8:9], v[6:7]
	s_or_b32 s36, vcc_lo, s36
	s_and_not1_b32 exec_lo, exec_lo, s36
	s_cbranch_execz .LBB207_16
.LBB207_21:                             ;   Parent Loop BB207_17 Depth=1
                                        ; =>  This Loop Header: Depth=2
                                        ;       Child Loop BB207_24 Depth 3
	s_wait_xcnt 0x0
	v_lshl_add_u64 v[10:11], v[8:9], 2, s[24:25]
	s_mov_b32 s37, exec_lo
	global_load_b32 v16, v[10:11], off
	s_wait_xcnt 0x0
	v_lshl_add_u64 v[10:11], v[8:9], 3, s[26:27]
	global_load_b64 v[10:11], v[10:11], off
	s_wait_loadcnt 0x1
	v_subrev_nc_u32_e32 v17, s21, v16
	s_delay_alu instid0(VALU_DEP_1) | instskip(NEXT) | instid1(VALU_DEP_1)
	v_mul_lo_u32 v16, 0x89, v17
	v_and_b32_e32 v16, 0x3ff, v16
	s_delay_alu instid0(VALU_DEP_1)
	v_lshl_add_u32 v18, v16, 2, 0
	ds_load_b32 v19, v18
	s_wait_dscnt 0x0
	s_wait_xcnt 0x0
	v_cmpx_ne_u32_e64 v19, v17
	s_cbranch_execz .LBB207_20
; %bb.22:                               ;   in Loop: Header=BB207_21 Depth=2
	s_mov_b32 s41, 0
	s_branch .LBB207_24
.LBB207_23:                             ;   in Loop: Header=BB207_24 Depth=3
	s_or_b32 exec_lo, exec_lo, s44
	s_delay_alu instid0(SALU_CYCLE_1) | instskip(NEXT) | instid1(SALU_CYCLE_1)
	s_and_b32 s42, exec_lo, s43
	s_or_b32 s41, s42, s41
	s_delay_alu instid0(SALU_CYCLE_1)
	s_and_not1_b32 exec_lo, exec_lo, s41
	s_cbranch_execz .LBB207_19
.LBB207_24:                             ;   Parent Loop BB207_17 Depth=1
                                        ;     Parent Loop BB207_21 Depth=2
                                        ; =>    This Inner Loop Header: Depth=3
	s_mov_b32 s42, 0
	s_mov_b32 s43, exec_lo
	v_cmpx_ne_u32_e64 s33, v19
	s_xor_b32 s43, exec_lo, s43
	s_cbranch_execz .LBB207_26
; %bb.25:                               ;   in Loop: Header=BB207_24 Depth=3
	v_add_nc_u32_e32 v16, 1, v16
	s_mov_b32 s42, exec_lo
                                        ; implicit-def: $vgpr18
	s_delay_alu instid0(VALU_DEP_1)
	v_and_b32_e32 v16, 0x3ff, v16
	s_and_not1_saveexec_b32 s43, s43
	s_cbranch_execz .LBB207_28
	s_branch .LBB207_27
.LBB207_26:                             ;   in Loop: Header=BB207_24 Depth=3
	s_and_not1_saveexec_b32 s43, s43
	s_cbranch_execz .LBB207_28
.LBB207_27:                             ;   in Loop: Header=BB207_24 Depth=3
	v_mov_b32_e32 v19, s33
	s_and_not1_b32 s42, s42, exec_lo
	ds_cmpstore_rtn_b32 v18, v18, v17, v19
	s_wait_dscnt 0x0
	v_cmp_ne_u32_e32 vcc_lo, s33, v18
	s_and_b32 s44, vcc_lo, exec_lo
	s_delay_alu instid0(SALU_CYCLE_1)
	s_or_b32 s42, s42, s44
.LBB207_28:                             ;   in Loop: Header=BB207_24 Depth=3
	s_or_b32 exec_lo, exec_lo, s43
	s_mov_b32 s43, -1
                                        ; implicit-def: $vgpr18
                                        ; implicit-def: $vgpr19
	s_and_saveexec_b32 s44, s42
	s_cbranch_execz .LBB207_23
; %bb.29:                               ;   in Loop: Header=BB207_24 Depth=3
	v_lshl_add_u32 v18, v16, 2, 0
	ds_load_b32 v19, v18
	s_wait_dscnt 0x0
	v_cmp_eq_u32_e32 vcc_lo, v19, v17
	s_or_not1_b32 s43, vcc_lo, exec_lo
	s_branch .LBB207_23
.LBB207_30:
	s_or_b32 exec_lo, exec_lo, s29
.LBB207_31:
	s_delay_alu instid0(SALU_CYCLE_1)
	s_and_not1_b32 vcc_lo, exec_lo, s2
	s_cbranch_vccnz .LBB207_34
; %bb.32:
	s_wait_kmcnt 0x0
	s_ashr_i32 s29, s28, 31
	v_mov_b32_e32 v1, 0
	s_lshl_b64 s[0:1], s[28:29], 3
	s_delay_alu instid0(SALU_CYCLE_1) | instskip(SKIP_4) | instid1(SALU_CYCLE_1)
	s_add_nc_u64 s[0:1], s[4:5], s[0:1]
	s_load_b128 s[12:15], s[0:1], 0x0
	s_wait_xcnt 0x0
	s_mov_b32 s1, 0
	s_mov_b32 s0, s23
	v_sub_nc_u64_e64 v[2:3], v[0:1], s[0:1]
	s_wait_kmcnt 0x0
	s_delay_alu instid0(VALU_DEP_1) | instskip(SKIP_2) | instid1(VALU_DEP_1)
	v_add_nc_u64_e32 v[2:3], s[12:13], v[2:3]
	s_sub_nc_u64 s[2:3], s[14:15], s[0:1]
	s_mov_b32 s0, exec_lo
	v_cmpx_gt_i64_e64 s[2:3], v[2:3]
	s_cbranch_execnz .LBB207_56
.LBB207_33:
	s_or_b32 exec_lo, exec_lo, s0
.LBB207_34:
	v_mbcnt_lo_u32_b32 v2, -1, 0
	v_dual_lshrrev_b32 v3, 4, v0 :: v_dual_mov_b32 v1, 0
	s_wait_xcnt 0x0
	v_cmp_lt_u32_e64 s0, 63, v0
	v_cmp_lt_u32_e64 s1, 0x7f, v0
	s_delay_alu instid0(VALU_DEP_3)
	v_dual_mov_b32 v6, 0 :: v_dual_bitop2_b32 v3, 28, v3 bitop3:0x40
	v_xor_b32_e32 v2, 31, v2
	v_cmp_lt_u32_e64 s2, 0xbf, v0
	v_cmp_lt_u32_e64 s3, 0xff, v0
	;; [unrolled: 1-line block ×3, first 2 shown]
	v_add_nc_u32_e32 v3, 0, v3
	v_lshrrev_b32_e64 v2, v2, -1
	v_cmp_lt_u32_e64 s5, 0x17f, v0
	v_cmp_lt_u32_e64 s6, 0x1bf, v0
	s_mov_b32 s8, 0
	s_wait_dscnt 0x0
	v_cmp_eq_u32_e32 vcc_lo, 0x1ff, v0
	s_barrier_signal -1
	s_barrier_wait -1
	s_branch .LBB207_36
.LBB207_35:                             ;   in Loop: Header=BB207_36 Depth=1
	s_or_b32 exec_lo, exec_lo, s7
	s_wait_dscnt 0x0
	s_barrier_signal -1
	s_barrier_wait -1
	ds_load_b32 v4, v1 offset:12316
	v_add_co_u32 v13, s7, 0x200, v13
	s_xor_b32 s7, s7, -1
	v_add_nc_u32_e32 v14, 0x1000, v14
	v_add_nc_u32_e32 v12, 0x800, v12
	s_and_b32 s7, exec_lo, s7
	s_delay_alu instid0(SALU_CYCLE_1)
	s_or_b32 s8, s7, s8
	s_wait_dscnt 0x0
	v_add_nc_u32_e32 v6, v4, v6
	s_and_not1_b32 exec_lo, exec_lo, s8
	s_cbranch_execz .LBB207_65
.LBB207_36:                             ; =>This Inner Loop Header: Depth=1
	ds_load_b32 v7, v12
	ds_load_2addr_b32 v[4:5], v14 offset1:1
	s_wait_dscnt 0x0
	s_barrier_signal -1
	s_barrier_wait -1
	v_cmp_gt_i32_e64 s7, s33, v7
	s_bcnt1_i32_b32 s9, s7
	s_delay_alu instid0(SALU_CYCLE_1) | instskip(NEXT) | instid1(VALU_DEP_1)
	v_dual_mov_b32 v9, s9 :: v_dual_bitop2_b32 v8, s7, v2 bitop3:0x40
	v_bcnt_u32_b32 v8, v8, 0
	ds_store_b32 v3, v9 offset:12288
	s_wait_dscnt 0x0
	s_barrier_signal -1
	s_barrier_wait -1
	s_and_saveexec_b32 s9, s0
	s_cbranch_execz .LBB207_45
; %bb.37:                               ;   in Loop: Header=BB207_36 Depth=1
	ds_load_b32 v9, v1 offset:12288
	s_wait_dscnt 0x0
	v_add_nc_u32_e32 v8, v9, v8
	s_or_b32 exec_lo, exec_lo, s9
	s_and_saveexec_b32 s9, s1
	s_cbranch_execnz .LBB207_46
.LBB207_38:                             ;   in Loop: Header=BB207_36 Depth=1
	s_or_b32 exec_lo, exec_lo, s9
	s_and_saveexec_b32 s9, s2
	s_cbranch_execz .LBB207_47
.LBB207_39:                             ;   in Loop: Header=BB207_36 Depth=1
	ds_load_b32 v9, v1 offset:12296
	s_wait_dscnt 0x0
	v_add_nc_u32_e32 v8, v9, v8
	s_or_b32 exec_lo, exec_lo, s9
	s_and_saveexec_b32 s9, s3
	s_cbranch_execnz .LBB207_48
.LBB207_40:                             ;   in Loop: Header=BB207_36 Depth=1
	s_or_b32 exec_lo, exec_lo, s9
	s_and_saveexec_b32 s9, s4
	s_cbranch_execz .LBB207_49
.LBB207_41:                             ;   in Loop: Header=BB207_36 Depth=1
	ds_load_b32 v9, v1 offset:12304
	s_wait_dscnt 0x0
	v_add_nc_u32_e32 v8, v9, v8
	s_or_b32 exec_lo, exec_lo, s9
	s_and_saveexec_b32 s9, s5
	s_cbranch_execnz .LBB207_50
.LBB207_42:                             ;   in Loop: Header=BB207_36 Depth=1
	s_or_b32 exec_lo, exec_lo, s9
	s_and_saveexec_b32 s9, s6
	s_cbranch_execz .LBB207_51
.LBB207_43:                             ;   in Loop: Header=BB207_36 Depth=1
	ds_load_b32 v9, v1 offset:12312
	s_wait_dscnt 0x0
	v_add_nc_u32_e32 v8, v9, v8
	s_or_b32 exec_lo, exec_lo, s9
	s_and_saveexec_b32 s9, s7
	s_cbranch_execnz .LBB207_52
.LBB207_44:                             ;   in Loop: Header=BB207_36 Depth=1
	s_or_b32 exec_lo, exec_lo, s9
	s_and_saveexec_b32 s7, vcc_lo
	s_cbranch_execz .LBB207_35
	s_branch .LBB207_53
.LBB207_45:                             ;   in Loop: Header=BB207_36 Depth=1
	s_or_b32 exec_lo, exec_lo, s9
	s_and_saveexec_b32 s9, s1
	s_cbranch_execz .LBB207_38
.LBB207_46:                             ;   in Loop: Header=BB207_36 Depth=1
	ds_load_b32 v9, v1 offset:12292
	s_wait_dscnt 0x0
	v_add_nc_u32_e32 v8, v9, v8
	s_or_b32 exec_lo, exec_lo, s9
	s_and_saveexec_b32 s9, s2
	s_cbranch_execnz .LBB207_39
.LBB207_47:                             ;   in Loop: Header=BB207_36 Depth=1
	s_or_b32 exec_lo, exec_lo, s9
	s_and_saveexec_b32 s9, s3
	s_cbranch_execz .LBB207_40
.LBB207_48:                             ;   in Loop: Header=BB207_36 Depth=1
	ds_load_b32 v9, v1 offset:12300
	s_wait_dscnt 0x0
	v_add_nc_u32_e32 v8, v9, v8
	s_or_b32 exec_lo, exec_lo, s9
	s_and_saveexec_b32 s9, s4
	s_cbranch_execnz .LBB207_41
.LBB207_49:                             ;   in Loop: Header=BB207_36 Depth=1
	s_or_b32 exec_lo, exec_lo, s9
	s_and_saveexec_b32 s9, s5
	s_cbranch_execz .LBB207_42
.LBB207_50:                             ;   in Loop: Header=BB207_36 Depth=1
	ds_load_b32 v9, v1 offset:12308
	s_wait_dscnt 0x0
	v_add_nc_u32_e32 v8, v9, v8
	s_or_b32 exec_lo, exec_lo, s9
	s_and_saveexec_b32 s9, s6
	s_cbranch_execnz .LBB207_43
.LBB207_51:                             ;   in Loop: Header=BB207_36 Depth=1
	s_or_b32 exec_lo, exec_lo, s9
	s_and_saveexec_b32 s9, s7
	s_cbranch_execz .LBB207_44
.LBB207_52:                             ;   in Loop: Header=BB207_36 Depth=1
	s_delay_alu instid0(VALU_DEP_1) | instskip(SKIP_1) | instid1(VALU_DEP_2)
	v_add3_u32 v9, v6, -1, v8
	v_add_lshl_u32 v10, v6, v8, 3
	v_lshl_add_u32 v9, v9, 2, 0
	s_delay_alu instid0(VALU_DEP_2)
	v_add3_u32 v10, 0, v10, 0xff8
	ds_store_b32 v9, v7
	ds_store_2addr_b32 v10, v4, v5 offset1:1
	s_or_b32 exec_lo, exec_lo, s9
	s_and_saveexec_b32 s7, vcc_lo
	s_cbranch_execz .LBB207_35
.LBB207_53:                             ;   in Loop: Header=BB207_36 Depth=1
	ds_store_b32 v1, v8 offset:12316
	s_branch .LBB207_35
.LBB207_54:                             ;   in Loop: Header=BB207_56 Depth=1
	s_or_b32 exec_lo, exec_lo, s5
.LBB207_55:                             ;   in Loop: Header=BB207_56 Depth=1
	s_delay_alu instid0(SALU_CYCLE_1)
	s_or_b32 exec_lo, exec_lo, s4
	s_wait_loadcnt 0x0
	v_mul_f32_e64 v6, v5, -s39
	v_mul_f32_e32 v5, s38, v5
	v_lshl_add_u32 v1, v1, 3, 0
	v_add_nc_u64_e32 v[2:3], 0x200, v[2:3]
	s_delay_alu instid0(VALU_DEP_3) | instskip(SKIP_4) | instid1(SALU_CYCLE_1)
	v_dual_fmac_f32 v6, s38, v4 :: v_dual_fmac_f32 v5, s39, v4
	ds_add_f32 v1, v6 offset:4096
	ds_add_f32 v1, v5 offset:4100
	v_cmp_le_i64_e32 vcc_lo, s[2:3], v[2:3]
	s_or_b32 s1, vcc_lo, s1
	s_and_not1_b32 exec_lo, exec_lo, s1
	s_cbranch_execz .LBB207_33
.LBB207_56:                             ; =>This Loop Header: Depth=1
                                        ;     Child Loop BB207_59 Depth 2
	v_lshl_add_u64 v[4:5], v[2:3], 2, s[6:7]
	s_mov_b32 s4, exec_lo
	global_load_b32 v1, v[4:5], off
	s_wait_xcnt 0x0
	v_lshl_add_u64 v[4:5], v[2:3], 3, s[8:9]
	global_load_b64 v[4:5], v[4:5], off
	s_wait_loadcnt 0x1
	v_subrev_nc_u32_e32 v6, s23, v1
	s_delay_alu instid0(VALU_DEP_1) | instskip(NEXT) | instid1(VALU_DEP_1)
	v_mul_lo_u32 v1, 0x89, v6
	v_and_b32_e32 v1, 0x3ff, v1
	s_delay_alu instid0(VALU_DEP_1)
	v_lshl_add_u32 v7, v1, 2, 0
	ds_load_b32 v8, v7
	s_wait_dscnt 0x0
	s_wait_xcnt 0x0
	v_cmpx_ne_u32_e64 v8, v6
	s_cbranch_execz .LBB207_55
; %bb.57:                               ;   in Loop: Header=BB207_56 Depth=1
	s_mov_b32 s5, 0
	s_branch .LBB207_59
.LBB207_58:                             ;   in Loop: Header=BB207_59 Depth=2
	s_or_b32 exec_lo, exec_lo, s14
	s_delay_alu instid0(SALU_CYCLE_1) | instskip(NEXT) | instid1(SALU_CYCLE_1)
	s_and_b32 s12, exec_lo, s13
	s_or_b32 s5, s12, s5
	s_delay_alu instid0(SALU_CYCLE_1)
	s_and_not1_b32 exec_lo, exec_lo, s5
	s_cbranch_execz .LBB207_54
.LBB207_59:                             ;   Parent Loop BB207_56 Depth=1
                                        ; =>  This Inner Loop Header: Depth=2
	s_mov_b32 s12, 0
	s_mov_b32 s13, exec_lo
	v_cmpx_ne_u32_e64 s33, v8
	s_xor_b32 s13, exec_lo, s13
	s_cbranch_execz .LBB207_61
; %bb.60:                               ;   in Loop: Header=BB207_59 Depth=2
	v_add_nc_u32_e32 v1, 1, v1
	s_mov_b32 s12, exec_lo
                                        ; implicit-def: $vgpr7
	s_delay_alu instid0(VALU_DEP_1)
	v_and_b32_e32 v1, 0x3ff, v1
	s_and_not1_saveexec_b32 s13, s13
	s_cbranch_execz .LBB207_63
	s_branch .LBB207_62
.LBB207_61:                             ;   in Loop: Header=BB207_59 Depth=2
	s_and_not1_saveexec_b32 s13, s13
	s_cbranch_execz .LBB207_63
.LBB207_62:                             ;   in Loop: Header=BB207_59 Depth=2
	v_mov_b32_e32 v8, s33
	s_and_not1_b32 s12, s12, exec_lo
	ds_cmpstore_rtn_b32 v7, v7, v6, v8
	s_wait_dscnt 0x0
	v_cmp_ne_u32_e32 vcc_lo, s33, v7
	s_and_b32 s14, vcc_lo, exec_lo
	s_delay_alu instid0(SALU_CYCLE_1)
	s_or_b32 s12, s12, s14
.LBB207_63:                             ;   in Loop: Header=BB207_59 Depth=2
	s_or_b32 exec_lo, exec_lo, s13
	s_mov_b32 s13, -1
                                        ; implicit-def: $vgpr7
                                        ; implicit-def: $vgpr8
	s_and_saveexec_b32 s14, s12
	s_cbranch_execz .LBB207_58
; %bb.64:                               ;   in Loop: Header=BB207_59 Depth=2
	v_lshl_add_u32 v7, v1, 2, 0
	ds_load_b32 v8, v7
	s_wait_dscnt 0x0
	v_cmp_eq_u32_e32 vcc_lo, v8, v6
	s_or_not1_b32 s13, vcc_lo, exec_lo
	s_branch .LBB207_58
.LBB207_65:
	s_or_b32 exec_lo, exec_lo, s8
	s_wait_kmcnt 0x0
	s_ashr_i32 s29, s28, 31
	s_delay_alu instid0(SALU_CYCLE_1) | instskip(NEXT) | instid1(SALU_CYCLE_1)
	s_lshl_b64 s[0:1], s[28:29], 3
	s_add_nc_u64 s[4:5], s[10:11], s[0:1]
	s_load_b128 s[0:3], s[4:5], 0x0
	s_wait_xcnt 0x0
	s_mov_b32 s4, exec_lo
	s_wait_kmcnt 0x0
	s_sub_co_i32 s3, s2, s0
	s_delay_alu instid0(SALU_CYCLE_1)
	v_cmpx_gt_i32_e64 s3, v0
	s_cbranch_execz .LBB207_75
; %bb.66:
	s_sub_co_i32 s4, s0, s2
	s_and_b32 s2, s3, 7
	s_cmp_lt_u32 s4, -7
	s_mov_b32 s23, 0
	s_cselect_b32 s4, -1, 0
	s_and_b32 s5, s3, -8
	s_cmp_lg_u32 s2, 0
	s_sub_nc_u64 s[0:1], s[0:1], s[22:23]
	s_cselect_b32 s6, -1, 0
	s_mov_b32 s7, 0
	s_branch .LBB207_68
.LBB207_67:                             ;   in Loop: Header=BB207_68 Depth=1
	v_add_nc_u32_e32 v0, 0x200, v0
	s_delay_alu instid0(VALU_DEP_2) | instskip(NEXT) | instid1(VALU_DEP_2)
	v_lshl_add_u64 v[4:5], v[4:5], 3, s[34:35]
	v_cmp_le_i32_e32 vcc_lo, s3, v0
	s_wait_dscnt 0x0
	global_store_b64 v[4:5], v[2:3], off
	s_or_b32 s7, vcc_lo, s7
	s_wait_xcnt 0x0
	s_and_not1_b32 exec_lo, exec_lo, s7
	s_cbranch_execz .LBB207_75
.LBB207_68:                             ; =>This Loop Header: Depth=1
                                        ;     Child Loop BB207_70 Depth 2
                                        ;     Child Loop BB207_74 Depth 2
	v_lshlrev_b32_e32 v1, 2, v0
	v_mov_b64_e32 v[4:5], s[0:1]
	s_and_not1_b32 vcc_lo, exec_lo, s4
	s_mov_b32 s8, 0
	s_delay_alu instid0(VALU_DEP_2) | instskip(NEXT) | instid1(VALU_DEP_1)
	v_add_nc_u32_e32 v2, 0, v1
	v_add3_u32 v3, v2, v1, 0x1000
	ds_load_b32 v1, v2
	ds_load_2addr_b32 v[2:3], v3 offset1:1
	s_cbranch_vccnz .LBB207_72
; %bb.69:                               ;   in Loop: Header=BB207_68 Depth=1
	v_mov_b64_e32 v[4:5], s[0:1]
	s_mov_b32 s9, 0
.LBB207_70:                             ;   Parent Loop BB207_68 Depth=1
                                        ; =>  This Inner Loop Header: Depth=2
	s_delay_alu instid0(SALU_CYCLE_1)
	v_dual_mov_b32 v10, s9 :: v_dual_mov_b32 v11, s23
	v_mov_b32_e32 v17, s23
	s_add_co_i32 s8, s8, 8
	s_add_co_i32 s9, s9, 32
	ds_load_2addr_b32 v[6:7], v10 offset1:1
	ds_load_2addr_b32 v[8:9], v10 offset0:2 offset1:3
	ds_load_2addr_b32 v[12:13], v10 offset0:4 offset1:5
	;; [unrolled: 1-line block ×3, first 2 shown]
	s_cmp_eq_u32 s5, s8
	s_wait_dscnt 0x3
	v_cmp_gt_i32_e32 vcc_lo, v1, v6
	v_cndmask_b32_e64 v10, 0, 1, vcc_lo
	v_cmp_gt_i32_e32 vcc_lo, v1, v7
	v_mov_b32_e32 v7, s23
	s_delay_alu instid0(VALU_DEP_3) | instskip(SKIP_4) | instid1(VALU_DEP_3)
	v_add_nc_u64_e32 v[4:5], v[4:5], v[10:11]
	v_cndmask_b32_e64 v16, 0, 1, vcc_lo
	s_wait_dscnt 0x2
	v_cmp_gt_i32_e32 vcc_lo, v1, v8
	v_cndmask_b32_e64 v6, 0, 1, vcc_lo
	v_add_nc_u64_e32 v[4:5], v[4:5], v[16:17]
	v_cmp_gt_i32_e32 vcc_lo, v1, v9
	v_mov_b32_e32 v9, s23
	v_cndmask_b32_e64 v10, 0, 1, vcc_lo
	s_delay_alu instid0(VALU_DEP_4) | instskip(SKIP_3) | instid1(VALU_DEP_3)
	v_add_nc_u64_e32 v[4:5], v[4:5], v[6:7]
	s_wait_dscnt 0x1
	v_cmp_gt_i32_e32 vcc_lo, v1, v12
	v_cndmask_b32_e64 v6, 0, 1, vcc_lo
	v_add_nc_u64_e32 v[4:5], v[4:5], v[10:11]
	v_cmp_gt_i32_e32 vcc_lo, v1, v13
	v_cndmask_b32_e64 v8, 0, 1, vcc_lo
	s_delay_alu instid0(VALU_DEP_3) | instskip(SKIP_3) | instid1(VALU_DEP_3)
	v_add_nc_u64_e32 v[4:5], v[4:5], v[6:7]
	s_wait_dscnt 0x0
	v_cmp_gt_i32_e32 vcc_lo, v1, v14
	v_cndmask_b32_e64 v6, 0, 1, vcc_lo
	v_add_nc_u64_e32 v[4:5], v[4:5], v[8:9]
	v_cmp_gt_i32_e32 vcc_lo, v1, v15
	v_cndmask_b32_e64 v8, 0, 1, vcc_lo
	s_delay_alu instid0(VALU_DEP_3) | instskip(NEXT) | instid1(VALU_DEP_1)
	v_add_nc_u64_e32 v[4:5], v[4:5], v[6:7]
	v_add_nc_u64_e32 v[4:5], v[4:5], v[8:9]
	s_cbranch_scc0 .LBB207_70
; %bb.71:                               ;   in Loop: Header=BB207_68 Depth=1
	s_mov_b32 s8, s5
.LBB207_72:                             ;   in Loop: Header=BB207_68 Depth=1
	s_and_not1_b32 vcc_lo, exec_lo, s6
	s_cbranch_vccnz .LBB207_67
; %bb.73:                               ;   in Loop: Header=BB207_68 Depth=1
	s_lshl_b32 s8, s8, 2
	s_mov_b32 s9, s2
	s_add_co_i32 s8, s8, 0
.LBB207_74:                             ;   Parent Loop BB207_68 Depth=1
                                        ; =>  This Inner Loop Header: Depth=2
	s_delay_alu instid0(SALU_CYCLE_1)
	v_dual_mov_b32 v6, s8 :: v_dual_mov_b32 v7, s23
	s_add_co_i32 s9, s9, -1
	s_add_co_i32 s8, s8, 4
	s_cmp_lg_u32 s9, 0
	ds_load_b32 v6, v6
	s_wait_dscnt 0x0
	v_cmp_gt_i32_e32 vcc_lo, v1, v6
	v_cndmask_b32_e64 v6, 0, 1, vcc_lo
	s_delay_alu instid0(VALU_DEP_1)
	v_add_nc_u64_e32 v[4:5], v[4:5], v[6:7]
	s_cbranch_scc1 .LBB207_74
	s_branch .LBB207_67
.LBB207_75:
	s_endpgm
	.section	.rodata,"a",@progbits
	.p2align	6, 0x0
	.amdhsa_kernel _ZN9rocsparseL41csrgemm_numeric_fill_block_per_row_kernelILj512ELj32ELj1024ELj137ELj64Eli21rocsparse_complex_numIfEEEvT5_PKS3_S5_NS_24const_host_device_scalarIT6_EEPKT4_S5_PKS7_SB_S5_SD_S8_SB_S5_SD_SB_S5_PS7_21rocsparse_index_base_SF_SF_SF_bbb
		.amdhsa_group_segment_fixed_size 0
		.amdhsa_private_segment_fixed_size 0
		.amdhsa_kernarg_size 156
		.amdhsa_user_sgpr_count 2
		.amdhsa_user_sgpr_dispatch_ptr 0
		.amdhsa_user_sgpr_queue_ptr 0
		.amdhsa_user_sgpr_kernarg_segment_ptr 1
		.amdhsa_user_sgpr_dispatch_id 0
		.amdhsa_user_sgpr_kernarg_preload_length 0
		.amdhsa_user_sgpr_kernarg_preload_offset 0
		.amdhsa_user_sgpr_private_segment_size 0
		.amdhsa_wavefront_size32 1
		.amdhsa_uses_dynamic_stack 0
		.amdhsa_enable_private_segment 0
		.amdhsa_system_sgpr_workgroup_id_x 1
		.amdhsa_system_sgpr_workgroup_id_y 0
		.amdhsa_system_sgpr_workgroup_id_z 0
		.amdhsa_system_sgpr_workgroup_info 0
		.amdhsa_system_vgpr_workitem_id 0
		.amdhsa_next_free_vgpr 20
		.amdhsa_next_free_sgpr 48
		.amdhsa_named_barrier_count 0
		.amdhsa_reserve_vcc 1
		.amdhsa_float_round_mode_32 0
		.amdhsa_float_round_mode_16_64 0
		.amdhsa_float_denorm_mode_32 3
		.amdhsa_float_denorm_mode_16_64 3
		.amdhsa_fp16_overflow 0
		.amdhsa_memory_ordered 1
		.amdhsa_forward_progress 1
		.amdhsa_inst_pref_size 24
		.amdhsa_round_robin_scheduling 0
		.amdhsa_exception_fp_ieee_invalid_op 0
		.amdhsa_exception_fp_denorm_src 0
		.amdhsa_exception_fp_ieee_div_zero 0
		.amdhsa_exception_fp_ieee_overflow 0
		.amdhsa_exception_fp_ieee_underflow 0
		.amdhsa_exception_fp_ieee_inexact 0
		.amdhsa_exception_int_div_zero 0
	.end_amdhsa_kernel
	.section	.text._ZN9rocsparseL41csrgemm_numeric_fill_block_per_row_kernelILj512ELj32ELj1024ELj137ELj64Eli21rocsparse_complex_numIfEEEvT5_PKS3_S5_NS_24const_host_device_scalarIT6_EEPKT4_S5_PKS7_SB_S5_SD_S8_SB_S5_SD_SB_S5_PS7_21rocsparse_index_base_SF_SF_SF_bbb,"axG",@progbits,_ZN9rocsparseL41csrgemm_numeric_fill_block_per_row_kernelILj512ELj32ELj1024ELj137ELj64Eli21rocsparse_complex_numIfEEEvT5_PKS3_S5_NS_24const_host_device_scalarIT6_EEPKT4_S5_PKS7_SB_S5_SD_S8_SB_S5_SD_SB_S5_PS7_21rocsparse_index_base_SF_SF_SF_bbb,comdat
.Lfunc_end207:
	.size	_ZN9rocsparseL41csrgemm_numeric_fill_block_per_row_kernelILj512ELj32ELj1024ELj137ELj64Eli21rocsparse_complex_numIfEEEvT5_PKS3_S5_NS_24const_host_device_scalarIT6_EEPKT4_S5_PKS7_SB_S5_SD_S8_SB_S5_SD_SB_S5_PS7_21rocsparse_index_base_SF_SF_SF_bbb, .Lfunc_end207-_ZN9rocsparseL41csrgemm_numeric_fill_block_per_row_kernelILj512ELj32ELj1024ELj137ELj64Eli21rocsparse_complex_numIfEEEvT5_PKS3_S5_NS_24const_host_device_scalarIT6_EEPKT4_S5_PKS7_SB_S5_SD_S8_SB_S5_SD_SB_S5_PS7_21rocsparse_index_base_SF_SF_SF_bbb
                                        ; -- End function
	.set _ZN9rocsparseL41csrgemm_numeric_fill_block_per_row_kernelILj512ELj32ELj1024ELj137ELj64Eli21rocsparse_complex_numIfEEEvT5_PKS3_S5_NS_24const_host_device_scalarIT6_EEPKT4_S5_PKS7_SB_S5_SD_S8_SB_S5_SD_SB_S5_PS7_21rocsparse_index_base_SF_SF_SF_bbb.num_vgpr, 20
	.set _ZN9rocsparseL41csrgemm_numeric_fill_block_per_row_kernelILj512ELj32ELj1024ELj137ELj64Eli21rocsparse_complex_numIfEEEvT5_PKS3_S5_NS_24const_host_device_scalarIT6_EEPKT4_S5_PKS7_SB_S5_SD_S8_SB_S5_SD_SB_S5_PS7_21rocsparse_index_base_SF_SF_SF_bbb.num_agpr, 0
	.set _ZN9rocsparseL41csrgemm_numeric_fill_block_per_row_kernelILj512ELj32ELj1024ELj137ELj64Eli21rocsparse_complex_numIfEEEvT5_PKS3_S5_NS_24const_host_device_scalarIT6_EEPKT4_S5_PKS7_SB_S5_SD_S8_SB_S5_SD_SB_S5_PS7_21rocsparse_index_base_SF_SF_SF_bbb.numbered_sgpr, 48
	.set _ZN9rocsparseL41csrgemm_numeric_fill_block_per_row_kernelILj512ELj32ELj1024ELj137ELj64Eli21rocsparse_complex_numIfEEEvT5_PKS3_S5_NS_24const_host_device_scalarIT6_EEPKT4_S5_PKS7_SB_S5_SD_S8_SB_S5_SD_SB_S5_PS7_21rocsparse_index_base_SF_SF_SF_bbb.num_named_barrier, 0
	.set _ZN9rocsparseL41csrgemm_numeric_fill_block_per_row_kernelILj512ELj32ELj1024ELj137ELj64Eli21rocsparse_complex_numIfEEEvT5_PKS3_S5_NS_24const_host_device_scalarIT6_EEPKT4_S5_PKS7_SB_S5_SD_S8_SB_S5_SD_SB_S5_PS7_21rocsparse_index_base_SF_SF_SF_bbb.private_seg_size, 0
	.set _ZN9rocsparseL41csrgemm_numeric_fill_block_per_row_kernelILj512ELj32ELj1024ELj137ELj64Eli21rocsparse_complex_numIfEEEvT5_PKS3_S5_NS_24const_host_device_scalarIT6_EEPKT4_S5_PKS7_SB_S5_SD_S8_SB_S5_SD_SB_S5_PS7_21rocsparse_index_base_SF_SF_SF_bbb.uses_vcc, 1
	.set _ZN9rocsparseL41csrgemm_numeric_fill_block_per_row_kernelILj512ELj32ELj1024ELj137ELj64Eli21rocsparse_complex_numIfEEEvT5_PKS3_S5_NS_24const_host_device_scalarIT6_EEPKT4_S5_PKS7_SB_S5_SD_S8_SB_S5_SD_SB_S5_PS7_21rocsparse_index_base_SF_SF_SF_bbb.uses_flat_scratch, 0
	.set _ZN9rocsparseL41csrgemm_numeric_fill_block_per_row_kernelILj512ELj32ELj1024ELj137ELj64Eli21rocsparse_complex_numIfEEEvT5_PKS3_S5_NS_24const_host_device_scalarIT6_EEPKT4_S5_PKS7_SB_S5_SD_S8_SB_S5_SD_SB_S5_PS7_21rocsparse_index_base_SF_SF_SF_bbb.has_dyn_sized_stack, 0
	.set _ZN9rocsparseL41csrgemm_numeric_fill_block_per_row_kernelILj512ELj32ELj1024ELj137ELj64Eli21rocsparse_complex_numIfEEEvT5_PKS3_S5_NS_24const_host_device_scalarIT6_EEPKT4_S5_PKS7_SB_S5_SD_S8_SB_S5_SD_SB_S5_PS7_21rocsparse_index_base_SF_SF_SF_bbb.has_recursion, 0
	.set _ZN9rocsparseL41csrgemm_numeric_fill_block_per_row_kernelILj512ELj32ELj1024ELj137ELj64Eli21rocsparse_complex_numIfEEEvT5_PKS3_S5_NS_24const_host_device_scalarIT6_EEPKT4_S5_PKS7_SB_S5_SD_S8_SB_S5_SD_SB_S5_PS7_21rocsparse_index_base_SF_SF_SF_bbb.has_indirect_call, 0
	.section	.AMDGPU.csdata,"",@progbits
; Kernel info:
; codeLenInByte = 2976
; TotalNumSgprs: 50
; NumVgprs: 20
; ScratchSize: 0
; MemoryBound: 0
; FloatMode: 240
; IeeeMode: 1
; LDSByteSize: 0 bytes/workgroup (compile time only)
; SGPRBlocks: 0
; VGPRBlocks: 1
; NumSGPRsForWavesPerEU: 50
; NumVGPRsForWavesPerEU: 20
; NamedBarCnt: 0
; Occupancy: 16
; WaveLimiterHint : 1
; COMPUTE_PGM_RSRC2:SCRATCH_EN: 0
; COMPUTE_PGM_RSRC2:USER_SGPR: 2
; COMPUTE_PGM_RSRC2:TRAP_HANDLER: 0
; COMPUTE_PGM_RSRC2:TGID_X_EN: 1
; COMPUTE_PGM_RSRC2:TGID_Y_EN: 0
; COMPUTE_PGM_RSRC2:TGID_Z_EN: 0
; COMPUTE_PGM_RSRC2:TIDIG_COMP_CNT: 0
	.section	.text._ZN9rocsparseL41csrgemm_numeric_fill_block_per_row_kernelILj1024ELj32ELj2048ELj137ELj32Eli21rocsparse_complex_numIfEEEvT5_PKS3_S5_NS_24const_host_device_scalarIT6_EEPKT4_S5_PKS7_SB_S5_SD_S8_SB_S5_SD_SB_S5_PS7_21rocsparse_index_base_SF_SF_SF_bbb,"axG",@progbits,_ZN9rocsparseL41csrgemm_numeric_fill_block_per_row_kernelILj1024ELj32ELj2048ELj137ELj32Eli21rocsparse_complex_numIfEEEvT5_PKS3_S5_NS_24const_host_device_scalarIT6_EEPKT4_S5_PKS7_SB_S5_SD_S8_SB_S5_SD_SB_S5_PS7_21rocsparse_index_base_SF_SF_SF_bbb,comdat
	.globl	_ZN9rocsparseL41csrgemm_numeric_fill_block_per_row_kernelILj1024ELj32ELj2048ELj137ELj32Eli21rocsparse_complex_numIfEEEvT5_PKS3_S5_NS_24const_host_device_scalarIT6_EEPKT4_S5_PKS7_SB_S5_SD_S8_SB_S5_SD_SB_S5_PS7_21rocsparse_index_base_SF_SF_SF_bbb ; -- Begin function _ZN9rocsparseL41csrgemm_numeric_fill_block_per_row_kernelILj1024ELj32ELj2048ELj137ELj32Eli21rocsparse_complex_numIfEEEvT5_PKS3_S5_NS_24const_host_device_scalarIT6_EEPKT4_S5_PKS7_SB_S5_SD_S8_SB_S5_SD_SB_S5_PS7_21rocsparse_index_base_SF_SF_SF_bbb
	.p2align	8
	.type	_ZN9rocsparseL41csrgemm_numeric_fill_block_per_row_kernelILj1024ELj32ELj2048ELj137ELj32Eli21rocsparse_complex_numIfEEEvT5_PKS3_S5_NS_24const_host_device_scalarIT6_EEPKT4_S5_PKS7_SB_S5_SD_S8_SB_S5_SD_SB_S5_PS7_21rocsparse_index_base_SF_SF_SF_bbb,@function
_ZN9rocsparseL41csrgemm_numeric_fill_block_per_row_kernelILj1024ELj32ELj2048ELj137ELj32Eli21rocsparse_complex_numIfEEEvT5_PKS3_S5_NS_24const_host_device_scalarIT6_EEPKT4_S5_PKS7_SB_S5_SD_S8_SB_S5_SD_SB_S5_PS7_21rocsparse_index_base_SF_SF_SF_bbb: ; @_ZN9rocsparseL41csrgemm_numeric_fill_block_per_row_kernelILj1024ELj32ELj2048ELj137ELj32Eli21rocsparse_complex_numIfEEEvT5_PKS3_S5_NS_24const_host_device_scalarIT6_EEPKT4_S5_PKS7_SB_S5_SD_S8_SB_S5_SD_SB_S5_PS7_21rocsparse_index_base_SF_SF_SF_bbb
; %bb.0:
	s_clause 0x3
	s_load_b32 s22, s[0:1], 0x98
	s_load_b128 s[44:47], s[0:1], 0x88
	s_load_b128 s[16:19], s[0:1], 0x8
	s_load_b64 s[20:21], s[0:1], 0x50
	s_mov_b32 s3, 0
	s_mov_b32 s24, 0
	s_wait_kmcnt 0x0
	s_bitcmp1_b32 s22, 0
	s_cselect_b32 s25, -1, 0
	s_bitcmp1_b32 s22, 16
	s_cselect_b32 s2, -1, 0
	s_delay_alu instid0(SALU_CYCLE_1) | instskip(SKIP_2) | instid1(VALU_DEP_1)
	s_xor_b32 s4, s2, -1
	s_bitcmp0_b32 s22, 0
	v_cndmask_b32_e64 v1, 0, 1, s4
	v_cmp_ne_u32_e32 vcc_lo, 1, v1
	s_cbranch_scc1 .LBB208_5
; %bb.1:
	s_load_b64 s[2:3], s[0:1], 0x18
	s_and_b32 vcc_lo, exec_lo, vcc_lo
	s_wait_kmcnt 0x0
	s_mov_b32 s24, s2
	s_cbranch_vccnz .LBB208_3
; %bb.2:
	s_load_b32 s24, s[2:3], 0x0
.LBB208_3:
	s_and_not1_b32 vcc_lo, exec_lo, s4
	s_cbranch_vccnz .LBB208_5
; %bb.4:
	s_wait_xcnt 0x0
	s_load_b32 s3, s[2:3], 0x4
.LBB208_5:
	s_clause 0x3
	s_load_b64 s[34:35], s[0:1], 0x80
	s_load_b256 s[36:43], s[0:1], 0x58
	s_load_b128 s[12:15], s[0:1], 0x40
	s_load_b256 s[4:11], s[0:1], 0x20
	s_bitcmp1_b32 s22, 8
	s_wait_xcnt 0x0
	s_cselect_b32 s2, -1, 0
	s_bfe_u32 s23, s22, 0x10008
	s_mov_b32 s22, 0
	s_cmp_eq_u32 s23, 0
	s_mov_b32 s23, 0
	s_cbranch_scc1 .LBB208_11
; %bb.6:
	v_cmp_ne_u32_e32 vcc_lo, 1, v1
	s_mov_b32 s22, s20
	s_cbranch_vccnz .LBB208_8
; %bb.7:
	s_load_b32 s22, s[20:21], 0x0
.LBB208_8:
	v_cmp_ne_u32_e32 vcc_lo, 1, v1
	s_cbranch_vccnz .LBB208_10
; %bb.9:
	s_wait_xcnt 0x0
	s_load_b32 s21, s[20:21], 0x4
.LBB208_10:
	s_wait_kmcnt 0x0
	s_mov_b32 s23, s21
.LBB208_11:
	s_load_b32 s33, s[0:1], 0x0
	v_lshl_add_u32 v14, v0, 2, 0
	v_lshlrev_b32_e32 v1, 3, v0
	v_or_b32_e32 v15, 0xfffffc00, v0
	s_wait_xcnt 0x0
	s_mov_b32 s0, 0
	v_mov_b32_e32 v2, v14
	v_add3_u32 v16, v1, 0, 0x2000
	v_dual_mov_b32 v1, 0 :: v_dual_mov_b32 v3, v15
	s_wait_kmcnt 0x0
	s_delay_alu instid0(VALU_DEP_2)
	v_dual_mov_b32 v5, v16 :: v_dual_mov_b32 v4, s33
.LBB208_12:                             ; =>This Inner Loop Header: Depth=1
	s_delay_alu instid0(VALU_DEP_2)
	v_add_co_u32 v3, s1, 0x400, v3
	s_xor_b32 s1, s1, -1
	ds_store_b32 v2, v4
	ds_store_2addr_b32 v5, v1, v1 offset1:1
	v_add_nc_u32_e32 v5, 0x2000, v5
	v_add_nc_u32_e32 v2, 0x1000, v2
	s_and_b32 s1, exec_lo, s1
	s_delay_alu instid0(SALU_CYCLE_1) | instskip(NEXT) | instid1(SALU_CYCLE_1)
	s_or_b32 s0, s1, s0
	s_and_not1_b32 exec_lo, exec_lo, s0
	s_cbranch_execnz .LBB208_12
; %bb.13:
	s_or_b32 exec_lo, exec_lo, s0
	s_wait_dscnt 0x0
	s_barrier_signal -1
	s_barrier_wait -1
	s_load_b32 s0, s[16:17], 0x0
	s_bfe_u32 s1, ttmp6, 0x4000c
	s_wait_xcnt 0x0
	s_and_b32 s16, ttmp6, 15
	s_add_co_i32 s1, s1, 1
	s_getreg_b32 s17, hwreg(HW_REG_IB_STS2, 6, 4)
	s_mul_i32 s1, ttmp9, s1
	v_lshrrev_b32_e32 v2, 5, v0
	s_add_co_i32 s16, s16, s1
	s_cmp_eq_u32 s17, 0
	s_cselect_b32 s1, ttmp9, s16
	s_and_b32 vcc_lo, exec_lo, s25
	s_wait_kmcnt 0x0
	s_add_co_i32 s0, s0, s1
	s_mov_b32 s1, 0
	s_load_b32 s48, s[18:19], s0 offset:0x0 scale_offset
	s_cbranch_vccz .LBB208_31
; %bb.14:
	s_wait_kmcnt 0x0
	s_ashr_i32 s49, s48, 31
	v_mov_b32_e32 v3, 0
	s_lshl_b64 s[16:17], s[48:49], 3
	s_mov_b32 s0, s44
	s_add_nc_u64 s[4:5], s[4:5], s[16:17]
	s_delay_alu instid0(VALU_DEP_1) | instskip(SKIP_2) | instid1(VALU_DEP_1)
	v_sub_nc_u64_e64 v[4:5], v[2:3], s[0:1]
	s_load_b128 s[16:19], s[4:5], 0x0
	s_wait_kmcnt 0x0
	v_add_nc_u64_e32 v[4:5], s[16:17], v[4:5]
	s_sub_nc_u64 s[0:1], s[18:19], s[0:1]
	s_mov_b32 s16, exec_lo
	s_delay_alu instid0(VALU_DEP_1)
	v_cmpx_gt_i64_e64 s[0:1], v[4:5]
	s_cbranch_execz .LBB208_30
; %bb.15:
	v_dual_mov_b32 v7, v3 :: v_dual_bitop2_b32 v6, 31, v0 bitop3:0x40
	s_mov_b32 s5, 0
	s_mov_b32 s4, s45
	;; [unrolled: 1-line block ×3, first 2 shown]
	s_delay_alu instid0(VALU_DEP_1)
	v_sub_nc_u64_e64 v[6:7], v[6:7], s[4:5]
	s_branch .LBB208_17
.LBB208_16:                             ;   in Loop: Header=BB208_17 Depth=1
	s_or_b32 exec_lo, exec_lo, s18
	v_add_nc_u64_e32 v[4:5], 32, v[4:5]
	s_delay_alu instid0(VALU_DEP_1) | instskip(SKIP_1) | instid1(SALU_CYCLE_1)
	v_cmp_le_i64_e32 vcc_lo, s[0:1], v[4:5]
	s_or_b32 s17, vcc_lo, s17
	s_and_not1_b32 exec_lo, exec_lo, s17
	s_cbranch_execz .LBB208_30
.LBB208_17:                             ; =>This Loop Header: Depth=1
                                        ;     Child Loop BB208_21 Depth 2
                                        ;       Child Loop BB208_24 Depth 3
	v_lshl_add_u64 v[8:9], v[4:5], 2, s[6:7]
	s_mov_b32 s18, exec_lo
	global_load_b32 v1, v[8:9], off
	s_wait_loadcnt 0x0
	s_wait_xcnt 0x0
	v_subrev_nc_u32_e32 v8, s44, v1
	s_delay_alu instid0(VALU_DEP_1) | instskip(NEXT) | instid1(VALU_DEP_1)
	v_ashrrev_i32_e32 v9, 31, v8
	v_lshl_add_u64 v[8:9], v[8:9], 3, s[10:11]
	global_load_b128 v[10:13], v[8:9], off
	s_wait_loadcnt 0x0
	s_wait_xcnt 0x0
	v_sub_nc_u64_e64 v[8:9], v[12:13], s[4:5]
	v_add_nc_u64_e32 v[10:11], v[10:11], v[6:7]
	s_delay_alu instid0(VALU_DEP_1)
	v_cmpx_lt_i64_e64 v[10:11], v[8:9]
	s_cbranch_execz .LBB208_16
; %bb.18:                               ;   in Loop: Header=BB208_17 Depth=1
	v_lshl_add_u64 v[12:13], v[4:5], 3, s[8:9]
	s_mov_b32 s19, 0
	global_load_b64 v[12:13], v[12:13], off
	s_wait_loadcnt 0x0
	v_mul_f32_e64 v1, v13, -s3
	s_delay_alu instid0(VALU_DEP_1) | instskip(NEXT) | instid1(VALU_DEP_1)
	v_dual_mul_f32 v3, s24, v13 :: v_dual_fmac_f32 v1, s24, v12
	v_fmac_f32_e32 v3, s3, v12
	s_branch .LBB208_21
.LBB208_19:                             ;   in Loop: Header=BB208_21 Depth=2
	s_or_b32 exec_lo, exec_lo, s21
.LBB208_20:                             ;   in Loop: Header=BB208_21 Depth=2
	s_delay_alu instid0(SALU_CYCLE_1)
	s_or_b32 exec_lo, exec_lo, s20
	s_wait_loadcnt 0x0
	v_mul_f32_e64 v18, v13, -v3
	v_mul_f32_e32 v13, v1, v13
	v_lshl_add_u32 v17, v17, 3, 0
	v_add_nc_u64_e32 v[10:11], 32, v[10:11]
	s_delay_alu instid0(VALU_DEP_3) | instskip(SKIP_4) | instid1(SALU_CYCLE_1)
	v_dual_fmac_f32 v13, v3, v12 :: v_dual_fmac_f32 v18, v1, v12
	ds_add_f32 v17, v18 offset:8192
	ds_add_f32 v17, v13 offset:8196
	v_cmp_ge_i64_e32 vcc_lo, v[10:11], v[8:9]
	s_or_b32 s19, vcc_lo, s19
	s_and_not1_b32 exec_lo, exec_lo, s19
	s_cbranch_execz .LBB208_16
.LBB208_21:                             ;   Parent Loop BB208_17 Depth=1
                                        ; =>  This Loop Header: Depth=2
                                        ;       Child Loop BB208_24 Depth 3
	s_wait_xcnt 0x0
	v_lshl_add_u64 v[12:13], v[10:11], 2, s[12:13]
	s_mov_b32 s20, exec_lo
	global_load_b32 v17, v[12:13], off
	s_wait_xcnt 0x0
	v_lshl_add_u64 v[12:13], v[10:11], 3, s[14:15]
	global_load_b64 v[12:13], v[12:13], off
	s_wait_loadcnt 0x1
	v_subrev_nc_u32_e32 v18, s45, v17
	s_delay_alu instid0(VALU_DEP_1) | instskip(NEXT) | instid1(VALU_DEP_1)
	v_mul_lo_u32 v17, 0x89, v18
	v_and_b32_e32 v17, 0x7ff, v17
	s_delay_alu instid0(VALU_DEP_1)
	v_lshl_add_u32 v19, v17, 2, 0
	ds_load_b32 v20, v19
	s_wait_dscnt 0x0
	s_wait_xcnt 0x0
	v_cmpx_ne_u32_e64 v20, v18
	s_cbranch_execz .LBB208_20
; %bb.22:                               ;   in Loop: Header=BB208_21 Depth=2
	s_mov_b32 s21, 0
	s_branch .LBB208_24
.LBB208_23:                             ;   in Loop: Header=BB208_24 Depth=3
	s_or_b32 exec_lo, exec_lo, s27
	s_delay_alu instid0(SALU_CYCLE_1) | instskip(NEXT) | instid1(SALU_CYCLE_1)
	s_and_b32 s25, exec_lo, s26
	s_or_b32 s21, s25, s21
	s_delay_alu instid0(SALU_CYCLE_1)
	s_and_not1_b32 exec_lo, exec_lo, s21
	s_cbranch_execz .LBB208_19
.LBB208_24:                             ;   Parent Loop BB208_17 Depth=1
                                        ;     Parent Loop BB208_21 Depth=2
                                        ; =>    This Inner Loop Header: Depth=3
	s_mov_b32 s25, 0
	s_mov_b32 s26, exec_lo
	v_cmpx_ne_u32_e64 s33, v20
	s_xor_b32 s26, exec_lo, s26
	s_cbranch_execz .LBB208_26
; %bb.25:                               ;   in Loop: Header=BB208_24 Depth=3
	v_add_nc_u32_e32 v17, 1, v17
	s_mov_b32 s25, exec_lo
                                        ; implicit-def: $vgpr19
	s_delay_alu instid0(VALU_DEP_1)
	v_and_b32_e32 v17, 0x7ff, v17
	s_and_not1_saveexec_b32 s26, s26
	s_cbranch_execz .LBB208_28
	s_branch .LBB208_27
.LBB208_26:                             ;   in Loop: Header=BB208_24 Depth=3
	s_and_not1_saveexec_b32 s26, s26
	s_cbranch_execz .LBB208_28
.LBB208_27:                             ;   in Loop: Header=BB208_24 Depth=3
	v_mov_b32_e32 v20, s33
	s_and_not1_b32 s25, s25, exec_lo
	ds_cmpstore_rtn_b32 v19, v19, v18, v20
	s_wait_dscnt 0x0
	v_cmp_ne_u32_e32 vcc_lo, s33, v19
	s_and_b32 s27, vcc_lo, exec_lo
	s_delay_alu instid0(SALU_CYCLE_1)
	s_or_b32 s25, s25, s27
.LBB208_28:                             ;   in Loop: Header=BB208_24 Depth=3
	s_or_b32 exec_lo, exec_lo, s26
	s_mov_b32 s26, -1
                                        ; implicit-def: $vgpr19
                                        ; implicit-def: $vgpr20
	s_and_saveexec_b32 s27, s25
	s_cbranch_execz .LBB208_23
; %bb.29:                               ;   in Loop: Header=BB208_24 Depth=3
	v_lshl_add_u32 v19, v17, 2, 0
	ds_load_b32 v20, v19
	s_wait_dscnt 0x0
	v_cmp_eq_u32_e32 vcc_lo, v20, v18
	s_or_not1_b32 s26, vcc_lo, exec_lo
	s_branch .LBB208_23
.LBB208_30:
	s_or_b32 exec_lo, exec_lo, s16
.LBB208_31:
	s_delay_alu instid0(SALU_CYCLE_1)
	s_and_not1_b32 vcc_lo, exec_lo, s2
	s_cbranch_vccnz .LBB208_34
; %bb.32:
	s_wait_kmcnt 0x0
	s_ashr_i32 s49, s48, 31
	v_mov_b32_e32 v1, 0
	s_lshl_b64 s[0:1], s[48:49], 3
	s_delay_alu instid0(SALU_CYCLE_1) | instskip(SKIP_4) | instid1(SALU_CYCLE_1)
	s_add_nc_u64 s[0:1], s[36:37], s[0:1]
	s_load_b128 s[4:7], s[0:1], 0x0
	s_wait_xcnt 0x0
	s_mov_b32 s1, 0
	s_mov_b32 s0, s47
	v_sub_nc_u64_e64 v[4:5], v[0:1], s[0:1]
	s_wait_kmcnt 0x0
	s_delay_alu instid0(VALU_DEP_1) | instskip(SKIP_2) | instid1(VALU_DEP_1)
	v_add_nc_u64_e32 v[4:5], s[4:5], v[4:5]
	s_sub_nc_u64 s[2:3], s[6:7], s[0:1]
	s_mov_b32 s0, exec_lo
	v_cmpx_gt_i64_e64 s[2:3], v[4:5]
	s_cbranch_execnz .LBB208_104
.LBB208_33:
	s_or_b32 exec_lo, exec_lo, s0
.LBB208_34:
	v_mbcnt_lo_u32_b32 v4, -1, 0
	v_mov_b32_e32 v1, 0
	v_lshl_add_u32 v3, v2, 2, 0
	s_wait_xcnt 0x0
	v_cmp_lt_u32_e64 s0, 31, v0
	v_cmp_lt_u32_e64 s1, 63, v0
	v_xor_b32_e32 v2, 31, v4
	v_cmp_lt_u32_e64 s2, 0x5f, v0
	v_cmp_lt_u32_e64 s3, 0x7f, v0
	;; [unrolled: 1-line block ×4, first 2 shown]
	v_lshrrev_b32_e64 v2, v2, -1
	v_cmp_lt_u32_e64 s6, 0xdf, v0
	v_cmp_lt_u32_e64 s7, 0xff, v0
	;; [unrolled: 1-line block ×25, first 2 shown]
	v_mov_b32_e32 v6, 0
	s_mov_b32 s36, 0
	s_wait_dscnt 0x0
	v_cmp_eq_u32_e32 vcc_lo, 0x3ff, v0
	s_barrier_signal -1
	s_barrier_wait -1
	s_branch .LBB208_36
.LBB208_35:                             ;   in Loop: Header=BB208_36 Depth=1
	s_or_b32 exec_lo, exec_lo, s31
	s_wait_dscnt 0x0
	s_barrier_signal -1
	s_barrier_wait -1
	ds_load_b32 v4, v1 offset:24700
	v_add_co_u32 v15, s31, 0x400, v15
	s_xor_b32 s31, s31, -1
	v_add_nc_u32_e32 v16, 0x2000, v16
	v_add_nc_u32_e32 v14, 0x1000, v14
	s_and_b32 s31, exec_lo, s31
	s_delay_alu instid0(SALU_CYCLE_1)
	s_or_b32 s36, s31, s36
	s_wait_dscnt 0x0
	v_add_nc_u32_e32 v6, v4, v6
	s_and_not1_b32 exec_lo, exec_lo, s36
	s_cbranch_execz .LBB208_113
.LBB208_36:                             ; =>This Inner Loop Header: Depth=1
	ds_load_b32 v7, v14
	ds_load_2addr_b32 v[4:5], v16 offset1:1
	s_wait_dscnt 0x0
	s_barrier_signal -1
	s_barrier_wait -1
	v_cmp_gt_i32_e64 s31, s33, v7
	s_bcnt1_i32_b32 s37, s31
	s_delay_alu instid0(SALU_CYCLE_1) | instskip(NEXT) | instid1(VALU_DEP_1)
	v_dual_mov_b32 v9, s37 :: v_dual_bitop2_b32 v8, s31, v2 bitop3:0x40
	v_bcnt_u32_b32 v8, v8, 0
	ds_store_b32 v3, v9 offset:24576
	s_wait_dscnt 0x0
	s_barrier_signal -1
	s_barrier_wait -1
	s_and_saveexec_b32 s37, s0
	s_cbranch_execz .LBB208_69
; %bb.37:                               ;   in Loop: Header=BB208_36 Depth=1
	ds_load_b32 v9, v1 offset:24576
	s_wait_dscnt 0x0
	v_add_nc_u32_e32 v8, v9, v8
	s_or_b32 exec_lo, exec_lo, s37
	s_and_saveexec_b32 s37, s1
	s_cbranch_execnz .LBB208_70
.LBB208_38:                             ;   in Loop: Header=BB208_36 Depth=1
	s_or_b32 exec_lo, exec_lo, s37
	s_and_saveexec_b32 s37, s2
	s_cbranch_execz .LBB208_71
.LBB208_39:                             ;   in Loop: Header=BB208_36 Depth=1
	ds_load_b32 v9, v1 offset:24584
	s_wait_dscnt 0x0
	v_add_nc_u32_e32 v8, v9, v8
	s_or_b32 exec_lo, exec_lo, s37
	s_and_saveexec_b32 s37, s3
	s_cbranch_execnz .LBB208_72
.LBB208_40:                             ;   in Loop: Header=BB208_36 Depth=1
	s_or_b32 exec_lo, exec_lo, s37
	s_and_saveexec_b32 s37, s4
	s_cbranch_execz .LBB208_73
.LBB208_41:                             ;   in Loop: Header=BB208_36 Depth=1
	ds_load_b32 v9, v1 offset:24592
	s_wait_dscnt 0x0
	v_add_nc_u32_e32 v8, v9, v8
	s_or_b32 exec_lo, exec_lo, s37
	s_and_saveexec_b32 s37, s5
	s_cbranch_execnz .LBB208_74
.LBB208_42:                             ;   in Loop: Header=BB208_36 Depth=1
	s_or_b32 exec_lo, exec_lo, s37
	s_and_saveexec_b32 s37, s6
	s_cbranch_execz .LBB208_75
.LBB208_43:                             ;   in Loop: Header=BB208_36 Depth=1
	ds_load_b32 v9, v1 offset:24600
	s_wait_dscnt 0x0
	v_add_nc_u32_e32 v8, v9, v8
	s_or_b32 exec_lo, exec_lo, s37
	s_and_saveexec_b32 s37, s7
	s_cbranch_execnz .LBB208_76
.LBB208_44:                             ;   in Loop: Header=BB208_36 Depth=1
	s_or_b32 exec_lo, exec_lo, s37
	s_and_saveexec_b32 s37, s8
	s_cbranch_execz .LBB208_77
.LBB208_45:                             ;   in Loop: Header=BB208_36 Depth=1
	ds_load_b32 v9, v1 offset:24608
	s_wait_dscnt 0x0
	v_add_nc_u32_e32 v8, v9, v8
	s_or_b32 exec_lo, exec_lo, s37
	s_and_saveexec_b32 s37, s9
	s_cbranch_execnz .LBB208_78
.LBB208_46:                             ;   in Loop: Header=BB208_36 Depth=1
	s_or_b32 exec_lo, exec_lo, s37
	s_and_saveexec_b32 s37, s10
	s_cbranch_execz .LBB208_79
.LBB208_47:                             ;   in Loop: Header=BB208_36 Depth=1
	ds_load_b32 v9, v1 offset:24616
	s_wait_dscnt 0x0
	v_add_nc_u32_e32 v8, v9, v8
	s_or_b32 exec_lo, exec_lo, s37
	s_and_saveexec_b32 s37, s11
	s_cbranch_execnz .LBB208_80
.LBB208_48:                             ;   in Loop: Header=BB208_36 Depth=1
	s_or_b32 exec_lo, exec_lo, s37
	s_and_saveexec_b32 s37, s12
	s_cbranch_execz .LBB208_81
.LBB208_49:                             ;   in Loop: Header=BB208_36 Depth=1
	ds_load_b32 v9, v1 offset:24624
	s_wait_dscnt 0x0
	v_add_nc_u32_e32 v8, v9, v8
	s_or_b32 exec_lo, exec_lo, s37
	s_and_saveexec_b32 s37, s13
	s_cbranch_execnz .LBB208_82
.LBB208_50:                             ;   in Loop: Header=BB208_36 Depth=1
	s_or_b32 exec_lo, exec_lo, s37
	s_and_saveexec_b32 s37, s14
	s_cbranch_execz .LBB208_83
.LBB208_51:                             ;   in Loop: Header=BB208_36 Depth=1
	ds_load_b32 v9, v1 offset:24632
	s_wait_dscnt 0x0
	v_add_nc_u32_e32 v8, v9, v8
	s_or_b32 exec_lo, exec_lo, s37
	s_and_saveexec_b32 s37, s15
	s_cbranch_execnz .LBB208_84
.LBB208_52:                             ;   in Loop: Header=BB208_36 Depth=1
	s_or_b32 exec_lo, exec_lo, s37
	s_and_saveexec_b32 s37, s16
	s_cbranch_execz .LBB208_85
.LBB208_53:                             ;   in Loop: Header=BB208_36 Depth=1
	ds_load_b32 v9, v1 offset:24640
	s_wait_dscnt 0x0
	v_add_nc_u32_e32 v8, v9, v8
	s_or_b32 exec_lo, exec_lo, s37
	s_and_saveexec_b32 s37, s17
	s_cbranch_execnz .LBB208_86
.LBB208_54:                             ;   in Loop: Header=BB208_36 Depth=1
	s_or_b32 exec_lo, exec_lo, s37
	s_and_saveexec_b32 s37, s18
	s_cbranch_execz .LBB208_87
.LBB208_55:                             ;   in Loop: Header=BB208_36 Depth=1
	ds_load_b32 v9, v1 offset:24648
	s_wait_dscnt 0x0
	v_add_nc_u32_e32 v8, v9, v8
	s_or_b32 exec_lo, exec_lo, s37
	s_and_saveexec_b32 s37, s19
	s_cbranch_execnz .LBB208_88
.LBB208_56:                             ;   in Loop: Header=BB208_36 Depth=1
	s_or_b32 exec_lo, exec_lo, s37
	s_and_saveexec_b32 s37, s20
	s_cbranch_execz .LBB208_89
.LBB208_57:                             ;   in Loop: Header=BB208_36 Depth=1
	ds_load_b32 v9, v1 offset:24656
	s_wait_dscnt 0x0
	v_add_nc_u32_e32 v8, v9, v8
	s_or_b32 exec_lo, exec_lo, s37
	s_and_saveexec_b32 s37, s21
	s_cbranch_execnz .LBB208_90
.LBB208_58:                             ;   in Loop: Header=BB208_36 Depth=1
	s_or_b32 exec_lo, exec_lo, s37
	s_and_saveexec_b32 s37, s22
	s_cbranch_execz .LBB208_91
.LBB208_59:                             ;   in Loop: Header=BB208_36 Depth=1
	ds_load_b32 v9, v1 offset:24664
	s_wait_dscnt 0x0
	v_add_nc_u32_e32 v8, v9, v8
	s_or_b32 exec_lo, exec_lo, s37
	s_and_saveexec_b32 s37, s23
	s_cbranch_execnz .LBB208_92
.LBB208_60:                             ;   in Loop: Header=BB208_36 Depth=1
	s_or_b32 exec_lo, exec_lo, s37
	s_and_saveexec_b32 s37, s24
	s_cbranch_execz .LBB208_93
.LBB208_61:                             ;   in Loop: Header=BB208_36 Depth=1
	ds_load_b32 v9, v1 offset:24672
	s_wait_dscnt 0x0
	v_add_nc_u32_e32 v8, v9, v8
	s_or_b32 exec_lo, exec_lo, s37
	s_and_saveexec_b32 s37, s25
	s_cbranch_execnz .LBB208_94
.LBB208_62:                             ;   in Loop: Header=BB208_36 Depth=1
	s_or_b32 exec_lo, exec_lo, s37
	s_and_saveexec_b32 s37, s26
	s_cbranch_execz .LBB208_95
.LBB208_63:                             ;   in Loop: Header=BB208_36 Depth=1
	ds_load_b32 v9, v1 offset:24680
	s_wait_dscnt 0x0
	v_add_nc_u32_e32 v8, v9, v8
	s_or_b32 exec_lo, exec_lo, s37
	s_and_saveexec_b32 s37, s27
	s_cbranch_execnz .LBB208_96
.LBB208_64:                             ;   in Loop: Header=BB208_36 Depth=1
	s_or_b32 exec_lo, exec_lo, s37
	s_and_saveexec_b32 s37, s28
	s_cbranch_execz .LBB208_97
.LBB208_65:                             ;   in Loop: Header=BB208_36 Depth=1
	ds_load_b32 v9, v1 offset:24688
	s_wait_dscnt 0x0
	v_add_nc_u32_e32 v8, v9, v8
	s_or_b32 exec_lo, exec_lo, s37
	s_and_saveexec_b32 s37, s29
	s_cbranch_execnz .LBB208_98
.LBB208_66:                             ;   in Loop: Header=BB208_36 Depth=1
	s_or_b32 exec_lo, exec_lo, s37
	s_and_saveexec_b32 s37, s30
	s_cbranch_execz .LBB208_99
.LBB208_67:                             ;   in Loop: Header=BB208_36 Depth=1
	ds_load_b32 v9, v1 offset:24696
	s_wait_dscnt 0x0
	v_add_nc_u32_e32 v8, v9, v8
	s_or_b32 exec_lo, exec_lo, s37
	s_and_saveexec_b32 s37, s31
	s_cbranch_execnz .LBB208_100
.LBB208_68:                             ;   in Loop: Header=BB208_36 Depth=1
	s_or_b32 exec_lo, exec_lo, s37
	s_and_saveexec_b32 s31, vcc_lo
	s_cbranch_execz .LBB208_35
	s_branch .LBB208_101
.LBB208_69:                             ;   in Loop: Header=BB208_36 Depth=1
	s_or_b32 exec_lo, exec_lo, s37
	s_and_saveexec_b32 s37, s1
	s_cbranch_execz .LBB208_38
.LBB208_70:                             ;   in Loop: Header=BB208_36 Depth=1
	ds_load_b32 v9, v1 offset:24580
	s_wait_dscnt 0x0
	v_add_nc_u32_e32 v8, v9, v8
	s_or_b32 exec_lo, exec_lo, s37
	s_and_saveexec_b32 s37, s2
	s_cbranch_execnz .LBB208_39
.LBB208_71:                             ;   in Loop: Header=BB208_36 Depth=1
	s_or_b32 exec_lo, exec_lo, s37
	s_and_saveexec_b32 s37, s3
	s_cbranch_execz .LBB208_40
.LBB208_72:                             ;   in Loop: Header=BB208_36 Depth=1
	ds_load_b32 v9, v1 offset:24588
	s_wait_dscnt 0x0
	v_add_nc_u32_e32 v8, v9, v8
	s_or_b32 exec_lo, exec_lo, s37
	s_and_saveexec_b32 s37, s4
	s_cbranch_execnz .LBB208_41
.LBB208_73:                             ;   in Loop: Header=BB208_36 Depth=1
	s_or_b32 exec_lo, exec_lo, s37
	s_and_saveexec_b32 s37, s5
	s_cbranch_execz .LBB208_42
.LBB208_74:                             ;   in Loop: Header=BB208_36 Depth=1
	ds_load_b32 v9, v1 offset:24596
	s_wait_dscnt 0x0
	v_add_nc_u32_e32 v8, v9, v8
	s_or_b32 exec_lo, exec_lo, s37
	s_and_saveexec_b32 s37, s6
	s_cbranch_execnz .LBB208_43
.LBB208_75:                             ;   in Loop: Header=BB208_36 Depth=1
	s_or_b32 exec_lo, exec_lo, s37
	s_and_saveexec_b32 s37, s7
	s_cbranch_execz .LBB208_44
.LBB208_76:                             ;   in Loop: Header=BB208_36 Depth=1
	ds_load_b32 v9, v1 offset:24604
	s_wait_dscnt 0x0
	v_add_nc_u32_e32 v8, v9, v8
	s_or_b32 exec_lo, exec_lo, s37
	s_and_saveexec_b32 s37, s8
	s_cbranch_execnz .LBB208_45
.LBB208_77:                             ;   in Loop: Header=BB208_36 Depth=1
	s_or_b32 exec_lo, exec_lo, s37
	s_and_saveexec_b32 s37, s9
	s_cbranch_execz .LBB208_46
.LBB208_78:                             ;   in Loop: Header=BB208_36 Depth=1
	ds_load_b32 v9, v1 offset:24612
	s_wait_dscnt 0x0
	v_add_nc_u32_e32 v8, v9, v8
	s_or_b32 exec_lo, exec_lo, s37
	s_and_saveexec_b32 s37, s10
	s_cbranch_execnz .LBB208_47
.LBB208_79:                             ;   in Loop: Header=BB208_36 Depth=1
	s_or_b32 exec_lo, exec_lo, s37
	s_and_saveexec_b32 s37, s11
	s_cbranch_execz .LBB208_48
.LBB208_80:                             ;   in Loop: Header=BB208_36 Depth=1
	ds_load_b32 v9, v1 offset:24620
	s_wait_dscnt 0x0
	v_add_nc_u32_e32 v8, v9, v8
	s_or_b32 exec_lo, exec_lo, s37
	s_and_saveexec_b32 s37, s12
	s_cbranch_execnz .LBB208_49
.LBB208_81:                             ;   in Loop: Header=BB208_36 Depth=1
	s_or_b32 exec_lo, exec_lo, s37
	s_and_saveexec_b32 s37, s13
	s_cbranch_execz .LBB208_50
.LBB208_82:                             ;   in Loop: Header=BB208_36 Depth=1
	ds_load_b32 v9, v1 offset:24628
	s_wait_dscnt 0x0
	v_add_nc_u32_e32 v8, v9, v8
	s_or_b32 exec_lo, exec_lo, s37
	s_and_saveexec_b32 s37, s14
	s_cbranch_execnz .LBB208_51
.LBB208_83:                             ;   in Loop: Header=BB208_36 Depth=1
	s_or_b32 exec_lo, exec_lo, s37
	s_and_saveexec_b32 s37, s15
	s_cbranch_execz .LBB208_52
.LBB208_84:                             ;   in Loop: Header=BB208_36 Depth=1
	ds_load_b32 v9, v1 offset:24636
	s_wait_dscnt 0x0
	v_add_nc_u32_e32 v8, v9, v8
	s_or_b32 exec_lo, exec_lo, s37
	s_and_saveexec_b32 s37, s16
	s_cbranch_execnz .LBB208_53
.LBB208_85:                             ;   in Loop: Header=BB208_36 Depth=1
	s_or_b32 exec_lo, exec_lo, s37
	s_and_saveexec_b32 s37, s17
	s_cbranch_execz .LBB208_54
.LBB208_86:                             ;   in Loop: Header=BB208_36 Depth=1
	ds_load_b32 v9, v1 offset:24644
	s_wait_dscnt 0x0
	v_add_nc_u32_e32 v8, v9, v8
	s_or_b32 exec_lo, exec_lo, s37
	s_and_saveexec_b32 s37, s18
	s_cbranch_execnz .LBB208_55
.LBB208_87:                             ;   in Loop: Header=BB208_36 Depth=1
	s_or_b32 exec_lo, exec_lo, s37
	s_and_saveexec_b32 s37, s19
	s_cbranch_execz .LBB208_56
.LBB208_88:                             ;   in Loop: Header=BB208_36 Depth=1
	ds_load_b32 v9, v1 offset:24652
	s_wait_dscnt 0x0
	v_add_nc_u32_e32 v8, v9, v8
	s_or_b32 exec_lo, exec_lo, s37
	s_and_saveexec_b32 s37, s20
	s_cbranch_execnz .LBB208_57
.LBB208_89:                             ;   in Loop: Header=BB208_36 Depth=1
	s_or_b32 exec_lo, exec_lo, s37
	s_and_saveexec_b32 s37, s21
	s_cbranch_execz .LBB208_58
.LBB208_90:                             ;   in Loop: Header=BB208_36 Depth=1
	ds_load_b32 v9, v1 offset:24660
	s_wait_dscnt 0x0
	v_add_nc_u32_e32 v8, v9, v8
	s_or_b32 exec_lo, exec_lo, s37
	s_and_saveexec_b32 s37, s22
	s_cbranch_execnz .LBB208_59
.LBB208_91:                             ;   in Loop: Header=BB208_36 Depth=1
	s_or_b32 exec_lo, exec_lo, s37
	s_and_saveexec_b32 s37, s23
	s_cbranch_execz .LBB208_60
.LBB208_92:                             ;   in Loop: Header=BB208_36 Depth=1
	ds_load_b32 v9, v1 offset:24668
	s_wait_dscnt 0x0
	v_add_nc_u32_e32 v8, v9, v8
	s_or_b32 exec_lo, exec_lo, s37
	s_and_saveexec_b32 s37, s24
	s_cbranch_execnz .LBB208_61
.LBB208_93:                             ;   in Loop: Header=BB208_36 Depth=1
	s_or_b32 exec_lo, exec_lo, s37
	s_and_saveexec_b32 s37, s25
	s_cbranch_execz .LBB208_62
.LBB208_94:                             ;   in Loop: Header=BB208_36 Depth=1
	ds_load_b32 v9, v1 offset:24676
	s_wait_dscnt 0x0
	v_add_nc_u32_e32 v8, v9, v8
	s_or_b32 exec_lo, exec_lo, s37
	s_and_saveexec_b32 s37, s26
	s_cbranch_execnz .LBB208_63
.LBB208_95:                             ;   in Loop: Header=BB208_36 Depth=1
	s_or_b32 exec_lo, exec_lo, s37
	s_and_saveexec_b32 s37, s27
	s_cbranch_execz .LBB208_64
.LBB208_96:                             ;   in Loop: Header=BB208_36 Depth=1
	ds_load_b32 v9, v1 offset:24684
	s_wait_dscnt 0x0
	v_add_nc_u32_e32 v8, v9, v8
	s_or_b32 exec_lo, exec_lo, s37
	s_and_saveexec_b32 s37, s28
	s_cbranch_execnz .LBB208_65
.LBB208_97:                             ;   in Loop: Header=BB208_36 Depth=1
	s_or_b32 exec_lo, exec_lo, s37
	s_and_saveexec_b32 s37, s29
	s_cbranch_execz .LBB208_66
.LBB208_98:                             ;   in Loop: Header=BB208_36 Depth=1
	ds_load_b32 v9, v1 offset:24692
	s_wait_dscnt 0x0
	v_add_nc_u32_e32 v8, v9, v8
	s_or_b32 exec_lo, exec_lo, s37
	s_and_saveexec_b32 s37, s30
	s_cbranch_execnz .LBB208_67
.LBB208_99:                             ;   in Loop: Header=BB208_36 Depth=1
	s_or_b32 exec_lo, exec_lo, s37
	s_and_saveexec_b32 s37, s31
	s_cbranch_execz .LBB208_68
.LBB208_100:                            ;   in Loop: Header=BB208_36 Depth=1
	s_delay_alu instid0(VALU_DEP_1) | instskip(SKIP_1) | instid1(VALU_DEP_2)
	v_add3_u32 v9, v6, -1, v8
	v_add_lshl_u32 v10, v6, v8, 3
	v_lshl_add_u32 v9, v9, 2, 0
	s_delay_alu instid0(VALU_DEP_2)
	v_add3_u32 v10, 0, v10, 0x1ff8
	ds_store_b32 v9, v7
	ds_store_2addr_b32 v10, v4, v5 offset1:1
	s_or_b32 exec_lo, exec_lo, s37
	s_and_saveexec_b32 s31, vcc_lo
	s_cbranch_execz .LBB208_35
.LBB208_101:                            ;   in Loop: Header=BB208_36 Depth=1
	ds_store_b32 v1, v8 offset:24700
	s_branch .LBB208_35
.LBB208_102:                            ;   in Loop: Header=BB208_104 Depth=1
	s_or_b32 exec_lo, exec_lo, s5
.LBB208_103:                            ;   in Loop: Header=BB208_104 Depth=1
	s_delay_alu instid0(SALU_CYCLE_1)
	s_or_b32 exec_lo, exec_lo, s4
	s_wait_loadcnt 0x0
	v_mul_f32_e64 v3, v7, -s23
	v_mul_f32_e32 v7, s22, v7
	v_lshl_add_u32 v1, v1, 3, 0
	v_add_nc_u64_e32 v[4:5], 0x400, v[4:5]
	s_delay_alu instid0(VALU_DEP_4) | instskip(NEXT) | instid1(VALU_DEP_4)
	v_fmac_f32_e32 v3, s22, v6
	v_fmac_f32_e32 v7, s23, v6
	ds_add_f32 v1, v3 offset:8192
	ds_add_f32 v1, v7 offset:8196
	v_cmp_le_i64_e32 vcc_lo, s[2:3], v[4:5]
	s_or_b32 s1, vcc_lo, s1
	s_delay_alu instid0(SALU_CYCLE_1)
	s_and_not1_b32 exec_lo, exec_lo, s1
	s_cbranch_execz .LBB208_33
.LBB208_104:                            ; =>This Loop Header: Depth=1
                                        ;     Child Loop BB208_107 Depth 2
	v_lshl_add_u64 v[6:7], v[4:5], 2, s[38:39]
	s_mov_b32 s4, exec_lo
	global_load_b32 v1, v[6:7], off
	s_wait_xcnt 0x0
	v_lshl_add_u64 v[6:7], v[4:5], 3, s[40:41]
	global_load_b64 v[6:7], v[6:7], off
	s_wait_loadcnt 0x1
	v_subrev_nc_u32_e32 v3, s47, v1
	s_delay_alu instid0(VALU_DEP_1) | instskip(NEXT) | instid1(VALU_DEP_1)
	v_mul_lo_u32 v1, 0x89, v3
	v_and_b32_e32 v1, 0x7ff, v1
	s_delay_alu instid0(VALU_DEP_1)
	v_lshl_add_u32 v8, v1, 2, 0
	ds_load_b32 v9, v8
	s_wait_dscnt 0x0
	s_wait_xcnt 0x0
	v_cmpx_ne_u32_e64 v9, v3
	s_cbranch_execz .LBB208_103
; %bb.105:                              ;   in Loop: Header=BB208_104 Depth=1
	s_mov_b32 s5, 0
	s_branch .LBB208_107
.LBB208_106:                            ;   in Loop: Header=BB208_107 Depth=2
	s_or_b32 exec_lo, exec_lo, s8
	s_delay_alu instid0(SALU_CYCLE_1) | instskip(NEXT) | instid1(SALU_CYCLE_1)
	s_and_b32 s6, exec_lo, s7
	s_or_b32 s5, s6, s5
	s_delay_alu instid0(SALU_CYCLE_1)
	s_and_not1_b32 exec_lo, exec_lo, s5
	s_cbranch_execz .LBB208_102
.LBB208_107:                            ;   Parent Loop BB208_104 Depth=1
                                        ; =>  This Inner Loop Header: Depth=2
	s_mov_b32 s6, 0
	s_mov_b32 s7, exec_lo
	v_cmpx_ne_u32_e64 s33, v9
	s_xor_b32 s7, exec_lo, s7
	s_cbranch_execz .LBB208_109
; %bb.108:                              ;   in Loop: Header=BB208_107 Depth=2
	v_add_nc_u32_e32 v1, 1, v1
	s_mov_b32 s6, exec_lo
                                        ; implicit-def: $vgpr8
	s_delay_alu instid0(VALU_DEP_1)
	v_and_b32_e32 v1, 0x7ff, v1
	s_and_not1_saveexec_b32 s7, s7
	s_cbranch_execz .LBB208_111
	s_branch .LBB208_110
.LBB208_109:                            ;   in Loop: Header=BB208_107 Depth=2
	s_and_not1_saveexec_b32 s7, s7
	s_cbranch_execz .LBB208_111
.LBB208_110:                            ;   in Loop: Header=BB208_107 Depth=2
	v_mov_b32_e32 v9, s33
	s_and_not1_b32 s6, s6, exec_lo
	ds_cmpstore_rtn_b32 v8, v8, v3, v9
	s_wait_dscnt 0x0
	v_cmp_ne_u32_e32 vcc_lo, s33, v8
	s_and_b32 s8, vcc_lo, exec_lo
	s_delay_alu instid0(SALU_CYCLE_1)
	s_or_b32 s6, s6, s8
.LBB208_111:                            ;   in Loop: Header=BB208_107 Depth=2
	s_or_b32 exec_lo, exec_lo, s7
	s_mov_b32 s7, -1
                                        ; implicit-def: $vgpr8
                                        ; implicit-def: $vgpr9
	s_and_saveexec_b32 s8, s6
	s_cbranch_execz .LBB208_106
; %bb.112:                              ;   in Loop: Header=BB208_107 Depth=2
	v_lshl_add_u32 v8, v1, 2, 0
	ds_load_b32 v9, v8
	s_wait_dscnt 0x0
	v_cmp_eq_u32_e32 vcc_lo, v9, v3
	s_or_not1_b32 s7, vcc_lo, exec_lo
	s_branch .LBB208_106
.LBB208_113:
	s_or_b32 exec_lo, exec_lo, s36
	s_wait_kmcnt 0x0
	s_ashr_i32 s49, s48, 31
	s_delay_alu instid0(SALU_CYCLE_1) | instskip(NEXT) | instid1(SALU_CYCLE_1)
	s_lshl_b64 s[0:1], s[48:49], 3
	s_add_nc_u64 s[4:5], s[42:43], s[0:1]
	s_load_b128 s[0:3], s[4:5], 0x0
	s_wait_xcnt 0x0
	s_mov_b32 s4, exec_lo
	s_wait_kmcnt 0x0
	s_sub_co_i32 s3, s2, s0
	s_delay_alu instid0(SALU_CYCLE_1)
	v_cmpx_gt_i32_e64 s3, v0
	s_cbranch_execz .LBB208_123
; %bb.114:
	s_sub_co_i32 s4, s0, s2
	s_and_b32 s2, s3, 7
	s_cmp_lt_u32 s4, -7
	s_mov_b32 s47, 0
	s_cselect_b32 s4, -1, 0
	s_and_b32 s5, s3, -8
	s_cmp_lg_u32 s2, 0
	s_sub_nc_u64 s[0:1], s[0:1], s[46:47]
	s_cselect_b32 s6, -1, 0
	s_mov_b32 s7, 0
	s_branch .LBB208_116
.LBB208_115:                            ;   in Loop: Header=BB208_116 Depth=1
	v_add_nc_u32_e32 v0, 0x400, v0
	s_delay_alu instid0(VALU_DEP_2) | instskip(NEXT) | instid1(VALU_DEP_2)
	v_lshl_add_u64 v[4:5], v[4:5], 3, s[34:35]
	v_cmp_le_i32_e32 vcc_lo, s3, v0
	s_wait_dscnt 0x0
	global_store_b64 v[4:5], v[2:3], off
	s_or_b32 s7, vcc_lo, s7
	s_wait_xcnt 0x0
	s_and_not1_b32 exec_lo, exec_lo, s7
	s_cbranch_execz .LBB208_123
.LBB208_116:                            ; =>This Loop Header: Depth=1
                                        ;     Child Loop BB208_118 Depth 2
                                        ;     Child Loop BB208_122 Depth 2
	v_lshlrev_b32_e32 v1, 2, v0
	v_mov_b64_e32 v[4:5], s[0:1]
	s_and_not1_b32 vcc_lo, exec_lo, s4
	s_mov_b32 s8, 0
	s_delay_alu instid0(VALU_DEP_2) | instskip(NEXT) | instid1(VALU_DEP_1)
	v_add_nc_u32_e32 v2, 0, v1
	v_add3_u32 v3, v2, v1, 0x2000
	ds_load_b32 v1, v2
	ds_load_2addr_b32 v[2:3], v3 offset1:1
	s_cbranch_vccnz .LBB208_120
; %bb.117:                              ;   in Loop: Header=BB208_116 Depth=1
	v_mov_b64_e32 v[4:5], s[0:1]
	s_mov_b32 s9, 0
.LBB208_118:                            ;   Parent Loop BB208_116 Depth=1
                                        ; =>  This Inner Loop Header: Depth=2
	s_delay_alu instid0(SALU_CYCLE_1)
	v_dual_mov_b32 v10, s9 :: v_dual_mov_b32 v11, s47
	v_mov_b32_e32 v17, s47
	s_add_co_i32 s8, s8, 8
	s_add_co_i32 s9, s9, 32
	ds_load_2addr_b32 v[6:7], v10 offset1:1
	ds_load_2addr_b32 v[8:9], v10 offset0:2 offset1:3
	ds_load_2addr_b32 v[12:13], v10 offset0:4 offset1:5
	;; [unrolled: 1-line block ×3, first 2 shown]
	s_cmp_eq_u32 s5, s8
	s_wait_dscnt 0x3
	v_cmp_gt_i32_e32 vcc_lo, v1, v6
	v_cndmask_b32_e64 v10, 0, 1, vcc_lo
	v_cmp_gt_i32_e32 vcc_lo, v1, v7
	v_mov_b32_e32 v7, s47
	s_delay_alu instid0(VALU_DEP_3) | instskip(SKIP_4) | instid1(VALU_DEP_3)
	v_add_nc_u64_e32 v[4:5], v[4:5], v[10:11]
	v_cndmask_b32_e64 v16, 0, 1, vcc_lo
	s_wait_dscnt 0x2
	v_cmp_gt_i32_e32 vcc_lo, v1, v8
	v_cndmask_b32_e64 v6, 0, 1, vcc_lo
	v_add_nc_u64_e32 v[4:5], v[4:5], v[16:17]
	v_cmp_gt_i32_e32 vcc_lo, v1, v9
	v_mov_b32_e32 v9, s47
	v_cndmask_b32_e64 v10, 0, 1, vcc_lo
	s_delay_alu instid0(VALU_DEP_4) | instskip(SKIP_3) | instid1(VALU_DEP_3)
	v_add_nc_u64_e32 v[4:5], v[4:5], v[6:7]
	s_wait_dscnt 0x1
	v_cmp_gt_i32_e32 vcc_lo, v1, v12
	v_cndmask_b32_e64 v6, 0, 1, vcc_lo
	v_add_nc_u64_e32 v[4:5], v[4:5], v[10:11]
	v_cmp_gt_i32_e32 vcc_lo, v1, v13
	v_cndmask_b32_e64 v8, 0, 1, vcc_lo
	s_delay_alu instid0(VALU_DEP_3) | instskip(SKIP_3) | instid1(VALU_DEP_3)
	v_add_nc_u64_e32 v[4:5], v[4:5], v[6:7]
	s_wait_dscnt 0x0
	v_cmp_gt_i32_e32 vcc_lo, v1, v14
	v_cndmask_b32_e64 v6, 0, 1, vcc_lo
	v_add_nc_u64_e32 v[4:5], v[4:5], v[8:9]
	v_cmp_gt_i32_e32 vcc_lo, v1, v15
	v_cndmask_b32_e64 v8, 0, 1, vcc_lo
	s_delay_alu instid0(VALU_DEP_3) | instskip(NEXT) | instid1(VALU_DEP_1)
	v_add_nc_u64_e32 v[4:5], v[4:5], v[6:7]
	v_add_nc_u64_e32 v[4:5], v[4:5], v[8:9]
	s_cbranch_scc0 .LBB208_118
; %bb.119:                              ;   in Loop: Header=BB208_116 Depth=1
	s_mov_b32 s8, s5
.LBB208_120:                            ;   in Loop: Header=BB208_116 Depth=1
	s_and_not1_b32 vcc_lo, exec_lo, s6
	s_cbranch_vccnz .LBB208_115
; %bb.121:                              ;   in Loop: Header=BB208_116 Depth=1
	s_lshl_b32 s8, s8, 2
	s_mov_b32 s9, s2
	s_add_co_i32 s8, s8, 0
.LBB208_122:                            ;   Parent Loop BB208_116 Depth=1
                                        ; =>  This Inner Loop Header: Depth=2
	s_delay_alu instid0(SALU_CYCLE_1)
	v_dual_mov_b32 v6, s8 :: v_dual_mov_b32 v7, s47
	s_add_co_i32 s9, s9, -1
	s_add_co_i32 s8, s8, 4
	s_cmp_lg_u32 s9, 0
	ds_load_b32 v6, v6
	s_wait_dscnt 0x0
	v_cmp_gt_i32_e32 vcc_lo, v1, v6
	v_cndmask_b32_e64 v6, 0, 1, vcc_lo
	s_delay_alu instid0(VALU_DEP_1)
	v_add_nc_u64_e32 v[4:5], v[4:5], v[6:7]
	s_cbranch_scc1 .LBB208_122
	s_branch .LBB208_115
.LBB208_123:
	s_endpgm
	.section	.rodata,"a",@progbits
	.p2align	6, 0x0
	.amdhsa_kernel _ZN9rocsparseL41csrgemm_numeric_fill_block_per_row_kernelILj1024ELj32ELj2048ELj137ELj32Eli21rocsparse_complex_numIfEEEvT5_PKS3_S5_NS_24const_host_device_scalarIT6_EEPKT4_S5_PKS7_SB_S5_SD_S8_SB_S5_SD_SB_S5_PS7_21rocsparse_index_base_SF_SF_SF_bbb
		.amdhsa_group_segment_fixed_size 0
		.amdhsa_private_segment_fixed_size 0
		.amdhsa_kernarg_size 156
		.amdhsa_user_sgpr_count 2
		.amdhsa_user_sgpr_dispatch_ptr 0
		.amdhsa_user_sgpr_queue_ptr 0
		.amdhsa_user_sgpr_kernarg_segment_ptr 1
		.amdhsa_user_sgpr_dispatch_id 0
		.amdhsa_user_sgpr_kernarg_preload_length 0
		.amdhsa_user_sgpr_kernarg_preload_offset 0
		.amdhsa_user_sgpr_private_segment_size 0
		.amdhsa_wavefront_size32 1
		.amdhsa_uses_dynamic_stack 0
		.amdhsa_enable_private_segment 0
		.amdhsa_system_sgpr_workgroup_id_x 1
		.amdhsa_system_sgpr_workgroup_id_y 0
		.amdhsa_system_sgpr_workgroup_id_z 0
		.amdhsa_system_sgpr_workgroup_info 0
		.amdhsa_system_vgpr_workitem_id 0
		.amdhsa_next_free_vgpr 21
		.amdhsa_next_free_sgpr 50
		.amdhsa_named_barrier_count 0
		.amdhsa_reserve_vcc 1
		.amdhsa_float_round_mode_32 0
		.amdhsa_float_round_mode_16_64 0
		.amdhsa_float_denorm_mode_32 3
		.amdhsa_float_denorm_mode_16_64 3
		.amdhsa_fp16_overflow 0
		.amdhsa_memory_ordered 1
		.amdhsa_forward_progress 1
		.amdhsa_inst_pref_size 33
		.amdhsa_round_robin_scheduling 0
		.amdhsa_exception_fp_ieee_invalid_op 0
		.amdhsa_exception_fp_denorm_src 0
		.amdhsa_exception_fp_ieee_div_zero 0
		.amdhsa_exception_fp_ieee_overflow 0
		.amdhsa_exception_fp_ieee_underflow 0
		.amdhsa_exception_fp_ieee_inexact 0
		.amdhsa_exception_int_div_zero 0
	.end_amdhsa_kernel
	.section	.text._ZN9rocsparseL41csrgemm_numeric_fill_block_per_row_kernelILj1024ELj32ELj2048ELj137ELj32Eli21rocsparse_complex_numIfEEEvT5_PKS3_S5_NS_24const_host_device_scalarIT6_EEPKT4_S5_PKS7_SB_S5_SD_S8_SB_S5_SD_SB_S5_PS7_21rocsparse_index_base_SF_SF_SF_bbb,"axG",@progbits,_ZN9rocsparseL41csrgemm_numeric_fill_block_per_row_kernelILj1024ELj32ELj2048ELj137ELj32Eli21rocsparse_complex_numIfEEEvT5_PKS3_S5_NS_24const_host_device_scalarIT6_EEPKT4_S5_PKS7_SB_S5_SD_S8_SB_S5_SD_SB_S5_PS7_21rocsparse_index_base_SF_SF_SF_bbb,comdat
.Lfunc_end208:
	.size	_ZN9rocsparseL41csrgemm_numeric_fill_block_per_row_kernelILj1024ELj32ELj2048ELj137ELj32Eli21rocsparse_complex_numIfEEEvT5_PKS3_S5_NS_24const_host_device_scalarIT6_EEPKT4_S5_PKS7_SB_S5_SD_S8_SB_S5_SD_SB_S5_PS7_21rocsparse_index_base_SF_SF_SF_bbb, .Lfunc_end208-_ZN9rocsparseL41csrgemm_numeric_fill_block_per_row_kernelILj1024ELj32ELj2048ELj137ELj32Eli21rocsparse_complex_numIfEEEvT5_PKS3_S5_NS_24const_host_device_scalarIT6_EEPKT4_S5_PKS7_SB_S5_SD_S8_SB_S5_SD_SB_S5_PS7_21rocsparse_index_base_SF_SF_SF_bbb
                                        ; -- End function
	.set _ZN9rocsparseL41csrgemm_numeric_fill_block_per_row_kernelILj1024ELj32ELj2048ELj137ELj32Eli21rocsparse_complex_numIfEEEvT5_PKS3_S5_NS_24const_host_device_scalarIT6_EEPKT4_S5_PKS7_SB_S5_SD_S8_SB_S5_SD_SB_S5_PS7_21rocsparse_index_base_SF_SF_SF_bbb.num_vgpr, 21
	.set _ZN9rocsparseL41csrgemm_numeric_fill_block_per_row_kernelILj1024ELj32ELj2048ELj137ELj32Eli21rocsparse_complex_numIfEEEvT5_PKS3_S5_NS_24const_host_device_scalarIT6_EEPKT4_S5_PKS7_SB_S5_SD_S8_SB_S5_SD_SB_S5_PS7_21rocsparse_index_base_SF_SF_SF_bbb.num_agpr, 0
	.set _ZN9rocsparseL41csrgemm_numeric_fill_block_per_row_kernelILj1024ELj32ELj2048ELj137ELj32Eli21rocsparse_complex_numIfEEEvT5_PKS3_S5_NS_24const_host_device_scalarIT6_EEPKT4_S5_PKS7_SB_S5_SD_S8_SB_S5_SD_SB_S5_PS7_21rocsparse_index_base_SF_SF_SF_bbb.numbered_sgpr, 50
	.set _ZN9rocsparseL41csrgemm_numeric_fill_block_per_row_kernelILj1024ELj32ELj2048ELj137ELj32Eli21rocsparse_complex_numIfEEEvT5_PKS3_S5_NS_24const_host_device_scalarIT6_EEPKT4_S5_PKS7_SB_S5_SD_S8_SB_S5_SD_SB_S5_PS7_21rocsparse_index_base_SF_SF_SF_bbb.num_named_barrier, 0
	.set _ZN9rocsparseL41csrgemm_numeric_fill_block_per_row_kernelILj1024ELj32ELj2048ELj137ELj32Eli21rocsparse_complex_numIfEEEvT5_PKS3_S5_NS_24const_host_device_scalarIT6_EEPKT4_S5_PKS7_SB_S5_SD_S8_SB_S5_SD_SB_S5_PS7_21rocsparse_index_base_SF_SF_SF_bbb.private_seg_size, 0
	.set _ZN9rocsparseL41csrgemm_numeric_fill_block_per_row_kernelILj1024ELj32ELj2048ELj137ELj32Eli21rocsparse_complex_numIfEEEvT5_PKS3_S5_NS_24const_host_device_scalarIT6_EEPKT4_S5_PKS7_SB_S5_SD_S8_SB_S5_SD_SB_S5_PS7_21rocsparse_index_base_SF_SF_SF_bbb.uses_vcc, 1
	.set _ZN9rocsparseL41csrgemm_numeric_fill_block_per_row_kernelILj1024ELj32ELj2048ELj137ELj32Eli21rocsparse_complex_numIfEEEvT5_PKS3_S5_NS_24const_host_device_scalarIT6_EEPKT4_S5_PKS7_SB_S5_SD_S8_SB_S5_SD_SB_S5_PS7_21rocsparse_index_base_SF_SF_SF_bbb.uses_flat_scratch, 0
	.set _ZN9rocsparseL41csrgemm_numeric_fill_block_per_row_kernelILj1024ELj32ELj2048ELj137ELj32Eli21rocsparse_complex_numIfEEEvT5_PKS3_S5_NS_24const_host_device_scalarIT6_EEPKT4_S5_PKS7_SB_S5_SD_S8_SB_S5_SD_SB_S5_PS7_21rocsparse_index_base_SF_SF_SF_bbb.has_dyn_sized_stack, 0
	.set _ZN9rocsparseL41csrgemm_numeric_fill_block_per_row_kernelILj1024ELj32ELj2048ELj137ELj32Eli21rocsparse_complex_numIfEEEvT5_PKS3_S5_NS_24const_host_device_scalarIT6_EEPKT4_S5_PKS7_SB_S5_SD_S8_SB_S5_SD_SB_S5_PS7_21rocsparse_index_base_SF_SF_SF_bbb.has_recursion, 0
	.set _ZN9rocsparseL41csrgemm_numeric_fill_block_per_row_kernelILj1024ELj32ELj2048ELj137ELj32Eli21rocsparse_complex_numIfEEEvT5_PKS3_S5_NS_24const_host_device_scalarIT6_EEPKT4_S5_PKS7_SB_S5_SD_S8_SB_S5_SD_SB_S5_PS7_21rocsparse_index_base_SF_SF_SF_bbb.has_indirect_call, 0
	.section	.AMDGPU.csdata,"",@progbits
; Kernel info:
; codeLenInByte = 4208
; TotalNumSgprs: 52
; NumVgprs: 21
; ScratchSize: 0
; MemoryBound: 0
; FloatMode: 240
; IeeeMode: 1
; LDSByteSize: 0 bytes/workgroup (compile time only)
; SGPRBlocks: 0
; VGPRBlocks: 1
; NumSGPRsForWavesPerEU: 52
; NumVGPRsForWavesPerEU: 21
; NamedBarCnt: 0
; Occupancy: 16
; WaveLimiterHint : 1
; COMPUTE_PGM_RSRC2:SCRATCH_EN: 0
; COMPUTE_PGM_RSRC2:USER_SGPR: 2
; COMPUTE_PGM_RSRC2:TRAP_HANDLER: 0
; COMPUTE_PGM_RSRC2:TGID_X_EN: 1
; COMPUTE_PGM_RSRC2:TGID_Y_EN: 0
; COMPUTE_PGM_RSRC2:TGID_Z_EN: 0
; COMPUTE_PGM_RSRC2:TIDIG_COMP_CNT: 0
	.section	.text._ZN9rocsparseL41csrgemm_numeric_fill_block_per_row_kernelILj1024ELj32ELj2048ELj137ELj64Eli21rocsparse_complex_numIfEEEvT5_PKS3_S5_NS_24const_host_device_scalarIT6_EEPKT4_S5_PKS7_SB_S5_SD_S8_SB_S5_SD_SB_S5_PS7_21rocsparse_index_base_SF_SF_SF_bbb,"axG",@progbits,_ZN9rocsparseL41csrgemm_numeric_fill_block_per_row_kernelILj1024ELj32ELj2048ELj137ELj64Eli21rocsparse_complex_numIfEEEvT5_PKS3_S5_NS_24const_host_device_scalarIT6_EEPKT4_S5_PKS7_SB_S5_SD_S8_SB_S5_SD_SB_S5_PS7_21rocsparse_index_base_SF_SF_SF_bbb,comdat
	.globl	_ZN9rocsparseL41csrgemm_numeric_fill_block_per_row_kernelILj1024ELj32ELj2048ELj137ELj64Eli21rocsparse_complex_numIfEEEvT5_PKS3_S5_NS_24const_host_device_scalarIT6_EEPKT4_S5_PKS7_SB_S5_SD_S8_SB_S5_SD_SB_S5_PS7_21rocsparse_index_base_SF_SF_SF_bbb ; -- Begin function _ZN9rocsparseL41csrgemm_numeric_fill_block_per_row_kernelILj1024ELj32ELj2048ELj137ELj64Eli21rocsparse_complex_numIfEEEvT5_PKS3_S5_NS_24const_host_device_scalarIT6_EEPKT4_S5_PKS7_SB_S5_SD_S8_SB_S5_SD_SB_S5_PS7_21rocsparse_index_base_SF_SF_SF_bbb
	.p2align	8
	.type	_ZN9rocsparseL41csrgemm_numeric_fill_block_per_row_kernelILj1024ELj32ELj2048ELj137ELj64Eli21rocsparse_complex_numIfEEEvT5_PKS3_S5_NS_24const_host_device_scalarIT6_EEPKT4_S5_PKS7_SB_S5_SD_S8_SB_S5_SD_SB_S5_PS7_21rocsparse_index_base_SF_SF_SF_bbb,@function
_ZN9rocsparseL41csrgemm_numeric_fill_block_per_row_kernelILj1024ELj32ELj2048ELj137ELj64Eli21rocsparse_complex_numIfEEEvT5_PKS3_S5_NS_24const_host_device_scalarIT6_EEPKT4_S5_PKS7_SB_S5_SD_S8_SB_S5_SD_SB_S5_PS7_21rocsparse_index_base_SF_SF_SF_bbb: ; @_ZN9rocsparseL41csrgemm_numeric_fill_block_per_row_kernelILj1024ELj32ELj2048ELj137ELj64Eli21rocsparse_complex_numIfEEEvT5_PKS3_S5_NS_24const_host_device_scalarIT6_EEPKT4_S5_PKS7_SB_S5_SD_S8_SB_S5_SD_SB_S5_PS7_21rocsparse_index_base_SF_SF_SF_bbb
; %bb.0:
	s_clause 0x3
	s_load_b32 s33, s[0:1], 0x98
	s_load_b128 s[20:23], s[0:1], 0x88
	s_load_b128 s[28:31], s[0:1], 0x8
	s_load_b64 s[36:37], s[0:1], 0x50
	s_mov_b32 s3, 0
	s_mov_b32 s40, 0
	s_wait_kmcnt 0x0
	s_bitcmp1_b32 s33, 0
	s_cselect_b32 s41, -1, 0
	s_bitcmp1_b32 s33, 16
	s_cselect_b32 s2, -1, 0
	s_delay_alu instid0(SALU_CYCLE_1) | instskip(SKIP_2) | instid1(VALU_DEP_1)
	s_xor_b32 s4, s2, -1
	s_bitcmp0_b32 s33, 0
	v_cndmask_b32_e64 v1, 0, 1, s4
	v_cmp_ne_u32_e32 vcc_lo, 1, v1
	s_cbranch_scc1 .LBB209_5
; %bb.1:
	s_load_b64 s[2:3], s[0:1], 0x18
	s_and_b32 vcc_lo, exec_lo, vcc_lo
	s_wait_kmcnt 0x0
	s_mov_b32 s40, s2
	s_cbranch_vccnz .LBB209_3
; %bb.2:
	s_load_b32 s40, s[2:3], 0x0
.LBB209_3:
	s_and_not1_b32 vcc_lo, exec_lo, s4
	s_cbranch_vccnz .LBB209_5
; %bb.4:
	s_wait_xcnt 0x0
	s_load_b32 s3, s[2:3], 0x4
.LBB209_5:
	s_clause 0x3
	s_load_b64 s[34:35], s[0:1], 0x80
	s_load_b256 s[12:19], s[0:1], 0x58
	s_load_b128 s[24:27], s[0:1], 0x40
	s_load_b256 s[4:11], s[0:1], 0x20
	s_bitcmp1_b32 s33, 8
	s_mov_b32 s38, 0
	s_wait_xcnt 0x0
	s_cselect_b32 s2, -1, 0
	s_bfe_u32 s33, s33, 0x10008
	s_mov_b32 s39, 0
	s_cmp_eq_u32 s33, 0
	s_cbranch_scc1 .LBB209_11
; %bb.6:
	v_cmp_ne_u32_e32 vcc_lo, 1, v1
	s_mov_b32 s38, s36
	s_cbranch_vccnz .LBB209_8
; %bb.7:
	s_load_b32 s38, s[36:37], 0x0
.LBB209_8:
	v_cmp_ne_u32_e32 vcc_lo, 1, v1
	s_cbranch_vccnz .LBB209_10
; %bb.9:
	s_wait_xcnt 0x0
	s_load_b32 s37, s[36:37], 0x4
.LBB209_10:
	s_wait_kmcnt 0x0
	s_mov_b32 s39, s37
.LBB209_11:
	s_load_b32 s33, s[0:1], 0x0
	v_lshl_add_u32 v12, v0, 2, 0
	v_lshlrev_b32_e32 v1, 3, v0
	v_or_b32_e32 v13, 0xfffffc00, v0
	s_wait_xcnt 0x0
	s_mov_b32 s0, 0
	v_mov_b32_e32 v2, v12
	v_add3_u32 v14, v1, 0, 0x2000
	v_dual_mov_b32 v1, 0 :: v_dual_mov_b32 v3, v13
	s_wait_kmcnt 0x0
	s_delay_alu instid0(VALU_DEP_2)
	v_dual_mov_b32 v5, v14 :: v_dual_mov_b32 v4, s33
.LBB209_12:                             ; =>This Inner Loop Header: Depth=1
	s_delay_alu instid0(VALU_DEP_2)
	v_add_co_u32 v3, s1, 0x400, v3
	s_xor_b32 s1, s1, -1
	ds_store_b32 v2, v4
	ds_store_2addr_b32 v5, v1, v1 offset1:1
	v_add_nc_u32_e32 v5, 0x2000, v5
	v_add_nc_u32_e32 v2, 0x1000, v2
	s_and_b32 s1, exec_lo, s1
	s_delay_alu instid0(SALU_CYCLE_1) | instskip(NEXT) | instid1(SALU_CYCLE_1)
	s_or_b32 s0, s1, s0
	s_and_not1_b32 exec_lo, exec_lo, s0
	s_cbranch_execnz .LBB209_12
; %bb.13:
	s_or_b32 exec_lo, exec_lo, s0
	s_wait_dscnt 0x0
	s_barrier_signal -1
	s_barrier_wait -1
	s_load_b32 s0, s[28:29], 0x0
	s_bfe_u32 s1, ttmp6, 0x4000c
	s_wait_xcnt 0x0
	s_and_b32 s28, ttmp6, 15
	s_add_co_i32 s1, s1, 1
	s_getreg_b32 s29, hwreg(HW_REG_IB_STS2, 6, 4)
	s_mul_i32 s1, ttmp9, s1
	s_delay_alu instid0(SALU_CYCLE_1)
	s_add_co_i32 s28, s28, s1
	s_cmp_eq_u32 s29, 0
	s_cselect_b32 s1, ttmp9, s28
	s_and_b32 vcc_lo, exec_lo, s41
	s_wait_kmcnt 0x0
	s_add_co_i32 s0, s0, s1
	s_mov_b32 s1, 0
	s_load_b32 s28, s[30:31], s0 offset:0x0 scale_offset
	s_cbranch_vccz .LBB209_31
; %bb.14:
	s_wait_kmcnt 0x0
	s_ashr_i32 s29, s28, 31
	v_dual_mov_b32 v5, 0 :: v_dual_lshrrev_b32 v4, 5, v0
	s_lshl_b64 s[30:31], s[28:29], 3
	s_mov_b32 s0, s20
	s_add_nc_u64 s[4:5], s[4:5], s[30:31]
	s_mov_b32 s29, exec_lo
	s_load_b128 s[44:47], s[4:5], 0x0
	v_sub_nc_u64_e64 v[2:3], v[4:5], s[0:1]
	s_wait_kmcnt 0x0
	s_delay_alu instid0(VALU_DEP_1)
	v_add_nc_u64_e32 v[2:3], s[44:45], v[2:3]
	s_sub_nc_u64 s[0:1], s[46:47], s[0:1]
	s_delay_alu instid0(VALU_DEP_1) | instid1(SALU_CYCLE_1)
	v_cmpx_gt_i64_e64 s[0:1], v[2:3]
	s_cbranch_execz .LBB209_30
; %bb.15:
	v_and_b32_e32 v4, 31, v0
	s_mov_b32 s5, 0
	s_mov_b32 s4, s21
	;; [unrolled: 1-line block ×3, first 2 shown]
	s_delay_alu instid0(VALU_DEP_1)
	v_sub_nc_u64_e64 v[4:5], v[4:5], s[4:5]
	s_branch .LBB209_17
.LBB209_16:                             ;   in Loop: Header=BB209_17 Depth=1
	s_or_b32 exec_lo, exec_lo, s31
	v_add_nc_u64_e32 v[2:3], 32, v[2:3]
	s_delay_alu instid0(VALU_DEP_1) | instskip(SKIP_1) | instid1(SALU_CYCLE_1)
	v_cmp_le_i64_e32 vcc_lo, s[0:1], v[2:3]
	s_or_b32 s30, vcc_lo, s30
	s_and_not1_b32 exec_lo, exec_lo, s30
	s_cbranch_execz .LBB209_30
.LBB209_17:                             ; =>This Loop Header: Depth=1
                                        ;     Child Loop BB209_21 Depth 2
                                        ;       Child Loop BB209_24 Depth 3
	v_lshl_add_u64 v[6:7], v[2:3], 2, s[6:7]
	s_mov_b32 s31, exec_lo
	global_load_b32 v1, v[6:7], off
	s_wait_loadcnt 0x0
	s_wait_xcnt 0x0
	v_subrev_nc_u32_e32 v6, s20, v1
	s_delay_alu instid0(VALU_DEP_1) | instskip(NEXT) | instid1(VALU_DEP_1)
	v_ashrrev_i32_e32 v7, 31, v6
	v_lshl_add_u64 v[6:7], v[6:7], 3, s[10:11]
	global_load_b128 v[8:11], v[6:7], off
	s_wait_loadcnt 0x0
	s_wait_xcnt 0x0
	v_sub_nc_u64_e64 v[6:7], v[10:11], s[4:5]
	v_add_nc_u64_e32 v[8:9], v[8:9], v[4:5]
	s_delay_alu instid0(VALU_DEP_1)
	v_cmpx_lt_i64_e64 v[8:9], v[6:7]
	s_cbranch_execz .LBB209_16
; %bb.18:                               ;   in Loop: Header=BB209_17 Depth=1
	v_lshl_add_u64 v[10:11], v[2:3], 3, s[8:9]
	s_mov_b32 s36, 0
	global_load_b64 v[10:11], v[10:11], off
	s_wait_loadcnt 0x0
	v_mul_f32_e64 v1, v11, -s3
	s_delay_alu instid0(VALU_DEP_1) | instskip(NEXT) | instid1(VALU_DEP_1)
	v_dual_mul_f32 v15, s40, v11 :: v_dual_fmac_f32 v1, s40, v10
	v_fmac_f32_e32 v15, s3, v10
	s_branch .LBB209_21
.LBB209_19:                             ;   in Loop: Header=BB209_21 Depth=2
	s_or_b32 exec_lo, exec_lo, s41
.LBB209_20:                             ;   in Loop: Header=BB209_21 Depth=2
	s_delay_alu instid0(SALU_CYCLE_1)
	s_or_b32 exec_lo, exec_lo, s37
	s_wait_loadcnt 0x0
	v_mul_f32_e64 v17, v11, -v15
	v_mul_f32_e32 v11, v1, v11
	v_lshl_add_u32 v16, v16, 3, 0
	v_add_nc_u64_e32 v[8:9], 32, v[8:9]
	s_delay_alu instid0(VALU_DEP_3) | instskip(SKIP_4) | instid1(SALU_CYCLE_1)
	v_dual_fmac_f32 v17, v1, v10 :: v_dual_fmac_f32 v11, v15, v10
	ds_add_f32 v16, v17 offset:8192
	ds_add_f32 v16, v11 offset:8196
	v_cmp_ge_i64_e32 vcc_lo, v[8:9], v[6:7]
	s_or_b32 s36, vcc_lo, s36
	s_and_not1_b32 exec_lo, exec_lo, s36
	s_cbranch_execz .LBB209_16
.LBB209_21:                             ;   Parent Loop BB209_17 Depth=1
                                        ; =>  This Loop Header: Depth=2
                                        ;       Child Loop BB209_24 Depth 3
	s_wait_xcnt 0x0
	v_lshl_add_u64 v[10:11], v[8:9], 2, s[24:25]
	s_mov_b32 s37, exec_lo
	global_load_b32 v16, v[10:11], off
	s_wait_xcnt 0x0
	v_lshl_add_u64 v[10:11], v[8:9], 3, s[26:27]
	global_load_b64 v[10:11], v[10:11], off
	s_wait_loadcnt 0x1
	v_subrev_nc_u32_e32 v17, s21, v16
	s_delay_alu instid0(VALU_DEP_1) | instskip(NEXT) | instid1(VALU_DEP_1)
	v_mul_lo_u32 v16, 0x89, v17
	v_and_b32_e32 v16, 0x7ff, v16
	s_delay_alu instid0(VALU_DEP_1)
	v_lshl_add_u32 v18, v16, 2, 0
	ds_load_b32 v19, v18
	s_wait_dscnt 0x0
	s_wait_xcnt 0x0
	v_cmpx_ne_u32_e64 v19, v17
	s_cbranch_execz .LBB209_20
; %bb.22:                               ;   in Loop: Header=BB209_21 Depth=2
	s_mov_b32 s41, 0
	s_branch .LBB209_24
.LBB209_23:                             ;   in Loop: Header=BB209_24 Depth=3
	s_or_b32 exec_lo, exec_lo, s44
	s_delay_alu instid0(SALU_CYCLE_1) | instskip(NEXT) | instid1(SALU_CYCLE_1)
	s_and_b32 s42, exec_lo, s43
	s_or_b32 s41, s42, s41
	s_delay_alu instid0(SALU_CYCLE_1)
	s_and_not1_b32 exec_lo, exec_lo, s41
	s_cbranch_execz .LBB209_19
.LBB209_24:                             ;   Parent Loop BB209_17 Depth=1
                                        ;     Parent Loop BB209_21 Depth=2
                                        ; =>    This Inner Loop Header: Depth=3
	s_mov_b32 s42, 0
	s_mov_b32 s43, exec_lo
	v_cmpx_ne_u32_e64 s33, v19
	s_xor_b32 s43, exec_lo, s43
	s_cbranch_execz .LBB209_26
; %bb.25:                               ;   in Loop: Header=BB209_24 Depth=3
	v_add_nc_u32_e32 v16, 1, v16
	s_mov_b32 s42, exec_lo
                                        ; implicit-def: $vgpr18
	s_delay_alu instid0(VALU_DEP_1)
	v_and_b32_e32 v16, 0x7ff, v16
	s_and_not1_saveexec_b32 s43, s43
	s_cbranch_execz .LBB209_28
	s_branch .LBB209_27
.LBB209_26:                             ;   in Loop: Header=BB209_24 Depth=3
	s_and_not1_saveexec_b32 s43, s43
	s_cbranch_execz .LBB209_28
.LBB209_27:                             ;   in Loop: Header=BB209_24 Depth=3
	v_mov_b32_e32 v19, s33
	s_and_not1_b32 s42, s42, exec_lo
	ds_cmpstore_rtn_b32 v18, v18, v17, v19
	s_wait_dscnt 0x0
	v_cmp_ne_u32_e32 vcc_lo, s33, v18
	s_and_b32 s44, vcc_lo, exec_lo
	s_delay_alu instid0(SALU_CYCLE_1)
	s_or_b32 s42, s42, s44
.LBB209_28:                             ;   in Loop: Header=BB209_24 Depth=3
	s_or_b32 exec_lo, exec_lo, s43
	s_mov_b32 s43, -1
                                        ; implicit-def: $vgpr18
                                        ; implicit-def: $vgpr19
	s_and_saveexec_b32 s44, s42
	s_cbranch_execz .LBB209_23
; %bb.29:                               ;   in Loop: Header=BB209_24 Depth=3
	v_lshl_add_u32 v18, v16, 2, 0
	ds_load_b32 v19, v18
	s_wait_dscnt 0x0
	v_cmp_eq_u32_e32 vcc_lo, v19, v17
	s_or_not1_b32 s43, vcc_lo, exec_lo
	s_branch .LBB209_23
.LBB209_30:
	s_or_b32 exec_lo, exec_lo, s29
.LBB209_31:
	s_delay_alu instid0(SALU_CYCLE_1)
	s_and_not1_b32 vcc_lo, exec_lo, s2
	s_cbranch_vccnz .LBB209_34
; %bb.32:
	s_wait_kmcnt 0x0
	s_ashr_i32 s29, s28, 31
	v_mov_b32_e32 v1, 0
	s_lshl_b64 s[0:1], s[28:29], 3
	s_delay_alu instid0(SALU_CYCLE_1) | instskip(SKIP_4) | instid1(SALU_CYCLE_1)
	s_add_nc_u64 s[0:1], s[12:13], s[0:1]
	s_load_b128 s[4:7], s[0:1], 0x0
	s_wait_xcnt 0x0
	s_mov_b32 s1, 0
	s_mov_b32 s0, s23
	v_sub_nc_u64_e64 v[2:3], v[0:1], s[0:1]
	s_wait_kmcnt 0x0
	s_delay_alu instid0(VALU_DEP_1) | instskip(SKIP_2) | instid1(VALU_DEP_1)
	v_add_nc_u64_e32 v[2:3], s[4:5], v[2:3]
	s_sub_nc_u64 s[2:3], s[6:7], s[0:1]
	s_mov_b32 s0, exec_lo
	v_cmpx_gt_i64_e64 s[2:3], v[2:3]
	s_cbranch_execnz .LBB209_72
.LBB209_33:
	s_or_b32 exec_lo, exec_lo, s0
.LBB209_34:
	v_mbcnt_lo_u32_b32 v2, -1, 0
	v_dual_lshrrev_b32 v3, 4, v0 :: v_dual_mov_b32 v1, 0
	s_wait_xcnt 0x0
	v_cmp_lt_u32_e64 s0, 63, v0
	v_cmp_lt_u32_e64 s1, 0x7f, v0
	s_delay_alu instid0(VALU_DEP_3)
	v_dual_mov_b32 v6, 0 :: v_dual_bitop2_b32 v3, 60, v3 bitop3:0x40
	v_xor_b32_e32 v2, 31, v2
	v_cmp_lt_u32_e64 s2, 0xbf, v0
	v_cmp_lt_u32_e64 s3, 0xff, v0
	;; [unrolled: 1-line block ×3, first 2 shown]
	v_add_nc_u32_e32 v3, 0, v3
	v_lshrrev_b32_e64 v2, v2, -1
	v_cmp_lt_u32_e64 s5, 0x17f, v0
	v_cmp_lt_u32_e64 s6, 0x1bf, v0
	;; [unrolled: 1-line block ×10, first 2 shown]
	s_mov_b32 s16, 0
	s_wait_dscnt 0x0
	v_cmp_eq_u32_e32 vcc_lo, 0x3ff, v0
	s_barrier_signal -1
	s_barrier_wait -1
	s_branch .LBB209_36
.LBB209_35:                             ;   in Loop: Header=BB209_36 Depth=1
	s_or_b32 exec_lo, exec_lo, s15
	s_wait_dscnt 0x0
	s_barrier_signal -1
	s_barrier_wait -1
	ds_load_b32 v4, v1 offset:24636
	v_add_co_u32 v13, s15, 0x400, v13
	s_xor_b32 s15, s15, -1
	v_add_nc_u32_e32 v14, 0x2000, v14
	v_add_nc_u32_e32 v12, 0x1000, v12
	s_and_b32 s15, exec_lo, s15
	s_delay_alu instid0(SALU_CYCLE_1)
	s_or_b32 s16, s15, s16
	s_wait_dscnt 0x0
	v_add_nc_u32_e32 v6, v4, v6
	s_and_not1_b32 exec_lo, exec_lo, s16
	s_cbranch_execz .LBB209_81
.LBB209_36:                             ; =>This Inner Loop Header: Depth=1
	ds_load_b32 v7, v12
	ds_load_2addr_b32 v[4:5], v14 offset1:1
	s_wait_dscnt 0x0
	s_barrier_signal -1
	s_barrier_wait -1
	v_cmp_gt_i32_e64 s15, s33, v7
	s_bcnt1_i32_b32 s17, s15
	s_delay_alu instid0(SALU_CYCLE_1) | instskip(NEXT) | instid1(VALU_DEP_1)
	v_dual_mov_b32 v9, s17 :: v_dual_bitop2_b32 v8, s15, v2 bitop3:0x40
	v_bcnt_u32_b32 v8, v8, 0
	ds_store_b32 v3, v9 offset:24576
	s_wait_dscnt 0x0
	s_barrier_signal -1
	s_barrier_wait -1
	s_and_saveexec_b32 s17, s0
	s_cbranch_execz .LBB209_53
; %bb.37:                               ;   in Loop: Header=BB209_36 Depth=1
	ds_load_b32 v9, v1 offset:24576
	s_wait_dscnt 0x0
	v_add_nc_u32_e32 v8, v9, v8
	s_or_b32 exec_lo, exec_lo, s17
	s_and_saveexec_b32 s17, s1
	s_cbranch_execnz .LBB209_54
.LBB209_38:                             ;   in Loop: Header=BB209_36 Depth=1
	s_or_b32 exec_lo, exec_lo, s17
	s_and_saveexec_b32 s17, s2
	s_cbranch_execz .LBB209_55
.LBB209_39:                             ;   in Loop: Header=BB209_36 Depth=1
	ds_load_b32 v9, v1 offset:24584
	s_wait_dscnt 0x0
	v_add_nc_u32_e32 v8, v9, v8
	s_or_b32 exec_lo, exec_lo, s17
	s_and_saveexec_b32 s17, s3
	s_cbranch_execnz .LBB209_56
.LBB209_40:                             ;   in Loop: Header=BB209_36 Depth=1
	s_or_b32 exec_lo, exec_lo, s17
	s_and_saveexec_b32 s17, s4
	s_cbranch_execz .LBB209_57
.LBB209_41:                             ;   in Loop: Header=BB209_36 Depth=1
	ds_load_b32 v9, v1 offset:24592
	s_wait_dscnt 0x0
	v_add_nc_u32_e32 v8, v9, v8
	s_or_b32 exec_lo, exec_lo, s17
	s_and_saveexec_b32 s17, s5
	s_cbranch_execnz .LBB209_58
.LBB209_42:                             ;   in Loop: Header=BB209_36 Depth=1
	s_or_b32 exec_lo, exec_lo, s17
	s_and_saveexec_b32 s17, s6
	s_cbranch_execz .LBB209_59
.LBB209_43:                             ;   in Loop: Header=BB209_36 Depth=1
	ds_load_b32 v9, v1 offset:24600
	s_wait_dscnt 0x0
	v_add_nc_u32_e32 v8, v9, v8
	s_or_b32 exec_lo, exec_lo, s17
	s_and_saveexec_b32 s17, s7
	s_cbranch_execnz .LBB209_60
.LBB209_44:                             ;   in Loop: Header=BB209_36 Depth=1
	s_or_b32 exec_lo, exec_lo, s17
	s_and_saveexec_b32 s17, s8
	s_cbranch_execz .LBB209_61
.LBB209_45:                             ;   in Loop: Header=BB209_36 Depth=1
	ds_load_b32 v9, v1 offset:24608
	s_wait_dscnt 0x0
	v_add_nc_u32_e32 v8, v9, v8
	s_or_b32 exec_lo, exec_lo, s17
	s_and_saveexec_b32 s17, s9
	s_cbranch_execnz .LBB209_62
.LBB209_46:                             ;   in Loop: Header=BB209_36 Depth=1
	s_or_b32 exec_lo, exec_lo, s17
	s_and_saveexec_b32 s17, s10
	s_cbranch_execz .LBB209_63
.LBB209_47:                             ;   in Loop: Header=BB209_36 Depth=1
	ds_load_b32 v9, v1 offset:24616
	s_wait_dscnt 0x0
	v_add_nc_u32_e32 v8, v9, v8
	s_or_b32 exec_lo, exec_lo, s17
	s_and_saveexec_b32 s17, s11
	s_cbranch_execnz .LBB209_64
.LBB209_48:                             ;   in Loop: Header=BB209_36 Depth=1
	s_or_b32 exec_lo, exec_lo, s17
	s_and_saveexec_b32 s17, s12
	s_cbranch_execz .LBB209_65
.LBB209_49:                             ;   in Loop: Header=BB209_36 Depth=1
	ds_load_b32 v9, v1 offset:24624
	s_wait_dscnt 0x0
	v_add_nc_u32_e32 v8, v9, v8
	s_or_b32 exec_lo, exec_lo, s17
	s_and_saveexec_b32 s17, s13
	s_cbranch_execnz .LBB209_66
.LBB209_50:                             ;   in Loop: Header=BB209_36 Depth=1
	s_or_b32 exec_lo, exec_lo, s17
	s_and_saveexec_b32 s17, s14
	s_cbranch_execz .LBB209_67
.LBB209_51:                             ;   in Loop: Header=BB209_36 Depth=1
	ds_load_b32 v9, v1 offset:24632
	s_wait_dscnt 0x0
	v_add_nc_u32_e32 v8, v9, v8
	s_or_b32 exec_lo, exec_lo, s17
	s_and_saveexec_b32 s17, s15
	s_cbranch_execnz .LBB209_68
.LBB209_52:                             ;   in Loop: Header=BB209_36 Depth=1
	s_or_b32 exec_lo, exec_lo, s17
	s_and_saveexec_b32 s15, vcc_lo
	s_cbranch_execz .LBB209_35
	s_branch .LBB209_69
.LBB209_53:                             ;   in Loop: Header=BB209_36 Depth=1
	s_or_b32 exec_lo, exec_lo, s17
	s_and_saveexec_b32 s17, s1
	s_cbranch_execz .LBB209_38
.LBB209_54:                             ;   in Loop: Header=BB209_36 Depth=1
	ds_load_b32 v9, v1 offset:24580
	s_wait_dscnt 0x0
	v_add_nc_u32_e32 v8, v9, v8
	s_or_b32 exec_lo, exec_lo, s17
	s_and_saveexec_b32 s17, s2
	s_cbranch_execnz .LBB209_39
.LBB209_55:                             ;   in Loop: Header=BB209_36 Depth=1
	s_or_b32 exec_lo, exec_lo, s17
	s_and_saveexec_b32 s17, s3
	s_cbranch_execz .LBB209_40
.LBB209_56:                             ;   in Loop: Header=BB209_36 Depth=1
	ds_load_b32 v9, v1 offset:24588
	s_wait_dscnt 0x0
	v_add_nc_u32_e32 v8, v9, v8
	s_or_b32 exec_lo, exec_lo, s17
	s_and_saveexec_b32 s17, s4
	s_cbranch_execnz .LBB209_41
.LBB209_57:                             ;   in Loop: Header=BB209_36 Depth=1
	s_or_b32 exec_lo, exec_lo, s17
	s_and_saveexec_b32 s17, s5
	s_cbranch_execz .LBB209_42
.LBB209_58:                             ;   in Loop: Header=BB209_36 Depth=1
	ds_load_b32 v9, v1 offset:24596
	s_wait_dscnt 0x0
	v_add_nc_u32_e32 v8, v9, v8
	s_or_b32 exec_lo, exec_lo, s17
	s_and_saveexec_b32 s17, s6
	s_cbranch_execnz .LBB209_43
.LBB209_59:                             ;   in Loop: Header=BB209_36 Depth=1
	s_or_b32 exec_lo, exec_lo, s17
	s_and_saveexec_b32 s17, s7
	s_cbranch_execz .LBB209_44
.LBB209_60:                             ;   in Loop: Header=BB209_36 Depth=1
	ds_load_b32 v9, v1 offset:24604
	s_wait_dscnt 0x0
	v_add_nc_u32_e32 v8, v9, v8
	s_or_b32 exec_lo, exec_lo, s17
	s_and_saveexec_b32 s17, s8
	s_cbranch_execnz .LBB209_45
.LBB209_61:                             ;   in Loop: Header=BB209_36 Depth=1
	s_or_b32 exec_lo, exec_lo, s17
	s_and_saveexec_b32 s17, s9
	s_cbranch_execz .LBB209_46
.LBB209_62:                             ;   in Loop: Header=BB209_36 Depth=1
	ds_load_b32 v9, v1 offset:24612
	s_wait_dscnt 0x0
	v_add_nc_u32_e32 v8, v9, v8
	s_or_b32 exec_lo, exec_lo, s17
	s_and_saveexec_b32 s17, s10
	s_cbranch_execnz .LBB209_47
.LBB209_63:                             ;   in Loop: Header=BB209_36 Depth=1
	s_or_b32 exec_lo, exec_lo, s17
	s_and_saveexec_b32 s17, s11
	s_cbranch_execz .LBB209_48
.LBB209_64:                             ;   in Loop: Header=BB209_36 Depth=1
	ds_load_b32 v9, v1 offset:24620
	s_wait_dscnt 0x0
	v_add_nc_u32_e32 v8, v9, v8
	s_or_b32 exec_lo, exec_lo, s17
	s_and_saveexec_b32 s17, s12
	s_cbranch_execnz .LBB209_49
.LBB209_65:                             ;   in Loop: Header=BB209_36 Depth=1
	s_or_b32 exec_lo, exec_lo, s17
	s_and_saveexec_b32 s17, s13
	s_cbranch_execz .LBB209_50
.LBB209_66:                             ;   in Loop: Header=BB209_36 Depth=1
	ds_load_b32 v9, v1 offset:24628
	s_wait_dscnt 0x0
	v_add_nc_u32_e32 v8, v9, v8
	s_or_b32 exec_lo, exec_lo, s17
	s_and_saveexec_b32 s17, s14
	s_cbranch_execnz .LBB209_51
.LBB209_67:                             ;   in Loop: Header=BB209_36 Depth=1
	s_or_b32 exec_lo, exec_lo, s17
	s_and_saveexec_b32 s17, s15
	s_cbranch_execz .LBB209_52
.LBB209_68:                             ;   in Loop: Header=BB209_36 Depth=1
	s_delay_alu instid0(VALU_DEP_1) | instskip(SKIP_1) | instid1(VALU_DEP_2)
	v_add3_u32 v9, v6, -1, v8
	v_add_lshl_u32 v10, v6, v8, 3
	v_lshl_add_u32 v9, v9, 2, 0
	s_delay_alu instid0(VALU_DEP_2)
	v_add3_u32 v10, 0, v10, 0x1ff8
	ds_store_b32 v9, v7
	ds_store_2addr_b32 v10, v4, v5 offset1:1
	s_or_b32 exec_lo, exec_lo, s17
	s_and_saveexec_b32 s15, vcc_lo
	s_cbranch_execz .LBB209_35
.LBB209_69:                             ;   in Loop: Header=BB209_36 Depth=1
	ds_store_b32 v1, v8 offset:24636
	s_branch .LBB209_35
.LBB209_70:                             ;   in Loop: Header=BB209_72 Depth=1
	s_or_b32 exec_lo, exec_lo, s5
.LBB209_71:                             ;   in Loop: Header=BB209_72 Depth=1
	s_delay_alu instid0(SALU_CYCLE_1)
	s_or_b32 exec_lo, exec_lo, s4
	s_wait_loadcnt 0x0
	v_mul_f32_e64 v6, v5, -s39
	v_mul_f32_e32 v5, s38, v5
	v_lshl_add_u32 v1, v1, 3, 0
	v_add_nc_u64_e32 v[2:3], 0x400, v[2:3]
	s_delay_alu instid0(VALU_DEP_3) | instskip(SKIP_4) | instid1(SALU_CYCLE_1)
	v_dual_fmac_f32 v6, s38, v4 :: v_dual_fmac_f32 v5, s39, v4
	ds_add_f32 v1, v6 offset:8192
	ds_add_f32 v1, v5 offset:8196
	v_cmp_le_i64_e32 vcc_lo, s[2:3], v[2:3]
	s_or_b32 s1, vcc_lo, s1
	s_and_not1_b32 exec_lo, exec_lo, s1
	s_cbranch_execz .LBB209_33
.LBB209_72:                             ; =>This Loop Header: Depth=1
                                        ;     Child Loop BB209_75 Depth 2
	v_lshl_add_u64 v[4:5], v[2:3], 2, s[14:15]
	s_mov_b32 s4, exec_lo
	global_load_b32 v1, v[4:5], off
	s_wait_xcnt 0x0
	v_lshl_add_u64 v[4:5], v[2:3], 3, s[16:17]
	global_load_b64 v[4:5], v[4:5], off
	s_wait_loadcnt 0x1
	v_subrev_nc_u32_e32 v6, s23, v1
	s_delay_alu instid0(VALU_DEP_1) | instskip(NEXT) | instid1(VALU_DEP_1)
	v_mul_lo_u32 v1, 0x89, v6
	v_and_b32_e32 v1, 0x7ff, v1
	s_delay_alu instid0(VALU_DEP_1)
	v_lshl_add_u32 v7, v1, 2, 0
	ds_load_b32 v8, v7
	s_wait_dscnt 0x0
	s_wait_xcnt 0x0
	v_cmpx_ne_u32_e64 v8, v6
	s_cbranch_execz .LBB209_71
; %bb.73:                               ;   in Loop: Header=BB209_72 Depth=1
	s_mov_b32 s5, 0
	s_branch .LBB209_75
.LBB209_74:                             ;   in Loop: Header=BB209_75 Depth=2
	s_or_b32 exec_lo, exec_lo, s8
	s_delay_alu instid0(SALU_CYCLE_1) | instskip(NEXT) | instid1(SALU_CYCLE_1)
	s_and_b32 s6, exec_lo, s7
	s_or_b32 s5, s6, s5
	s_delay_alu instid0(SALU_CYCLE_1)
	s_and_not1_b32 exec_lo, exec_lo, s5
	s_cbranch_execz .LBB209_70
.LBB209_75:                             ;   Parent Loop BB209_72 Depth=1
                                        ; =>  This Inner Loop Header: Depth=2
	s_mov_b32 s6, 0
	s_mov_b32 s7, exec_lo
	v_cmpx_ne_u32_e64 s33, v8
	s_xor_b32 s7, exec_lo, s7
	s_cbranch_execz .LBB209_77
; %bb.76:                               ;   in Loop: Header=BB209_75 Depth=2
	v_add_nc_u32_e32 v1, 1, v1
	s_mov_b32 s6, exec_lo
                                        ; implicit-def: $vgpr7
	s_delay_alu instid0(VALU_DEP_1)
	v_and_b32_e32 v1, 0x7ff, v1
	s_and_not1_saveexec_b32 s7, s7
	s_cbranch_execz .LBB209_79
	s_branch .LBB209_78
.LBB209_77:                             ;   in Loop: Header=BB209_75 Depth=2
	s_and_not1_saveexec_b32 s7, s7
	s_cbranch_execz .LBB209_79
.LBB209_78:                             ;   in Loop: Header=BB209_75 Depth=2
	v_mov_b32_e32 v8, s33
	s_and_not1_b32 s6, s6, exec_lo
	ds_cmpstore_rtn_b32 v7, v7, v6, v8
	s_wait_dscnt 0x0
	v_cmp_ne_u32_e32 vcc_lo, s33, v7
	s_and_b32 s8, vcc_lo, exec_lo
	s_delay_alu instid0(SALU_CYCLE_1)
	s_or_b32 s6, s6, s8
.LBB209_79:                             ;   in Loop: Header=BB209_75 Depth=2
	s_or_b32 exec_lo, exec_lo, s7
	s_mov_b32 s7, -1
                                        ; implicit-def: $vgpr7
                                        ; implicit-def: $vgpr8
	s_and_saveexec_b32 s8, s6
	s_cbranch_execz .LBB209_74
; %bb.80:                               ;   in Loop: Header=BB209_75 Depth=2
	v_lshl_add_u32 v7, v1, 2, 0
	ds_load_b32 v8, v7
	s_wait_dscnt 0x0
	v_cmp_eq_u32_e32 vcc_lo, v8, v6
	s_or_not1_b32 s7, vcc_lo, exec_lo
	s_branch .LBB209_74
.LBB209_81:
	s_or_b32 exec_lo, exec_lo, s16
	s_wait_kmcnt 0x0
	s_ashr_i32 s29, s28, 31
	s_delay_alu instid0(SALU_CYCLE_1) | instskip(NEXT) | instid1(SALU_CYCLE_1)
	s_lshl_b64 s[0:1], s[28:29], 3
	s_add_nc_u64 s[4:5], s[18:19], s[0:1]
	s_load_b128 s[0:3], s[4:5], 0x0
	s_wait_xcnt 0x0
	s_mov_b32 s4, exec_lo
	s_wait_kmcnt 0x0
	s_sub_co_i32 s3, s2, s0
	s_delay_alu instid0(SALU_CYCLE_1)
	v_cmpx_gt_i32_e64 s3, v0
	s_cbranch_execz .LBB209_91
; %bb.82:
	s_sub_co_i32 s4, s0, s2
	s_and_b32 s2, s3, 7
	s_cmp_lt_u32 s4, -7
	s_mov_b32 s23, 0
	s_cselect_b32 s4, -1, 0
	s_and_b32 s5, s3, -8
	s_cmp_lg_u32 s2, 0
	s_sub_nc_u64 s[0:1], s[0:1], s[22:23]
	s_cselect_b32 s6, -1, 0
	s_mov_b32 s7, 0
	s_branch .LBB209_84
.LBB209_83:                             ;   in Loop: Header=BB209_84 Depth=1
	v_add_nc_u32_e32 v0, 0x400, v0
	s_delay_alu instid0(VALU_DEP_2) | instskip(NEXT) | instid1(VALU_DEP_2)
	v_lshl_add_u64 v[4:5], v[4:5], 3, s[34:35]
	v_cmp_le_i32_e32 vcc_lo, s3, v0
	s_wait_dscnt 0x0
	global_store_b64 v[4:5], v[2:3], off
	s_or_b32 s7, vcc_lo, s7
	s_wait_xcnt 0x0
	s_and_not1_b32 exec_lo, exec_lo, s7
	s_cbranch_execz .LBB209_91
.LBB209_84:                             ; =>This Loop Header: Depth=1
                                        ;     Child Loop BB209_86 Depth 2
                                        ;     Child Loop BB209_90 Depth 2
	v_lshlrev_b32_e32 v1, 2, v0
	v_mov_b64_e32 v[4:5], s[0:1]
	s_and_not1_b32 vcc_lo, exec_lo, s4
	s_mov_b32 s8, 0
	s_delay_alu instid0(VALU_DEP_2) | instskip(NEXT) | instid1(VALU_DEP_1)
	v_add_nc_u32_e32 v2, 0, v1
	v_add3_u32 v3, v2, v1, 0x2000
	ds_load_b32 v1, v2
	ds_load_2addr_b32 v[2:3], v3 offset1:1
	s_cbranch_vccnz .LBB209_88
; %bb.85:                               ;   in Loop: Header=BB209_84 Depth=1
	v_mov_b64_e32 v[4:5], s[0:1]
	s_mov_b32 s9, 0
.LBB209_86:                             ;   Parent Loop BB209_84 Depth=1
                                        ; =>  This Inner Loop Header: Depth=2
	s_delay_alu instid0(SALU_CYCLE_1)
	v_dual_mov_b32 v10, s9 :: v_dual_mov_b32 v11, s23
	v_mov_b32_e32 v17, s23
	s_add_co_i32 s8, s8, 8
	s_add_co_i32 s9, s9, 32
	ds_load_2addr_b32 v[6:7], v10 offset1:1
	ds_load_2addr_b32 v[8:9], v10 offset0:2 offset1:3
	ds_load_2addr_b32 v[12:13], v10 offset0:4 offset1:5
	;; [unrolled: 1-line block ×3, first 2 shown]
	s_cmp_eq_u32 s5, s8
	s_wait_dscnt 0x3
	v_cmp_gt_i32_e32 vcc_lo, v1, v6
	v_cndmask_b32_e64 v10, 0, 1, vcc_lo
	v_cmp_gt_i32_e32 vcc_lo, v1, v7
	v_mov_b32_e32 v7, s23
	s_delay_alu instid0(VALU_DEP_3) | instskip(SKIP_4) | instid1(VALU_DEP_3)
	v_add_nc_u64_e32 v[4:5], v[4:5], v[10:11]
	v_cndmask_b32_e64 v16, 0, 1, vcc_lo
	s_wait_dscnt 0x2
	v_cmp_gt_i32_e32 vcc_lo, v1, v8
	v_cndmask_b32_e64 v6, 0, 1, vcc_lo
	v_add_nc_u64_e32 v[4:5], v[4:5], v[16:17]
	v_cmp_gt_i32_e32 vcc_lo, v1, v9
	v_mov_b32_e32 v9, s23
	v_cndmask_b32_e64 v10, 0, 1, vcc_lo
	s_delay_alu instid0(VALU_DEP_4) | instskip(SKIP_3) | instid1(VALU_DEP_3)
	v_add_nc_u64_e32 v[4:5], v[4:5], v[6:7]
	s_wait_dscnt 0x1
	v_cmp_gt_i32_e32 vcc_lo, v1, v12
	v_cndmask_b32_e64 v6, 0, 1, vcc_lo
	v_add_nc_u64_e32 v[4:5], v[4:5], v[10:11]
	v_cmp_gt_i32_e32 vcc_lo, v1, v13
	v_cndmask_b32_e64 v8, 0, 1, vcc_lo
	s_delay_alu instid0(VALU_DEP_3) | instskip(SKIP_3) | instid1(VALU_DEP_3)
	v_add_nc_u64_e32 v[4:5], v[4:5], v[6:7]
	s_wait_dscnt 0x0
	v_cmp_gt_i32_e32 vcc_lo, v1, v14
	v_cndmask_b32_e64 v6, 0, 1, vcc_lo
	v_add_nc_u64_e32 v[4:5], v[4:5], v[8:9]
	v_cmp_gt_i32_e32 vcc_lo, v1, v15
	v_cndmask_b32_e64 v8, 0, 1, vcc_lo
	s_delay_alu instid0(VALU_DEP_3) | instskip(NEXT) | instid1(VALU_DEP_1)
	v_add_nc_u64_e32 v[4:5], v[4:5], v[6:7]
	v_add_nc_u64_e32 v[4:5], v[4:5], v[8:9]
	s_cbranch_scc0 .LBB209_86
; %bb.87:                               ;   in Loop: Header=BB209_84 Depth=1
	s_mov_b32 s8, s5
.LBB209_88:                             ;   in Loop: Header=BB209_84 Depth=1
	s_and_not1_b32 vcc_lo, exec_lo, s6
	s_cbranch_vccnz .LBB209_83
; %bb.89:                               ;   in Loop: Header=BB209_84 Depth=1
	s_lshl_b32 s8, s8, 2
	s_mov_b32 s9, s2
	s_add_co_i32 s8, s8, 0
.LBB209_90:                             ;   Parent Loop BB209_84 Depth=1
                                        ; =>  This Inner Loop Header: Depth=2
	s_delay_alu instid0(SALU_CYCLE_1)
	v_dual_mov_b32 v6, s8 :: v_dual_mov_b32 v7, s23
	s_add_co_i32 s9, s9, -1
	s_add_co_i32 s8, s8, 4
	s_cmp_lg_u32 s9, 0
	ds_load_b32 v6, v6
	s_wait_dscnt 0x0
	v_cmp_gt_i32_e32 vcc_lo, v1, v6
	v_cndmask_b32_e64 v6, 0, 1, vcc_lo
	s_delay_alu instid0(VALU_DEP_1)
	v_add_nc_u64_e32 v[4:5], v[4:5], v[6:7]
	s_cbranch_scc1 .LBB209_90
	s_branch .LBB209_83
.LBB209_91:
	s_endpgm
	.section	.rodata,"a",@progbits
	.p2align	6, 0x0
	.amdhsa_kernel _ZN9rocsparseL41csrgemm_numeric_fill_block_per_row_kernelILj1024ELj32ELj2048ELj137ELj64Eli21rocsparse_complex_numIfEEEvT5_PKS3_S5_NS_24const_host_device_scalarIT6_EEPKT4_S5_PKS7_SB_S5_SD_S8_SB_S5_SD_SB_S5_PS7_21rocsparse_index_base_SF_SF_SF_bbb
		.amdhsa_group_segment_fixed_size 0
		.amdhsa_private_segment_fixed_size 0
		.amdhsa_kernarg_size 156
		.amdhsa_user_sgpr_count 2
		.amdhsa_user_sgpr_dispatch_ptr 0
		.amdhsa_user_sgpr_queue_ptr 0
		.amdhsa_user_sgpr_kernarg_segment_ptr 1
		.amdhsa_user_sgpr_dispatch_id 0
		.amdhsa_user_sgpr_kernarg_preload_length 0
		.amdhsa_user_sgpr_kernarg_preload_offset 0
		.amdhsa_user_sgpr_private_segment_size 0
		.amdhsa_wavefront_size32 1
		.amdhsa_uses_dynamic_stack 0
		.amdhsa_enable_private_segment 0
		.amdhsa_system_sgpr_workgroup_id_x 1
		.amdhsa_system_sgpr_workgroup_id_y 0
		.amdhsa_system_sgpr_workgroup_id_z 0
		.amdhsa_system_sgpr_workgroup_info 0
		.amdhsa_system_vgpr_workitem_id 0
		.amdhsa_next_free_vgpr 20
		.amdhsa_next_free_sgpr 48
		.amdhsa_named_barrier_count 0
		.amdhsa_reserve_vcc 1
		.amdhsa_float_round_mode_32 0
		.amdhsa_float_round_mode_16_64 0
		.amdhsa_float_denorm_mode_32 3
		.amdhsa_float_denorm_mode_16_64 3
		.amdhsa_fp16_overflow 0
		.amdhsa_memory_ordered 1
		.amdhsa_forward_progress 1
		.amdhsa_inst_pref_size 27
		.amdhsa_round_robin_scheduling 0
		.amdhsa_exception_fp_ieee_invalid_op 0
		.amdhsa_exception_fp_denorm_src 0
		.amdhsa_exception_fp_ieee_div_zero 0
		.amdhsa_exception_fp_ieee_overflow 0
		.amdhsa_exception_fp_ieee_underflow 0
		.amdhsa_exception_fp_ieee_inexact 0
		.amdhsa_exception_int_div_zero 0
	.end_amdhsa_kernel
	.section	.text._ZN9rocsparseL41csrgemm_numeric_fill_block_per_row_kernelILj1024ELj32ELj2048ELj137ELj64Eli21rocsparse_complex_numIfEEEvT5_PKS3_S5_NS_24const_host_device_scalarIT6_EEPKT4_S5_PKS7_SB_S5_SD_S8_SB_S5_SD_SB_S5_PS7_21rocsparse_index_base_SF_SF_SF_bbb,"axG",@progbits,_ZN9rocsparseL41csrgemm_numeric_fill_block_per_row_kernelILj1024ELj32ELj2048ELj137ELj64Eli21rocsparse_complex_numIfEEEvT5_PKS3_S5_NS_24const_host_device_scalarIT6_EEPKT4_S5_PKS7_SB_S5_SD_S8_SB_S5_SD_SB_S5_PS7_21rocsparse_index_base_SF_SF_SF_bbb,comdat
.Lfunc_end209:
	.size	_ZN9rocsparseL41csrgemm_numeric_fill_block_per_row_kernelILj1024ELj32ELj2048ELj137ELj64Eli21rocsparse_complex_numIfEEEvT5_PKS3_S5_NS_24const_host_device_scalarIT6_EEPKT4_S5_PKS7_SB_S5_SD_S8_SB_S5_SD_SB_S5_PS7_21rocsparse_index_base_SF_SF_SF_bbb, .Lfunc_end209-_ZN9rocsparseL41csrgemm_numeric_fill_block_per_row_kernelILj1024ELj32ELj2048ELj137ELj64Eli21rocsparse_complex_numIfEEEvT5_PKS3_S5_NS_24const_host_device_scalarIT6_EEPKT4_S5_PKS7_SB_S5_SD_S8_SB_S5_SD_SB_S5_PS7_21rocsparse_index_base_SF_SF_SF_bbb
                                        ; -- End function
	.set _ZN9rocsparseL41csrgemm_numeric_fill_block_per_row_kernelILj1024ELj32ELj2048ELj137ELj64Eli21rocsparse_complex_numIfEEEvT5_PKS3_S5_NS_24const_host_device_scalarIT6_EEPKT4_S5_PKS7_SB_S5_SD_S8_SB_S5_SD_SB_S5_PS7_21rocsparse_index_base_SF_SF_SF_bbb.num_vgpr, 20
	.set _ZN9rocsparseL41csrgemm_numeric_fill_block_per_row_kernelILj1024ELj32ELj2048ELj137ELj64Eli21rocsparse_complex_numIfEEEvT5_PKS3_S5_NS_24const_host_device_scalarIT6_EEPKT4_S5_PKS7_SB_S5_SD_S8_SB_S5_SD_SB_S5_PS7_21rocsparse_index_base_SF_SF_SF_bbb.num_agpr, 0
	.set _ZN9rocsparseL41csrgemm_numeric_fill_block_per_row_kernelILj1024ELj32ELj2048ELj137ELj64Eli21rocsparse_complex_numIfEEEvT5_PKS3_S5_NS_24const_host_device_scalarIT6_EEPKT4_S5_PKS7_SB_S5_SD_S8_SB_S5_SD_SB_S5_PS7_21rocsparse_index_base_SF_SF_SF_bbb.numbered_sgpr, 48
	.set _ZN9rocsparseL41csrgemm_numeric_fill_block_per_row_kernelILj1024ELj32ELj2048ELj137ELj64Eli21rocsparse_complex_numIfEEEvT5_PKS3_S5_NS_24const_host_device_scalarIT6_EEPKT4_S5_PKS7_SB_S5_SD_S8_SB_S5_SD_SB_S5_PS7_21rocsparse_index_base_SF_SF_SF_bbb.num_named_barrier, 0
	.set _ZN9rocsparseL41csrgemm_numeric_fill_block_per_row_kernelILj1024ELj32ELj2048ELj137ELj64Eli21rocsparse_complex_numIfEEEvT5_PKS3_S5_NS_24const_host_device_scalarIT6_EEPKT4_S5_PKS7_SB_S5_SD_S8_SB_S5_SD_SB_S5_PS7_21rocsparse_index_base_SF_SF_SF_bbb.private_seg_size, 0
	.set _ZN9rocsparseL41csrgemm_numeric_fill_block_per_row_kernelILj1024ELj32ELj2048ELj137ELj64Eli21rocsparse_complex_numIfEEEvT5_PKS3_S5_NS_24const_host_device_scalarIT6_EEPKT4_S5_PKS7_SB_S5_SD_S8_SB_S5_SD_SB_S5_PS7_21rocsparse_index_base_SF_SF_SF_bbb.uses_vcc, 1
	.set _ZN9rocsparseL41csrgemm_numeric_fill_block_per_row_kernelILj1024ELj32ELj2048ELj137ELj64Eli21rocsparse_complex_numIfEEEvT5_PKS3_S5_NS_24const_host_device_scalarIT6_EEPKT4_S5_PKS7_SB_S5_SD_S8_SB_S5_SD_SB_S5_PS7_21rocsparse_index_base_SF_SF_SF_bbb.uses_flat_scratch, 0
	.set _ZN9rocsparseL41csrgemm_numeric_fill_block_per_row_kernelILj1024ELj32ELj2048ELj137ELj64Eli21rocsparse_complex_numIfEEEvT5_PKS3_S5_NS_24const_host_device_scalarIT6_EEPKT4_S5_PKS7_SB_S5_SD_S8_SB_S5_SD_SB_S5_PS7_21rocsparse_index_base_SF_SF_SF_bbb.has_dyn_sized_stack, 0
	.set _ZN9rocsparseL41csrgemm_numeric_fill_block_per_row_kernelILj1024ELj32ELj2048ELj137ELj64Eli21rocsparse_complex_numIfEEEvT5_PKS3_S5_NS_24const_host_device_scalarIT6_EEPKT4_S5_PKS7_SB_S5_SD_S8_SB_S5_SD_SB_S5_PS7_21rocsparse_index_base_SF_SF_SF_bbb.has_recursion, 0
	.set _ZN9rocsparseL41csrgemm_numeric_fill_block_per_row_kernelILj1024ELj32ELj2048ELj137ELj64Eli21rocsparse_complex_numIfEEEvT5_PKS3_S5_NS_24const_host_device_scalarIT6_EEPKT4_S5_PKS7_SB_S5_SD_S8_SB_S5_SD_SB_S5_PS7_21rocsparse_index_base_SF_SF_SF_bbb.has_indirect_call, 0
	.section	.AMDGPU.csdata,"",@progbits
; Kernel info:
; codeLenInByte = 3392
; TotalNumSgprs: 50
; NumVgprs: 20
; ScratchSize: 0
; MemoryBound: 0
; FloatMode: 240
; IeeeMode: 1
; LDSByteSize: 0 bytes/workgroup (compile time only)
; SGPRBlocks: 0
; VGPRBlocks: 1
; NumSGPRsForWavesPerEU: 50
; NumVGPRsForWavesPerEU: 20
; NamedBarCnt: 0
; Occupancy: 16
; WaveLimiterHint : 1
; COMPUTE_PGM_RSRC2:SCRATCH_EN: 0
; COMPUTE_PGM_RSRC2:USER_SGPR: 2
; COMPUTE_PGM_RSRC2:TRAP_HANDLER: 0
; COMPUTE_PGM_RSRC2:TGID_X_EN: 1
; COMPUTE_PGM_RSRC2:TGID_Y_EN: 0
; COMPUTE_PGM_RSRC2:TGID_Z_EN: 0
; COMPUTE_PGM_RSRC2:TIDIG_COMP_CNT: 0
	.section	.text._ZN9rocsparseL41csrgemm_numeric_fill_block_per_row_kernelILj1024ELj64ELj4096ELj137ELj32Eli21rocsparse_complex_numIfEEEvT5_PKS3_S5_NS_24const_host_device_scalarIT6_EEPKT4_S5_PKS7_SB_S5_SD_S8_SB_S5_SD_SB_S5_PS7_21rocsparse_index_base_SF_SF_SF_bbb,"axG",@progbits,_ZN9rocsparseL41csrgemm_numeric_fill_block_per_row_kernelILj1024ELj64ELj4096ELj137ELj32Eli21rocsparse_complex_numIfEEEvT5_PKS3_S5_NS_24const_host_device_scalarIT6_EEPKT4_S5_PKS7_SB_S5_SD_S8_SB_S5_SD_SB_S5_PS7_21rocsparse_index_base_SF_SF_SF_bbb,comdat
	.globl	_ZN9rocsparseL41csrgemm_numeric_fill_block_per_row_kernelILj1024ELj64ELj4096ELj137ELj32Eli21rocsparse_complex_numIfEEEvT5_PKS3_S5_NS_24const_host_device_scalarIT6_EEPKT4_S5_PKS7_SB_S5_SD_S8_SB_S5_SD_SB_S5_PS7_21rocsparse_index_base_SF_SF_SF_bbb ; -- Begin function _ZN9rocsparseL41csrgemm_numeric_fill_block_per_row_kernelILj1024ELj64ELj4096ELj137ELj32Eli21rocsparse_complex_numIfEEEvT5_PKS3_S5_NS_24const_host_device_scalarIT6_EEPKT4_S5_PKS7_SB_S5_SD_S8_SB_S5_SD_SB_S5_PS7_21rocsparse_index_base_SF_SF_SF_bbb
	.p2align	8
	.type	_ZN9rocsparseL41csrgemm_numeric_fill_block_per_row_kernelILj1024ELj64ELj4096ELj137ELj32Eli21rocsparse_complex_numIfEEEvT5_PKS3_S5_NS_24const_host_device_scalarIT6_EEPKT4_S5_PKS7_SB_S5_SD_S8_SB_S5_SD_SB_S5_PS7_21rocsparse_index_base_SF_SF_SF_bbb,@function
_ZN9rocsparseL41csrgemm_numeric_fill_block_per_row_kernelILj1024ELj64ELj4096ELj137ELj32Eli21rocsparse_complex_numIfEEEvT5_PKS3_S5_NS_24const_host_device_scalarIT6_EEPKT4_S5_PKS7_SB_S5_SD_S8_SB_S5_SD_SB_S5_PS7_21rocsparse_index_base_SF_SF_SF_bbb: ; @_ZN9rocsparseL41csrgemm_numeric_fill_block_per_row_kernelILj1024ELj64ELj4096ELj137ELj32Eli21rocsparse_complex_numIfEEEvT5_PKS3_S5_NS_24const_host_device_scalarIT6_EEPKT4_S5_PKS7_SB_S5_SD_S8_SB_S5_SD_SB_S5_PS7_21rocsparse_index_base_SF_SF_SF_bbb
; %bb.0:
	s_clause 0x3
	s_load_b32 s22, s[0:1], 0x98
	s_load_b128 s[44:47], s[0:1], 0x88
	s_load_b128 s[16:19], s[0:1], 0x8
	s_load_b64 s[20:21], s[0:1], 0x50
	s_mov_b32 s3, 0
	s_mov_b32 s24, 0
	s_wait_kmcnt 0x0
	s_bitcmp1_b32 s22, 0
	s_cselect_b32 s25, -1, 0
	s_bitcmp1_b32 s22, 16
	s_cselect_b32 s2, -1, 0
	s_delay_alu instid0(SALU_CYCLE_1) | instskip(SKIP_2) | instid1(VALU_DEP_1)
	s_xor_b32 s4, s2, -1
	s_bitcmp0_b32 s22, 0
	v_cndmask_b32_e64 v1, 0, 1, s4
	v_cmp_ne_u32_e32 vcc_lo, 1, v1
	s_cbranch_scc1 .LBB210_5
; %bb.1:
	s_load_b64 s[2:3], s[0:1], 0x18
	s_and_b32 vcc_lo, exec_lo, vcc_lo
	s_wait_kmcnt 0x0
	s_mov_b32 s24, s2
	s_cbranch_vccnz .LBB210_3
; %bb.2:
	s_load_b32 s24, s[2:3], 0x0
.LBB210_3:
	s_and_not1_b32 vcc_lo, exec_lo, s4
	s_cbranch_vccnz .LBB210_5
; %bb.4:
	s_wait_xcnt 0x0
	s_load_b32 s3, s[2:3], 0x4
.LBB210_5:
	s_clause 0x3
	s_load_b64 s[34:35], s[0:1], 0x80
	s_load_b256 s[36:43], s[0:1], 0x58
	s_load_b128 s[12:15], s[0:1], 0x40
	s_load_b256 s[4:11], s[0:1], 0x20
	s_bitcmp1_b32 s22, 8
	s_wait_xcnt 0x0
	s_cselect_b32 s2, -1, 0
	s_bfe_u32 s23, s22, 0x10008
	s_mov_b32 s22, 0
	s_cmp_eq_u32 s23, 0
	s_mov_b32 s23, 0
	s_cbranch_scc1 .LBB210_11
; %bb.6:
	v_cmp_ne_u32_e32 vcc_lo, 1, v1
	s_mov_b32 s22, s20
	s_cbranch_vccnz .LBB210_8
; %bb.7:
	s_load_b32 s22, s[20:21], 0x0
.LBB210_8:
	v_cmp_ne_u32_e32 vcc_lo, 1, v1
	s_cbranch_vccnz .LBB210_10
; %bb.9:
	s_wait_xcnt 0x0
	s_load_b32 s21, s[20:21], 0x4
.LBB210_10:
	s_wait_kmcnt 0x0
	s_mov_b32 s23, s21
.LBB210_11:
	s_load_b32 s33, s[0:1], 0x0
	v_lshl_add_u32 v12, v0, 2, 0
	v_lshlrev_b32_e32 v1, 3, v0
	v_or_b32_e32 v13, 0xfffffc00, v0
	s_wait_xcnt 0x0
	s_mov_b32 s0, 0
	v_mov_b32_e32 v2, v12
	v_add3_u32 v14, v1, 0, 0x4000
	v_dual_mov_b32 v1, 0 :: v_dual_mov_b32 v3, v13
	s_wait_kmcnt 0x0
	s_delay_alu instid0(VALU_DEP_2)
	v_dual_mov_b32 v5, v14 :: v_dual_mov_b32 v4, s33
.LBB210_12:                             ; =>This Inner Loop Header: Depth=1
	s_delay_alu instid0(VALU_DEP_2)
	v_add_nc_u32_e32 v3, 0x400, v3
	ds_store_b32 v2, v4
	ds_store_2addr_b32 v5, v1, v1 offset1:1
	v_add_nc_u32_e32 v5, 0x2000, v5
	v_add_nc_u32_e32 v2, 0x1000, v2
	v_cmp_lt_u32_e32 vcc_lo, 0xbff, v3
	s_or_b32 s0, vcc_lo, s0
	s_delay_alu instid0(SALU_CYCLE_1)
	s_and_not1_b32 exec_lo, exec_lo, s0
	s_cbranch_execnz .LBB210_12
; %bb.13:
	s_or_b32 exec_lo, exec_lo, s0
	s_wait_dscnt 0x0
	s_barrier_signal -1
	s_barrier_wait -1
	s_load_b32 s0, s[16:17], 0x0
	s_bfe_u32 s1, ttmp6, 0x4000c
	s_wait_xcnt 0x0
	s_and_b32 s16, ttmp6, 15
	s_add_co_i32 s1, s1, 1
	s_getreg_b32 s17, hwreg(HW_REG_IB_STS2, 6, 4)
	s_mul_i32 s1, ttmp9, s1
	s_delay_alu instid0(SALU_CYCLE_1)
	s_add_co_i32 s16, s16, s1
	s_cmp_eq_u32 s17, 0
	s_cselect_b32 s1, ttmp9, s16
	s_and_b32 vcc_lo, exec_lo, s25
	s_wait_kmcnt 0x0
	s_add_co_i32 s0, s0, s1
	s_mov_b32 s1, 0
	s_load_b32 s48, s[18:19], s0 offset:0x0 scale_offset
	s_cbranch_vccz .LBB210_31
; %bb.14:
	s_wait_kmcnt 0x0
	s_ashr_i32 s49, s48, 31
	v_dual_mov_b32 v5, 0 :: v_dual_lshrrev_b32 v4, 6, v0
	s_lshl_b64 s[16:17], s[48:49], 3
	s_mov_b32 s0, s44
	s_add_nc_u64 s[4:5], s[4:5], s[16:17]
	s_load_b128 s[16:19], s[4:5], 0x0
	v_sub_nc_u64_e64 v[2:3], v[4:5], s[0:1]
	s_wait_kmcnt 0x0
	s_delay_alu instid0(VALU_DEP_1) | instskip(SKIP_2) | instid1(VALU_DEP_1)
	v_add_nc_u64_e32 v[2:3], s[16:17], v[2:3]
	s_sub_nc_u64 s[0:1], s[18:19], s[0:1]
	s_mov_b32 s16, exec_lo
	v_cmpx_gt_i64_e64 s[0:1], v[2:3]
	s_cbranch_execz .LBB210_30
; %bb.15:
	v_and_b32_e32 v4, 63, v0
	s_mov_b32 s5, 0
	s_mov_b32 s4, s45
	;; [unrolled: 1-line block ×3, first 2 shown]
	s_delay_alu instid0(VALU_DEP_1)
	v_sub_nc_u64_e64 v[4:5], v[4:5], s[4:5]
	s_branch .LBB210_17
.LBB210_16:                             ;   in Loop: Header=BB210_17 Depth=1
	s_or_b32 exec_lo, exec_lo, s18
	v_add_nc_u64_e32 v[2:3], 16, v[2:3]
	s_delay_alu instid0(VALU_DEP_1) | instskip(SKIP_1) | instid1(SALU_CYCLE_1)
	v_cmp_le_i64_e32 vcc_lo, s[0:1], v[2:3]
	s_or_b32 s17, vcc_lo, s17
	s_and_not1_b32 exec_lo, exec_lo, s17
	s_cbranch_execz .LBB210_30
.LBB210_17:                             ; =>This Loop Header: Depth=1
                                        ;     Child Loop BB210_21 Depth 2
                                        ;       Child Loop BB210_24 Depth 3
	v_lshl_add_u64 v[6:7], v[2:3], 2, s[6:7]
	s_mov_b32 s18, exec_lo
	global_load_b32 v1, v[6:7], off
	s_wait_loadcnt 0x0
	s_wait_xcnt 0x0
	v_subrev_nc_u32_e32 v6, s44, v1
	s_delay_alu instid0(VALU_DEP_1) | instskip(NEXT) | instid1(VALU_DEP_1)
	v_ashrrev_i32_e32 v7, 31, v6
	v_lshl_add_u64 v[6:7], v[6:7], 3, s[10:11]
	global_load_b128 v[8:11], v[6:7], off
	s_wait_loadcnt 0x0
	s_wait_xcnt 0x0
	v_sub_nc_u64_e64 v[6:7], v[10:11], s[4:5]
	v_add_nc_u64_e32 v[8:9], v[8:9], v[4:5]
	s_delay_alu instid0(VALU_DEP_1)
	v_cmpx_lt_i64_e64 v[8:9], v[6:7]
	s_cbranch_execz .LBB210_16
; %bb.18:                               ;   in Loop: Header=BB210_17 Depth=1
	v_lshl_add_u64 v[10:11], v[2:3], 3, s[8:9]
	s_mov_b32 s19, 0
	global_load_b64 v[10:11], v[10:11], off
	s_wait_loadcnt 0x0
	v_mul_f32_e64 v1, v11, -s3
	s_delay_alu instid0(VALU_DEP_1) | instskip(NEXT) | instid1(VALU_DEP_1)
	v_dual_mul_f32 v15, s24, v11 :: v_dual_fmac_f32 v1, s24, v10
	v_fmac_f32_e32 v15, s3, v10
	s_branch .LBB210_21
.LBB210_19:                             ;   in Loop: Header=BB210_21 Depth=2
	s_or_b32 exec_lo, exec_lo, s21
.LBB210_20:                             ;   in Loop: Header=BB210_21 Depth=2
	s_delay_alu instid0(SALU_CYCLE_1)
	s_or_b32 exec_lo, exec_lo, s20
	s_wait_loadcnt 0x0
	v_mul_f32_e64 v17, v11, -v15
	v_mul_f32_e32 v11, v1, v11
	v_lshl_add_u32 v16, v16, 3, 0
	v_add_nc_u64_e32 v[8:9], 64, v[8:9]
	s_delay_alu instid0(VALU_DEP_3) | instskip(SKIP_4) | instid1(SALU_CYCLE_1)
	v_dual_fmac_f32 v17, v1, v10 :: v_dual_fmac_f32 v11, v15, v10
	ds_add_f32 v16, v17 offset:16384
	ds_add_f32 v16, v11 offset:16388
	v_cmp_ge_i64_e32 vcc_lo, v[8:9], v[6:7]
	s_or_b32 s19, vcc_lo, s19
	s_and_not1_b32 exec_lo, exec_lo, s19
	s_cbranch_execz .LBB210_16
.LBB210_21:                             ;   Parent Loop BB210_17 Depth=1
                                        ; =>  This Loop Header: Depth=2
                                        ;       Child Loop BB210_24 Depth 3
	s_wait_xcnt 0x0
	v_lshl_add_u64 v[10:11], v[8:9], 2, s[12:13]
	s_mov_b32 s20, exec_lo
	global_load_b32 v16, v[10:11], off
	s_wait_xcnt 0x0
	v_lshl_add_u64 v[10:11], v[8:9], 3, s[14:15]
	global_load_b64 v[10:11], v[10:11], off
	s_wait_loadcnt 0x1
	v_subrev_nc_u32_e32 v17, s45, v16
	s_delay_alu instid0(VALU_DEP_1) | instskip(NEXT) | instid1(VALU_DEP_1)
	v_mul_lo_u32 v16, 0x89, v17
	v_and_b32_e32 v16, 0xfff, v16
	s_delay_alu instid0(VALU_DEP_1)
	v_lshl_add_u32 v18, v16, 2, 0
	ds_load_b32 v19, v18
	s_wait_dscnt 0x0
	s_wait_xcnt 0x0
	v_cmpx_ne_u32_e64 v19, v17
	s_cbranch_execz .LBB210_20
; %bb.22:                               ;   in Loop: Header=BB210_21 Depth=2
	s_mov_b32 s21, 0
	s_branch .LBB210_24
.LBB210_23:                             ;   in Loop: Header=BB210_24 Depth=3
	s_or_b32 exec_lo, exec_lo, s27
	s_delay_alu instid0(SALU_CYCLE_1) | instskip(NEXT) | instid1(SALU_CYCLE_1)
	s_and_b32 s25, exec_lo, s26
	s_or_b32 s21, s25, s21
	s_delay_alu instid0(SALU_CYCLE_1)
	s_and_not1_b32 exec_lo, exec_lo, s21
	s_cbranch_execz .LBB210_19
.LBB210_24:                             ;   Parent Loop BB210_17 Depth=1
                                        ;     Parent Loop BB210_21 Depth=2
                                        ; =>    This Inner Loop Header: Depth=3
	s_mov_b32 s25, 0
	s_mov_b32 s26, exec_lo
	v_cmpx_ne_u32_e64 s33, v19
	s_xor_b32 s26, exec_lo, s26
	s_cbranch_execz .LBB210_26
; %bb.25:                               ;   in Loop: Header=BB210_24 Depth=3
	v_add_nc_u32_e32 v16, 1, v16
	s_mov_b32 s25, exec_lo
                                        ; implicit-def: $vgpr18
	s_delay_alu instid0(VALU_DEP_1)
	v_and_b32_e32 v16, 0xfff, v16
	s_and_not1_saveexec_b32 s26, s26
	s_cbranch_execz .LBB210_28
	s_branch .LBB210_27
.LBB210_26:                             ;   in Loop: Header=BB210_24 Depth=3
	s_and_not1_saveexec_b32 s26, s26
	s_cbranch_execz .LBB210_28
.LBB210_27:                             ;   in Loop: Header=BB210_24 Depth=3
	v_mov_b32_e32 v19, s33
	s_and_not1_b32 s25, s25, exec_lo
	ds_cmpstore_rtn_b32 v18, v18, v17, v19
	s_wait_dscnt 0x0
	v_cmp_ne_u32_e32 vcc_lo, s33, v18
	s_and_b32 s27, vcc_lo, exec_lo
	s_delay_alu instid0(SALU_CYCLE_1)
	s_or_b32 s25, s25, s27
.LBB210_28:                             ;   in Loop: Header=BB210_24 Depth=3
	s_or_b32 exec_lo, exec_lo, s26
	s_mov_b32 s26, -1
                                        ; implicit-def: $vgpr18
                                        ; implicit-def: $vgpr19
	s_and_saveexec_b32 s27, s25
	s_cbranch_execz .LBB210_23
; %bb.29:                               ;   in Loop: Header=BB210_24 Depth=3
	v_lshl_add_u32 v18, v16, 2, 0
	ds_load_b32 v19, v18
	s_wait_dscnt 0x0
	v_cmp_eq_u32_e32 vcc_lo, v19, v17
	s_or_not1_b32 s26, vcc_lo, exec_lo
	s_branch .LBB210_23
.LBB210_30:
	s_or_b32 exec_lo, exec_lo, s16
.LBB210_31:
	s_delay_alu instid0(SALU_CYCLE_1)
	s_and_not1_b32 vcc_lo, exec_lo, s2
	s_cbranch_vccnz .LBB210_34
; %bb.32:
	s_wait_kmcnt 0x0
	s_ashr_i32 s49, s48, 31
	v_mov_b32_e32 v1, 0
	s_lshl_b64 s[0:1], s[48:49], 3
	s_delay_alu instid0(SALU_CYCLE_1) | instskip(SKIP_4) | instid1(SALU_CYCLE_1)
	s_add_nc_u64 s[0:1], s[36:37], s[0:1]
	s_load_b128 s[4:7], s[0:1], 0x0
	s_wait_xcnt 0x0
	s_mov_b32 s1, 0
	s_mov_b32 s0, s47
	v_sub_nc_u64_e64 v[2:3], v[0:1], s[0:1]
	s_wait_kmcnt 0x0
	s_delay_alu instid0(VALU_DEP_1) | instskip(SKIP_2) | instid1(VALU_DEP_1)
	v_add_nc_u64_e32 v[2:3], s[4:5], v[2:3]
	s_sub_nc_u64 s[2:3], s[6:7], s[0:1]
	s_mov_b32 s0, exec_lo
	v_cmpx_gt_i64_e64 s[2:3], v[2:3]
	s_cbranch_execnz .LBB210_104
.LBB210_33:
	s_or_b32 exec_lo, exec_lo, s0
.LBB210_34:
	v_mbcnt_lo_u32_b32 v2, -1, 0
	v_dual_lshrrev_b32 v3, 3, v0 :: v_dual_mov_b32 v1, 0
	s_wait_xcnt 0x0
	v_cmp_lt_u32_e64 s0, 31, v0
	v_cmp_lt_u32_e64 s1, 63, v0
	;; [unrolled: 1-line block ×3, first 2 shown]
	v_and_b32_e32 v3, 0x7c, v3
	v_xor_b32_e32 v2, 31, v2
	v_cmp_lt_u32_e64 s3, 0x7f, v0
	v_cmp_lt_u32_e64 s4, 0x9f, v0
	;; [unrolled: 1-line block ×3, first 2 shown]
	v_add_nc_u32_e32 v3, 0, v3
	v_lshrrev_b32_e64 v2, v2, -1
	v_cmp_lt_u32_e64 s6, 0xdf, v0
	v_cmp_lt_u32_e64 s7, 0xff, v0
	;; [unrolled: 1-line block ×25, first 2 shown]
	v_mov_b32_e32 v6, 0
	s_mov_b32 s36, 0
	s_wait_dscnt 0x0
	v_cmp_eq_u32_e32 vcc_lo, 0x3ff, v0
	s_barrier_signal -1
	s_barrier_wait -1
	s_branch .LBB210_36
.LBB210_35:                             ;   in Loop: Header=BB210_36 Depth=1
	s_or_b32 exec_lo, exec_lo, s31
	s_wait_dscnt 0x0
	s_barrier_signal -1
	s_barrier_wait -1
	ds_load_b32 v4, v1 offset:49276
	v_add_nc_u32_e32 v13, 0x400, v13
	v_add_nc_u32_e32 v14, 0x2000, v14
	;; [unrolled: 1-line block ×3, first 2 shown]
	s_delay_alu instid0(VALU_DEP_3)
	v_cmp_lt_u32_e64 s31, 0xbff, v13
	s_or_b32 s36, s31, s36
	s_wait_dscnt 0x0
	v_add_nc_u32_e32 v6, v4, v6
	s_and_not1_b32 exec_lo, exec_lo, s36
	s_cbranch_execz .LBB210_113
.LBB210_36:                             ; =>This Inner Loop Header: Depth=1
	ds_load_b32 v7, v12
	ds_load_2addr_b32 v[4:5], v14 offset1:1
	s_wait_dscnt 0x0
	s_barrier_signal -1
	s_barrier_wait -1
	v_cmp_gt_i32_e64 s31, s33, v7
	s_bcnt1_i32_b32 s37, s31
	s_delay_alu instid0(SALU_CYCLE_1) | instskip(NEXT) | instid1(VALU_DEP_1)
	v_dual_mov_b32 v9, s37 :: v_dual_bitop2_b32 v8, s31, v2 bitop3:0x40
	v_bcnt_u32_b32 v8, v8, 0
	ds_store_b32 v3, v9 offset:49152
	s_wait_dscnt 0x0
	s_barrier_signal -1
	s_barrier_wait -1
	s_and_saveexec_b32 s37, s0
	s_cbranch_execz .LBB210_69
; %bb.37:                               ;   in Loop: Header=BB210_36 Depth=1
	ds_load_b32 v9, v1 offset:49152
	s_wait_dscnt 0x0
	v_add_nc_u32_e32 v8, v9, v8
	s_or_b32 exec_lo, exec_lo, s37
	s_and_saveexec_b32 s37, s1
	s_cbranch_execnz .LBB210_70
.LBB210_38:                             ;   in Loop: Header=BB210_36 Depth=1
	s_or_b32 exec_lo, exec_lo, s37
	s_and_saveexec_b32 s37, s2
	s_cbranch_execz .LBB210_71
.LBB210_39:                             ;   in Loop: Header=BB210_36 Depth=1
	ds_load_b32 v9, v1 offset:49160
	s_wait_dscnt 0x0
	v_add_nc_u32_e32 v8, v9, v8
	s_or_b32 exec_lo, exec_lo, s37
	s_and_saveexec_b32 s37, s3
	s_cbranch_execnz .LBB210_72
.LBB210_40:                             ;   in Loop: Header=BB210_36 Depth=1
	s_or_b32 exec_lo, exec_lo, s37
	s_and_saveexec_b32 s37, s4
	s_cbranch_execz .LBB210_73
.LBB210_41:                             ;   in Loop: Header=BB210_36 Depth=1
	ds_load_b32 v9, v1 offset:49168
	s_wait_dscnt 0x0
	v_add_nc_u32_e32 v8, v9, v8
	s_or_b32 exec_lo, exec_lo, s37
	s_and_saveexec_b32 s37, s5
	s_cbranch_execnz .LBB210_74
.LBB210_42:                             ;   in Loop: Header=BB210_36 Depth=1
	s_or_b32 exec_lo, exec_lo, s37
	s_and_saveexec_b32 s37, s6
	s_cbranch_execz .LBB210_75
.LBB210_43:                             ;   in Loop: Header=BB210_36 Depth=1
	ds_load_b32 v9, v1 offset:49176
	s_wait_dscnt 0x0
	v_add_nc_u32_e32 v8, v9, v8
	s_or_b32 exec_lo, exec_lo, s37
	s_and_saveexec_b32 s37, s7
	s_cbranch_execnz .LBB210_76
.LBB210_44:                             ;   in Loop: Header=BB210_36 Depth=1
	s_or_b32 exec_lo, exec_lo, s37
	s_and_saveexec_b32 s37, s8
	s_cbranch_execz .LBB210_77
.LBB210_45:                             ;   in Loop: Header=BB210_36 Depth=1
	ds_load_b32 v9, v1 offset:49184
	s_wait_dscnt 0x0
	v_add_nc_u32_e32 v8, v9, v8
	s_or_b32 exec_lo, exec_lo, s37
	s_and_saveexec_b32 s37, s9
	s_cbranch_execnz .LBB210_78
.LBB210_46:                             ;   in Loop: Header=BB210_36 Depth=1
	s_or_b32 exec_lo, exec_lo, s37
	s_and_saveexec_b32 s37, s10
	s_cbranch_execz .LBB210_79
.LBB210_47:                             ;   in Loop: Header=BB210_36 Depth=1
	ds_load_b32 v9, v1 offset:49192
	s_wait_dscnt 0x0
	v_add_nc_u32_e32 v8, v9, v8
	s_or_b32 exec_lo, exec_lo, s37
	s_and_saveexec_b32 s37, s11
	s_cbranch_execnz .LBB210_80
.LBB210_48:                             ;   in Loop: Header=BB210_36 Depth=1
	s_or_b32 exec_lo, exec_lo, s37
	s_and_saveexec_b32 s37, s12
	s_cbranch_execz .LBB210_81
.LBB210_49:                             ;   in Loop: Header=BB210_36 Depth=1
	ds_load_b32 v9, v1 offset:49200
	s_wait_dscnt 0x0
	v_add_nc_u32_e32 v8, v9, v8
	s_or_b32 exec_lo, exec_lo, s37
	s_and_saveexec_b32 s37, s13
	s_cbranch_execnz .LBB210_82
.LBB210_50:                             ;   in Loop: Header=BB210_36 Depth=1
	s_or_b32 exec_lo, exec_lo, s37
	s_and_saveexec_b32 s37, s14
	s_cbranch_execz .LBB210_83
.LBB210_51:                             ;   in Loop: Header=BB210_36 Depth=1
	ds_load_b32 v9, v1 offset:49208
	s_wait_dscnt 0x0
	v_add_nc_u32_e32 v8, v9, v8
	s_or_b32 exec_lo, exec_lo, s37
	s_and_saveexec_b32 s37, s15
	s_cbranch_execnz .LBB210_84
.LBB210_52:                             ;   in Loop: Header=BB210_36 Depth=1
	s_or_b32 exec_lo, exec_lo, s37
	s_and_saveexec_b32 s37, s16
	s_cbranch_execz .LBB210_85
.LBB210_53:                             ;   in Loop: Header=BB210_36 Depth=1
	ds_load_b32 v9, v1 offset:49216
	s_wait_dscnt 0x0
	v_add_nc_u32_e32 v8, v9, v8
	s_or_b32 exec_lo, exec_lo, s37
	s_and_saveexec_b32 s37, s17
	s_cbranch_execnz .LBB210_86
.LBB210_54:                             ;   in Loop: Header=BB210_36 Depth=1
	s_or_b32 exec_lo, exec_lo, s37
	s_and_saveexec_b32 s37, s18
	s_cbranch_execz .LBB210_87
.LBB210_55:                             ;   in Loop: Header=BB210_36 Depth=1
	ds_load_b32 v9, v1 offset:49224
	s_wait_dscnt 0x0
	v_add_nc_u32_e32 v8, v9, v8
	s_or_b32 exec_lo, exec_lo, s37
	s_and_saveexec_b32 s37, s19
	s_cbranch_execnz .LBB210_88
.LBB210_56:                             ;   in Loop: Header=BB210_36 Depth=1
	s_or_b32 exec_lo, exec_lo, s37
	s_and_saveexec_b32 s37, s20
	s_cbranch_execz .LBB210_89
.LBB210_57:                             ;   in Loop: Header=BB210_36 Depth=1
	ds_load_b32 v9, v1 offset:49232
	s_wait_dscnt 0x0
	v_add_nc_u32_e32 v8, v9, v8
	s_or_b32 exec_lo, exec_lo, s37
	s_and_saveexec_b32 s37, s21
	s_cbranch_execnz .LBB210_90
.LBB210_58:                             ;   in Loop: Header=BB210_36 Depth=1
	s_or_b32 exec_lo, exec_lo, s37
	s_and_saveexec_b32 s37, s22
	s_cbranch_execz .LBB210_91
.LBB210_59:                             ;   in Loop: Header=BB210_36 Depth=1
	ds_load_b32 v9, v1 offset:49240
	s_wait_dscnt 0x0
	v_add_nc_u32_e32 v8, v9, v8
	s_or_b32 exec_lo, exec_lo, s37
	s_and_saveexec_b32 s37, s23
	s_cbranch_execnz .LBB210_92
.LBB210_60:                             ;   in Loop: Header=BB210_36 Depth=1
	s_or_b32 exec_lo, exec_lo, s37
	s_and_saveexec_b32 s37, s24
	s_cbranch_execz .LBB210_93
.LBB210_61:                             ;   in Loop: Header=BB210_36 Depth=1
	ds_load_b32 v9, v1 offset:49248
	s_wait_dscnt 0x0
	v_add_nc_u32_e32 v8, v9, v8
	s_or_b32 exec_lo, exec_lo, s37
	s_and_saveexec_b32 s37, s25
	s_cbranch_execnz .LBB210_94
.LBB210_62:                             ;   in Loop: Header=BB210_36 Depth=1
	s_or_b32 exec_lo, exec_lo, s37
	s_and_saveexec_b32 s37, s26
	s_cbranch_execz .LBB210_95
.LBB210_63:                             ;   in Loop: Header=BB210_36 Depth=1
	ds_load_b32 v9, v1 offset:49256
	s_wait_dscnt 0x0
	v_add_nc_u32_e32 v8, v9, v8
	s_or_b32 exec_lo, exec_lo, s37
	s_and_saveexec_b32 s37, s27
	s_cbranch_execnz .LBB210_96
.LBB210_64:                             ;   in Loop: Header=BB210_36 Depth=1
	s_or_b32 exec_lo, exec_lo, s37
	s_and_saveexec_b32 s37, s28
	s_cbranch_execz .LBB210_97
.LBB210_65:                             ;   in Loop: Header=BB210_36 Depth=1
	ds_load_b32 v9, v1 offset:49264
	s_wait_dscnt 0x0
	v_add_nc_u32_e32 v8, v9, v8
	s_or_b32 exec_lo, exec_lo, s37
	s_and_saveexec_b32 s37, s29
	s_cbranch_execnz .LBB210_98
.LBB210_66:                             ;   in Loop: Header=BB210_36 Depth=1
	s_or_b32 exec_lo, exec_lo, s37
	s_and_saveexec_b32 s37, s30
	s_cbranch_execz .LBB210_99
.LBB210_67:                             ;   in Loop: Header=BB210_36 Depth=1
	ds_load_b32 v9, v1 offset:49272
	s_wait_dscnt 0x0
	v_add_nc_u32_e32 v8, v9, v8
	s_or_b32 exec_lo, exec_lo, s37
	s_and_saveexec_b32 s37, s31
	s_cbranch_execnz .LBB210_100
.LBB210_68:                             ;   in Loop: Header=BB210_36 Depth=1
	s_or_b32 exec_lo, exec_lo, s37
	s_and_saveexec_b32 s31, vcc_lo
	s_cbranch_execz .LBB210_35
	s_branch .LBB210_101
.LBB210_69:                             ;   in Loop: Header=BB210_36 Depth=1
	s_or_b32 exec_lo, exec_lo, s37
	s_and_saveexec_b32 s37, s1
	s_cbranch_execz .LBB210_38
.LBB210_70:                             ;   in Loop: Header=BB210_36 Depth=1
	ds_load_b32 v9, v1 offset:49156
	s_wait_dscnt 0x0
	v_add_nc_u32_e32 v8, v9, v8
	s_or_b32 exec_lo, exec_lo, s37
	s_and_saveexec_b32 s37, s2
	s_cbranch_execnz .LBB210_39
.LBB210_71:                             ;   in Loop: Header=BB210_36 Depth=1
	s_or_b32 exec_lo, exec_lo, s37
	s_and_saveexec_b32 s37, s3
	s_cbranch_execz .LBB210_40
.LBB210_72:                             ;   in Loop: Header=BB210_36 Depth=1
	ds_load_b32 v9, v1 offset:49164
	s_wait_dscnt 0x0
	v_add_nc_u32_e32 v8, v9, v8
	s_or_b32 exec_lo, exec_lo, s37
	s_and_saveexec_b32 s37, s4
	s_cbranch_execnz .LBB210_41
.LBB210_73:                             ;   in Loop: Header=BB210_36 Depth=1
	s_or_b32 exec_lo, exec_lo, s37
	s_and_saveexec_b32 s37, s5
	s_cbranch_execz .LBB210_42
.LBB210_74:                             ;   in Loop: Header=BB210_36 Depth=1
	ds_load_b32 v9, v1 offset:49172
	s_wait_dscnt 0x0
	v_add_nc_u32_e32 v8, v9, v8
	s_or_b32 exec_lo, exec_lo, s37
	s_and_saveexec_b32 s37, s6
	s_cbranch_execnz .LBB210_43
.LBB210_75:                             ;   in Loop: Header=BB210_36 Depth=1
	s_or_b32 exec_lo, exec_lo, s37
	s_and_saveexec_b32 s37, s7
	s_cbranch_execz .LBB210_44
.LBB210_76:                             ;   in Loop: Header=BB210_36 Depth=1
	ds_load_b32 v9, v1 offset:49180
	s_wait_dscnt 0x0
	v_add_nc_u32_e32 v8, v9, v8
	s_or_b32 exec_lo, exec_lo, s37
	s_and_saveexec_b32 s37, s8
	s_cbranch_execnz .LBB210_45
.LBB210_77:                             ;   in Loop: Header=BB210_36 Depth=1
	s_or_b32 exec_lo, exec_lo, s37
	s_and_saveexec_b32 s37, s9
	s_cbranch_execz .LBB210_46
.LBB210_78:                             ;   in Loop: Header=BB210_36 Depth=1
	ds_load_b32 v9, v1 offset:49188
	s_wait_dscnt 0x0
	v_add_nc_u32_e32 v8, v9, v8
	s_or_b32 exec_lo, exec_lo, s37
	s_and_saveexec_b32 s37, s10
	s_cbranch_execnz .LBB210_47
.LBB210_79:                             ;   in Loop: Header=BB210_36 Depth=1
	s_or_b32 exec_lo, exec_lo, s37
	s_and_saveexec_b32 s37, s11
	s_cbranch_execz .LBB210_48
.LBB210_80:                             ;   in Loop: Header=BB210_36 Depth=1
	ds_load_b32 v9, v1 offset:49196
	s_wait_dscnt 0x0
	v_add_nc_u32_e32 v8, v9, v8
	s_or_b32 exec_lo, exec_lo, s37
	s_and_saveexec_b32 s37, s12
	s_cbranch_execnz .LBB210_49
.LBB210_81:                             ;   in Loop: Header=BB210_36 Depth=1
	s_or_b32 exec_lo, exec_lo, s37
	s_and_saveexec_b32 s37, s13
	s_cbranch_execz .LBB210_50
.LBB210_82:                             ;   in Loop: Header=BB210_36 Depth=1
	ds_load_b32 v9, v1 offset:49204
	s_wait_dscnt 0x0
	v_add_nc_u32_e32 v8, v9, v8
	s_or_b32 exec_lo, exec_lo, s37
	s_and_saveexec_b32 s37, s14
	s_cbranch_execnz .LBB210_51
.LBB210_83:                             ;   in Loop: Header=BB210_36 Depth=1
	s_or_b32 exec_lo, exec_lo, s37
	s_and_saveexec_b32 s37, s15
	s_cbranch_execz .LBB210_52
.LBB210_84:                             ;   in Loop: Header=BB210_36 Depth=1
	ds_load_b32 v9, v1 offset:49212
	s_wait_dscnt 0x0
	v_add_nc_u32_e32 v8, v9, v8
	s_or_b32 exec_lo, exec_lo, s37
	s_and_saveexec_b32 s37, s16
	s_cbranch_execnz .LBB210_53
.LBB210_85:                             ;   in Loop: Header=BB210_36 Depth=1
	s_or_b32 exec_lo, exec_lo, s37
	s_and_saveexec_b32 s37, s17
	s_cbranch_execz .LBB210_54
.LBB210_86:                             ;   in Loop: Header=BB210_36 Depth=1
	ds_load_b32 v9, v1 offset:49220
	s_wait_dscnt 0x0
	v_add_nc_u32_e32 v8, v9, v8
	s_or_b32 exec_lo, exec_lo, s37
	s_and_saveexec_b32 s37, s18
	s_cbranch_execnz .LBB210_55
.LBB210_87:                             ;   in Loop: Header=BB210_36 Depth=1
	s_or_b32 exec_lo, exec_lo, s37
	s_and_saveexec_b32 s37, s19
	s_cbranch_execz .LBB210_56
.LBB210_88:                             ;   in Loop: Header=BB210_36 Depth=1
	ds_load_b32 v9, v1 offset:49228
	s_wait_dscnt 0x0
	v_add_nc_u32_e32 v8, v9, v8
	s_or_b32 exec_lo, exec_lo, s37
	s_and_saveexec_b32 s37, s20
	s_cbranch_execnz .LBB210_57
.LBB210_89:                             ;   in Loop: Header=BB210_36 Depth=1
	s_or_b32 exec_lo, exec_lo, s37
	s_and_saveexec_b32 s37, s21
	s_cbranch_execz .LBB210_58
.LBB210_90:                             ;   in Loop: Header=BB210_36 Depth=1
	ds_load_b32 v9, v1 offset:49236
	s_wait_dscnt 0x0
	v_add_nc_u32_e32 v8, v9, v8
	s_or_b32 exec_lo, exec_lo, s37
	s_and_saveexec_b32 s37, s22
	s_cbranch_execnz .LBB210_59
.LBB210_91:                             ;   in Loop: Header=BB210_36 Depth=1
	s_or_b32 exec_lo, exec_lo, s37
	s_and_saveexec_b32 s37, s23
	s_cbranch_execz .LBB210_60
.LBB210_92:                             ;   in Loop: Header=BB210_36 Depth=1
	ds_load_b32 v9, v1 offset:49244
	s_wait_dscnt 0x0
	v_add_nc_u32_e32 v8, v9, v8
	s_or_b32 exec_lo, exec_lo, s37
	s_and_saveexec_b32 s37, s24
	s_cbranch_execnz .LBB210_61
.LBB210_93:                             ;   in Loop: Header=BB210_36 Depth=1
	s_or_b32 exec_lo, exec_lo, s37
	s_and_saveexec_b32 s37, s25
	s_cbranch_execz .LBB210_62
.LBB210_94:                             ;   in Loop: Header=BB210_36 Depth=1
	ds_load_b32 v9, v1 offset:49252
	s_wait_dscnt 0x0
	v_add_nc_u32_e32 v8, v9, v8
	s_or_b32 exec_lo, exec_lo, s37
	s_and_saveexec_b32 s37, s26
	s_cbranch_execnz .LBB210_63
.LBB210_95:                             ;   in Loop: Header=BB210_36 Depth=1
	s_or_b32 exec_lo, exec_lo, s37
	s_and_saveexec_b32 s37, s27
	s_cbranch_execz .LBB210_64
.LBB210_96:                             ;   in Loop: Header=BB210_36 Depth=1
	ds_load_b32 v9, v1 offset:49260
	s_wait_dscnt 0x0
	v_add_nc_u32_e32 v8, v9, v8
	s_or_b32 exec_lo, exec_lo, s37
	s_and_saveexec_b32 s37, s28
	s_cbranch_execnz .LBB210_65
.LBB210_97:                             ;   in Loop: Header=BB210_36 Depth=1
	s_or_b32 exec_lo, exec_lo, s37
	s_and_saveexec_b32 s37, s29
	s_cbranch_execz .LBB210_66
.LBB210_98:                             ;   in Loop: Header=BB210_36 Depth=1
	ds_load_b32 v9, v1 offset:49268
	s_wait_dscnt 0x0
	v_add_nc_u32_e32 v8, v9, v8
	s_or_b32 exec_lo, exec_lo, s37
	s_and_saveexec_b32 s37, s30
	s_cbranch_execnz .LBB210_67
.LBB210_99:                             ;   in Loop: Header=BB210_36 Depth=1
	s_or_b32 exec_lo, exec_lo, s37
	s_and_saveexec_b32 s37, s31
	s_cbranch_execz .LBB210_68
.LBB210_100:                            ;   in Loop: Header=BB210_36 Depth=1
	s_delay_alu instid0(VALU_DEP_1) | instskip(SKIP_1) | instid1(VALU_DEP_2)
	v_add3_u32 v9, v6, -1, v8
	v_add_lshl_u32 v10, v6, v8, 3
	v_lshl_add_u32 v9, v9, 2, 0
	s_delay_alu instid0(VALU_DEP_2)
	v_add3_u32 v10, 0, v10, 0x3ff8
	ds_store_b32 v9, v7
	ds_store_2addr_b32 v10, v4, v5 offset1:1
	s_or_b32 exec_lo, exec_lo, s37
	s_and_saveexec_b32 s31, vcc_lo
	s_cbranch_execz .LBB210_35
.LBB210_101:                            ;   in Loop: Header=BB210_36 Depth=1
	ds_store_b32 v1, v8 offset:49276
	s_branch .LBB210_35
.LBB210_102:                            ;   in Loop: Header=BB210_104 Depth=1
	s_or_b32 exec_lo, exec_lo, s5
.LBB210_103:                            ;   in Loop: Header=BB210_104 Depth=1
	s_delay_alu instid0(SALU_CYCLE_1)
	s_or_b32 exec_lo, exec_lo, s4
	s_wait_loadcnt 0x0
	v_mul_f32_e64 v6, v5, -s23
	v_mul_f32_e32 v5, s22, v5
	v_lshl_add_u32 v1, v1, 3, 0
	v_add_nc_u64_e32 v[2:3], 0x400, v[2:3]
	s_delay_alu instid0(VALU_DEP_3) | instskip(SKIP_4) | instid1(SALU_CYCLE_1)
	v_dual_fmac_f32 v6, s22, v4 :: v_dual_fmac_f32 v5, s23, v4
	ds_add_f32 v1, v6 offset:16384
	ds_add_f32 v1, v5 offset:16388
	v_cmp_le_i64_e32 vcc_lo, s[2:3], v[2:3]
	s_or_b32 s1, vcc_lo, s1
	s_and_not1_b32 exec_lo, exec_lo, s1
	s_cbranch_execz .LBB210_33
.LBB210_104:                            ; =>This Loop Header: Depth=1
                                        ;     Child Loop BB210_107 Depth 2
	v_lshl_add_u64 v[4:5], v[2:3], 2, s[38:39]
	s_mov_b32 s4, exec_lo
	global_load_b32 v1, v[4:5], off
	s_wait_xcnt 0x0
	v_lshl_add_u64 v[4:5], v[2:3], 3, s[40:41]
	global_load_b64 v[4:5], v[4:5], off
	s_wait_loadcnt 0x1
	v_subrev_nc_u32_e32 v6, s47, v1
	s_delay_alu instid0(VALU_DEP_1) | instskip(NEXT) | instid1(VALU_DEP_1)
	v_mul_lo_u32 v1, 0x89, v6
	v_and_b32_e32 v1, 0xfff, v1
	s_delay_alu instid0(VALU_DEP_1)
	v_lshl_add_u32 v7, v1, 2, 0
	ds_load_b32 v8, v7
	s_wait_dscnt 0x0
	s_wait_xcnt 0x0
	v_cmpx_ne_u32_e64 v8, v6
	s_cbranch_execz .LBB210_103
; %bb.105:                              ;   in Loop: Header=BB210_104 Depth=1
	s_mov_b32 s5, 0
	s_branch .LBB210_107
.LBB210_106:                            ;   in Loop: Header=BB210_107 Depth=2
	s_or_b32 exec_lo, exec_lo, s8
	s_delay_alu instid0(SALU_CYCLE_1) | instskip(NEXT) | instid1(SALU_CYCLE_1)
	s_and_b32 s6, exec_lo, s7
	s_or_b32 s5, s6, s5
	s_delay_alu instid0(SALU_CYCLE_1)
	s_and_not1_b32 exec_lo, exec_lo, s5
	s_cbranch_execz .LBB210_102
.LBB210_107:                            ;   Parent Loop BB210_104 Depth=1
                                        ; =>  This Inner Loop Header: Depth=2
	s_mov_b32 s6, 0
	s_mov_b32 s7, exec_lo
	v_cmpx_ne_u32_e64 s33, v8
	s_xor_b32 s7, exec_lo, s7
	s_cbranch_execz .LBB210_109
; %bb.108:                              ;   in Loop: Header=BB210_107 Depth=2
	v_add_nc_u32_e32 v1, 1, v1
	s_mov_b32 s6, exec_lo
                                        ; implicit-def: $vgpr7
	s_delay_alu instid0(VALU_DEP_1)
	v_and_b32_e32 v1, 0xfff, v1
	s_and_not1_saveexec_b32 s7, s7
	s_cbranch_execz .LBB210_111
	s_branch .LBB210_110
.LBB210_109:                            ;   in Loop: Header=BB210_107 Depth=2
	s_and_not1_saveexec_b32 s7, s7
	s_cbranch_execz .LBB210_111
.LBB210_110:                            ;   in Loop: Header=BB210_107 Depth=2
	v_mov_b32_e32 v8, s33
	s_and_not1_b32 s6, s6, exec_lo
	ds_cmpstore_rtn_b32 v7, v7, v6, v8
	s_wait_dscnt 0x0
	v_cmp_ne_u32_e32 vcc_lo, s33, v7
	s_and_b32 s8, vcc_lo, exec_lo
	s_delay_alu instid0(SALU_CYCLE_1)
	s_or_b32 s6, s6, s8
.LBB210_111:                            ;   in Loop: Header=BB210_107 Depth=2
	s_or_b32 exec_lo, exec_lo, s7
	s_mov_b32 s7, -1
                                        ; implicit-def: $vgpr7
                                        ; implicit-def: $vgpr8
	s_and_saveexec_b32 s8, s6
	s_cbranch_execz .LBB210_106
; %bb.112:                              ;   in Loop: Header=BB210_107 Depth=2
	v_lshl_add_u32 v7, v1, 2, 0
	ds_load_b32 v8, v7
	s_wait_dscnt 0x0
	v_cmp_eq_u32_e32 vcc_lo, v8, v6
	s_or_not1_b32 s7, vcc_lo, exec_lo
	s_branch .LBB210_106
.LBB210_113:
	s_or_b32 exec_lo, exec_lo, s36
	s_wait_kmcnt 0x0
	s_ashr_i32 s49, s48, 31
	s_delay_alu instid0(SALU_CYCLE_1) | instskip(NEXT) | instid1(SALU_CYCLE_1)
	s_lshl_b64 s[0:1], s[48:49], 3
	s_add_nc_u64 s[4:5], s[42:43], s[0:1]
	s_load_b128 s[0:3], s[4:5], 0x0
	s_wait_xcnt 0x0
	s_mov_b32 s4, exec_lo
	s_wait_kmcnt 0x0
	s_sub_co_i32 s3, s2, s0
	s_delay_alu instid0(SALU_CYCLE_1)
	v_cmpx_gt_i32_e64 s3, v0
	s_cbranch_execz .LBB210_123
; %bb.114:
	s_sub_co_i32 s4, s0, s2
	s_and_b32 s2, s3, 7
	s_cmp_lt_u32 s4, -7
	s_mov_b32 s47, 0
	s_cselect_b32 s4, -1, 0
	s_and_b32 s5, s3, -8
	s_cmp_lg_u32 s2, 0
	s_sub_nc_u64 s[0:1], s[0:1], s[46:47]
	s_cselect_b32 s6, -1, 0
	s_mov_b32 s7, 0
	s_branch .LBB210_116
.LBB210_115:                            ;   in Loop: Header=BB210_116 Depth=1
	v_add_nc_u32_e32 v0, 0x400, v0
	s_delay_alu instid0(VALU_DEP_2) | instskip(NEXT) | instid1(VALU_DEP_2)
	v_lshl_add_u64 v[4:5], v[4:5], 3, s[34:35]
	v_cmp_le_i32_e32 vcc_lo, s3, v0
	s_wait_dscnt 0x0
	global_store_b64 v[4:5], v[2:3], off
	s_or_b32 s7, vcc_lo, s7
	s_wait_xcnt 0x0
	s_and_not1_b32 exec_lo, exec_lo, s7
	s_cbranch_execz .LBB210_123
.LBB210_116:                            ; =>This Loop Header: Depth=1
                                        ;     Child Loop BB210_118 Depth 2
                                        ;     Child Loop BB210_122 Depth 2
	v_lshlrev_b32_e32 v1, 2, v0
	v_mov_b64_e32 v[4:5], s[0:1]
	s_and_not1_b32 vcc_lo, exec_lo, s4
	s_mov_b32 s8, 0
	s_delay_alu instid0(VALU_DEP_2) | instskip(NEXT) | instid1(VALU_DEP_1)
	v_add_nc_u32_e32 v2, 0, v1
	v_add3_u32 v3, v2, v1, 0x4000
	ds_load_b32 v1, v2
	ds_load_2addr_b32 v[2:3], v3 offset1:1
	s_cbranch_vccnz .LBB210_120
; %bb.117:                              ;   in Loop: Header=BB210_116 Depth=1
	v_mov_b64_e32 v[4:5], s[0:1]
	s_mov_b32 s9, 0
.LBB210_118:                            ;   Parent Loop BB210_116 Depth=1
                                        ; =>  This Inner Loop Header: Depth=2
	s_delay_alu instid0(SALU_CYCLE_1)
	v_dual_mov_b32 v10, s9 :: v_dual_mov_b32 v11, s47
	v_mov_b32_e32 v17, s47
	s_add_co_i32 s8, s8, 8
	s_add_co_i32 s9, s9, 32
	ds_load_2addr_b32 v[6:7], v10 offset1:1
	ds_load_2addr_b32 v[8:9], v10 offset0:2 offset1:3
	ds_load_2addr_b32 v[12:13], v10 offset0:4 offset1:5
	;; [unrolled: 1-line block ×3, first 2 shown]
	s_cmp_eq_u32 s5, s8
	s_wait_dscnt 0x3
	v_cmp_gt_i32_e32 vcc_lo, v1, v6
	v_cndmask_b32_e64 v10, 0, 1, vcc_lo
	v_cmp_gt_i32_e32 vcc_lo, v1, v7
	v_mov_b32_e32 v7, s47
	s_delay_alu instid0(VALU_DEP_3) | instskip(SKIP_4) | instid1(VALU_DEP_3)
	v_add_nc_u64_e32 v[4:5], v[4:5], v[10:11]
	v_cndmask_b32_e64 v16, 0, 1, vcc_lo
	s_wait_dscnt 0x2
	v_cmp_gt_i32_e32 vcc_lo, v1, v8
	v_cndmask_b32_e64 v6, 0, 1, vcc_lo
	v_add_nc_u64_e32 v[4:5], v[4:5], v[16:17]
	v_cmp_gt_i32_e32 vcc_lo, v1, v9
	v_mov_b32_e32 v9, s47
	v_cndmask_b32_e64 v10, 0, 1, vcc_lo
	s_delay_alu instid0(VALU_DEP_4) | instskip(SKIP_3) | instid1(VALU_DEP_3)
	v_add_nc_u64_e32 v[4:5], v[4:5], v[6:7]
	s_wait_dscnt 0x1
	v_cmp_gt_i32_e32 vcc_lo, v1, v12
	v_cndmask_b32_e64 v6, 0, 1, vcc_lo
	v_add_nc_u64_e32 v[4:5], v[4:5], v[10:11]
	v_cmp_gt_i32_e32 vcc_lo, v1, v13
	v_cndmask_b32_e64 v8, 0, 1, vcc_lo
	s_delay_alu instid0(VALU_DEP_3) | instskip(SKIP_3) | instid1(VALU_DEP_3)
	v_add_nc_u64_e32 v[4:5], v[4:5], v[6:7]
	s_wait_dscnt 0x0
	v_cmp_gt_i32_e32 vcc_lo, v1, v14
	v_cndmask_b32_e64 v6, 0, 1, vcc_lo
	v_add_nc_u64_e32 v[4:5], v[4:5], v[8:9]
	v_cmp_gt_i32_e32 vcc_lo, v1, v15
	v_cndmask_b32_e64 v8, 0, 1, vcc_lo
	s_delay_alu instid0(VALU_DEP_3) | instskip(NEXT) | instid1(VALU_DEP_1)
	v_add_nc_u64_e32 v[4:5], v[4:5], v[6:7]
	v_add_nc_u64_e32 v[4:5], v[4:5], v[8:9]
	s_cbranch_scc0 .LBB210_118
; %bb.119:                              ;   in Loop: Header=BB210_116 Depth=1
	s_mov_b32 s8, s5
.LBB210_120:                            ;   in Loop: Header=BB210_116 Depth=1
	s_and_not1_b32 vcc_lo, exec_lo, s6
	s_cbranch_vccnz .LBB210_115
; %bb.121:                              ;   in Loop: Header=BB210_116 Depth=1
	s_lshl_b32 s8, s8, 2
	s_mov_b32 s9, s2
	s_add_co_i32 s8, s8, 0
.LBB210_122:                            ;   Parent Loop BB210_116 Depth=1
                                        ; =>  This Inner Loop Header: Depth=2
	s_delay_alu instid0(SALU_CYCLE_1)
	v_dual_mov_b32 v6, s8 :: v_dual_mov_b32 v7, s47
	s_add_co_i32 s9, s9, -1
	s_add_co_i32 s8, s8, 4
	s_cmp_lg_u32 s9, 0
	ds_load_b32 v6, v6
	s_wait_dscnt 0x0
	v_cmp_gt_i32_e32 vcc_lo, v1, v6
	v_cndmask_b32_e64 v6, 0, 1, vcc_lo
	s_delay_alu instid0(VALU_DEP_1)
	v_add_nc_u64_e32 v[4:5], v[4:5], v[6:7]
	s_cbranch_scc1 .LBB210_122
	s_branch .LBB210_115
.LBB210_123:
	s_endpgm
	.section	.rodata,"a",@progbits
	.p2align	6, 0x0
	.amdhsa_kernel _ZN9rocsparseL41csrgemm_numeric_fill_block_per_row_kernelILj1024ELj64ELj4096ELj137ELj32Eli21rocsparse_complex_numIfEEEvT5_PKS3_S5_NS_24const_host_device_scalarIT6_EEPKT4_S5_PKS7_SB_S5_SD_S8_SB_S5_SD_SB_S5_PS7_21rocsparse_index_base_SF_SF_SF_bbb
		.amdhsa_group_segment_fixed_size 0
		.amdhsa_private_segment_fixed_size 0
		.amdhsa_kernarg_size 156
		.amdhsa_user_sgpr_count 2
		.amdhsa_user_sgpr_dispatch_ptr 0
		.amdhsa_user_sgpr_queue_ptr 0
		.amdhsa_user_sgpr_kernarg_segment_ptr 1
		.amdhsa_user_sgpr_dispatch_id 0
		.amdhsa_user_sgpr_kernarg_preload_length 0
		.amdhsa_user_sgpr_kernarg_preload_offset 0
		.amdhsa_user_sgpr_private_segment_size 0
		.amdhsa_wavefront_size32 1
		.amdhsa_uses_dynamic_stack 0
		.amdhsa_enable_private_segment 0
		.amdhsa_system_sgpr_workgroup_id_x 1
		.amdhsa_system_sgpr_workgroup_id_y 0
		.amdhsa_system_sgpr_workgroup_id_z 0
		.amdhsa_system_sgpr_workgroup_info 0
		.amdhsa_system_vgpr_workitem_id 0
		.amdhsa_next_free_vgpr 20
		.amdhsa_next_free_sgpr 50
		.amdhsa_named_barrier_count 0
		.amdhsa_reserve_vcc 1
		.amdhsa_float_round_mode_32 0
		.amdhsa_float_round_mode_16_64 0
		.amdhsa_float_denorm_mode_32 3
		.amdhsa_float_denorm_mode_16_64 3
		.amdhsa_fp16_overflow 0
		.amdhsa_memory_ordered 1
		.amdhsa_forward_progress 1
		.amdhsa_inst_pref_size 33
		.amdhsa_round_robin_scheduling 0
		.amdhsa_exception_fp_ieee_invalid_op 0
		.amdhsa_exception_fp_denorm_src 0
		.amdhsa_exception_fp_ieee_div_zero 0
		.amdhsa_exception_fp_ieee_overflow 0
		.amdhsa_exception_fp_ieee_underflow 0
		.amdhsa_exception_fp_ieee_inexact 0
		.amdhsa_exception_int_div_zero 0
	.end_amdhsa_kernel
	.section	.text._ZN9rocsparseL41csrgemm_numeric_fill_block_per_row_kernelILj1024ELj64ELj4096ELj137ELj32Eli21rocsparse_complex_numIfEEEvT5_PKS3_S5_NS_24const_host_device_scalarIT6_EEPKT4_S5_PKS7_SB_S5_SD_S8_SB_S5_SD_SB_S5_PS7_21rocsparse_index_base_SF_SF_SF_bbb,"axG",@progbits,_ZN9rocsparseL41csrgemm_numeric_fill_block_per_row_kernelILj1024ELj64ELj4096ELj137ELj32Eli21rocsparse_complex_numIfEEEvT5_PKS3_S5_NS_24const_host_device_scalarIT6_EEPKT4_S5_PKS7_SB_S5_SD_S8_SB_S5_SD_SB_S5_PS7_21rocsparse_index_base_SF_SF_SF_bbb,comdat
.Lfunc_end210:
	.size	_ZN9rocsparseL41csrgemm_numeric_fill_block_per_row_kernelILj1024ELj64ELj4096ELj137ELj32Eli21rocsparse_complex_numIfEEEvT5_PKS3_S5_NS_24const_host_device_scalarIT6_EEPKT4_S5_PKS7_SB_S5_SD_S8_SB_S5_SD_SB_S5_PS7_21rocsparse_index_base_SF_SF_SF_bbb, .Lfunc_end210-_ZN9rocsparseL41csrgemm_numeric_fill_block_per_row_kernelILj1024ELj64ELj4096ELj137ELj32Eli21rocsparse_complex_numIfEEEvT5_PKS3_S5_NS_24const_host_device_scalarIT6_EEPKT4_S5_PKS7_SB_S5_SD_S8_SB_S5_SD_SB_S5_PS7_21rocsparse_index_base_SF_SF_SF_bbb
                                        ; -- End function
	.set _ZN9rocsparseL41csrgemm_numeric_fill_block_per_row_kernelILj1024ELj64ELj4096ELj137ELj32Eli21rocsparse_complex_numIfEEEvT5_PKS3_S5_NS_24const_host_device_scalarIT6_EEPKT4_S5_PKS7_SB_S5_SD_S8_SB_S5_SD_SB_S5_PS7_21rocsparse_index_base_SF_SF_SF_bbb.num_vgpr, 20
	.set _ZN9rocsparseL41csrgemm_numeric_fill_block_per_row_kernelILj1024ELj64ELj4096ELj137ELj32Eli21rocsparse_complex_numIfEEEvT5_PKS3_S5_NS_24const_host_device_scalarIT6_EEPKT4_S5_PKS7_SB_S5_SD_S8_SB_S5_SD_SB_S5_PS7_21rocsparse_index_base_SF_SF_SF_bbb.num_agpr, 0
	.set _ZN9rocsparseL41csrgemm_numeric_fill_block_per_row_kernelILj1024ELj64ELj4096ELj137ELj32Eli21rocsparse_complex_numIfEEEvT5_PKS3_S5_NS_24const_host_device_scalarIT6_EEPKT4_S5_PKS7_SB_S5_SD_S8_SB_S5_SD_SB_S5_PS7_21rocsparse_index_base_SF_SF_SF_bbb.numbered_sgpr, 50
	.set _ZN9rocsparseL41csrgemm_numeric_fill_block_per_row_kernelILj1024ELj64ELj4096ELj137ELj32Eli21rocsparse_complex_numIfEEEvT5_PKS3_S5_NS_24const_host_device_scalarIT6_EEPKT4_S5_PKS7_SB_S5_SD_S8_SB_S5_SD_SB_S5_PS7_21rocsparse_index_base_SF_SF_SF_bbb.num_named_barrier, 0
	.set _ZN9rocsparseL41csrgemm_numeric_fill_block_per_row_kernelILj1024ELj64ELj4096ELj137ELj32Eli21rocsparse_complex_numIfEEEvT5_PKS3_S5_NS_24const_host_device_scalarIT6_EEPKT4_S5_PKS7_SB_S5_SD_S8_SB_S5_SD_SB_S5_PS7_21rocsparse_index_base_SF_SF_SF_bbb.private_seg_size, 0
	.set _ZN9rocsparseL41csrgemm_numeric_fill_block_per_row_kernelILj1024ELj64ELj4096ELj137ELj32Eli21rocsparse_complex_numIfEEEvT5_PKS3_S5_NS_24const_host_device_scalarIT6_EEPKT4_S5_PKS7_SB_S5_SD_S8_SB_S5_SD_SB_S5_PS7_21rocsparse_index_base_SF_SF_SF_bbb.uses_vcc, 1
	.set _ZN9rocsparseL41csrgemm_numeric_fill_block_per_row_kernelILj1024ELj64ELj4096ELj137ELj32Eli21rocsparse_complex_numIfEEEvT5_PKS3_S5_NS_24const_host_device_scalarIT6_EEPKT4_S5_PKS7_SB_S5_SD_S8_SB_S5_SD_SB_S5_PS7_21rocsparse_index_base_SF_SF_SF_bbb.uses_flat_scratch, 0
	.set _ZN9rocsparseL41csrgemm_numeric_fill_block_per_row_kernelILj1024ELj64ELj4096ELj137ELj32Eli21rocsparse_complex_numIfEEEvT5_PKS3_S5_NS_24const_host_device_scalarIT6_EEPKT4_S5_PKS7_SB_S5_SD_S8_SB_S5_SD_SB_S5_PS7_21rocsparse_index_base_SF_SF_SF_bbb.has_dyn_sized_stack, 0
	.set _ZN9rocsparseL41csrgemm_numeric_fill_block_per_row_kernelILj1024ELj64ELj4096ELj137ELj32Eli21rocsparse_complex_numIfEEEvT5_PKS3_S5_NS_24const_host_device_scalarIT6_EEPKT4_S5_PKS7_SB_S5_SD_S8_SB_S5_SD_SB_S5_PS7_21rocsparse_index_base_SF_SF_SF_bbb.has_recursion, 0
	.set _ZN9rocsparseL41csrgemm_numeric_fill_block_per_row_kernelILj1024ELj64ELj4096ELj137ELj32Eli21rocsparse_complex_numIfEEEvT5_PKS3_S5_NS_24const_host_device_scalarIT6_EEPKT4_S5_PKS7_SB_S5_SD_S8_SB_S5_SD_SB_S5_PS7_21rocsparse_index_base_SF_SF_SF_bbb.has_indirect_call, 0
	.section	.AMDGPU.csdata,"",@progbits
; Kernel info:
; codeLenInByte = 4208
; TotalNumSgprs: 52
; NumVgprs: 20
; ScratchSize: 0
; MemoryBound: 0
; FloatMode: 240
; IeeeMode: 1
; LDSByteSize: 0 bytes/workgroup (compile time only)
; SGPRBlocks: 0
; VGPRBlocks: 1
; NumSGPRsForWavesPerEU: 52
; NumVGPRsForWavesPerEU: 20
; NamedBarCnt: 0
; Occupancy: 16
; WaveLimiterHint : 1
; COMPUTE_PGM_RSRC2:SCRATCH_EN: 0
; COMPUTE_PGM_RSRC2:USER_SGPR: 2
; COMPUTE_PGM_RSRC2:TRAP_HANDLER: 0
; COMPUTE_PGM_RSRC2:TGID_X_EN: 1
; COMPUTE_PGM_RSRC2:TGID_Y_EN: 0
; COMPUTE_PGM_RSRC2:TGID_Z_EN: 0
; COMPUTE_PGM_RSRC2:TIDIG_COMP_CNT: 0
	.section	.text._ZN9rocsparseL41csrgemm_numeric_fill_block_per_row_kernelILj1024ELj64ELj4096ELj137ELj64Eli21rocsparse_complex_numIfEEEvT5_PKS3_S5_NS_24const_host_device_scalarIT6_EEPKT4_S5_PKS7_SB_S5_SD_S8_SB_S5_SD_SB_S5_PS7_21rocsparse_index_base_SF_SF_SF_bbb,"axG",@progbits,_ZN9rocsparseL41csrgemm_numeric_fill_block_per_row_kernelILj1024ELj64ELj4096ELj137ELj64Eli21rocsparse_complex_numIfEEEvT5_PKS3_S5_NS_24const_host_device_scalarIT6_EEPKT4_S5_PKS7_SB_S5_SD_S8_SB_S5_SD_SB_S5_PS7_21rocsparse_index_base_SF_SF_SF_bbb,comdat
	.globl	_ZN9rocsparseL41csrgemm_numeric_fill_block_per_row_kernelILj1024ELj64ELj4096ELj137ELj64Eli21rocsparse_complex_numIfEEEvT5_PKS3_S5_NS_24const_host_device_scalarIT6_EEPKT4_S5_PKS7_SB_S5_SD_S8_SB_S5_SD_SB_S5_PS7_21rocsparse_index_base_SF_SF_SF_bbb ; -- Begin function _ZN9rocsparseL41csrgemm_numeric_fill_block_per_row_kernelILj1024ELj64ELj4096ELj137ELj64Eli21rocsparse_complex_numIfEEEvT5_PKS3_S5_NS_24const_host_device_scalarIT6_EEPKT4_S5_PKS7_SB_S5_SD_S8_SB_S5_SD_SB_S5_PS7_21rocsparse_index_base_SF_SF_SF_bbb
	.p2align	8
	.type	_ZN9rocsparseL41csrgemm_numeric_fill_block_per_row_kernelILj1024ELj64ELj4096ELj137ELj64Eli21rocsparse_complex_numIfEEEvT5_PKS3_S5_NS_24const_host_device_scalarIT6_EEPKT4_S5_PKS7_SB_S5_SD_S8_SB_S5_SD_SB_S5_PS7_21rocsparse_index_base_SF_SF_SF_bbb,@function
_ZN9rocsparseL41csrgemm_numeric_fill_block_per_row_kernelILj1024ELj64ELj4096ELj137ELj64Eli21rocsparse_complex_numIfEEEvT5_PKS3_S5_NS_24const_host_device_scalarIT6_EEPKT4_S5_PKS7_SB_S5_SD_S8_SB_S5_SD_SB_S5_PS7_21rocsparse_index_base_SF_SF_SF_bbb: ; @_ZN9rocsparseL41csrgemm_numeric_fill_block_per_row_kernelILj1024ELj64ELj4096ELj137ELj64Eli21rocsparse_complex_numIfEEEvT5_PKS3_S5_NS_24const_host_device_scalarIT6_EEPKT4_S5_PKS7_SB_S5_SD_S8_SB_S5_SD_SB_S5_PS7_21rocsparse_index_base_SF_SF_SF_bbb
; %bb.0:
	s_clause 0x3
	s_load_b32 s33, s[0:1], 0x98
	s_load_b128 s[20:23], s[0:1], 0x88
	s_load_b128 s[28:31], s[0:1], 0x8
	s_load_b64 s[36:37], s[0:1], 0x50
	s_mov_b32 s3, 0
	s_mov_b32 s40, 0
	s_wait_kmcnt 0x0
	s_bitcmp1_b32 s33, 0
	s_cselect_b32 s41, -1, 0
	s_bitcmp1_b32 s33, 16
	s_cselect_b32 s2, -1, 0
	s_delay_alu instid0(SALU_CYCLE_1) | instskip(SKIP_2) | instid1(VALU_DEP_1)
	s_xor_b32 s4, s2, -1
	s_bitcmp0_b32 s33, 0
	v_cndmask_b32_e64 v1, 0, 1, s4
	v_cmp_ne_u32_e32 vcc_lo, 1, v1
	s_cbranch_scc1 .LBB211_5
; %bb.1:
	s_load_b64 s[2:3], s[0:1], 0x18
	s_and_b32 vcc_lo, exec_lo, vcc_lo
	s_wait_kmcnt 0x0
	s_mov_b32 s40, s2
	s_cbranch_vccnz .LBB211_3
; %bb.2:
	s_load_b32 s40, s[2:3], 0x0
.LBB211_3:
	s_and_not1_b32 vcc_lo, exec_lo, s4
	s_cbranch_vccnz .LBB211_5
; %bb.4:
	s_wait_xcnt 0x0
	s_load_b32 s3, s[2:3], 0x4
.LBB211_5:
	s_clause 0x3
	s_load_b64 s[34:35], s[0:1], 0x80
	s_load_b256 s[12:19], s[0:1], 0x58
	s_load_b128 s[24:27], s[0:1], 0x40
	s_load_b256 s[4:11], s[0:1], 0x20
	s_bitcmp1_b32 s33, 8
	s_mov_b32 s38, 0
	s_wait_xcnt 0x0
	s_cselect_b32 s2, -1, 0
	s_bfe_u32 s33, s33, 0x10008
	s_mov_b32 s39, 0
	s_cmp_eq_u32 s33, 0
	s_cbranch_scc1 .LBB211_11
; %bb.6:
	v_cmp_ne_u32_e32 vcc_lo, 1, v1
	s_mov_b32 s38, s36
	s_cbranch_vccnz .LBB211_8
; %bb.7:
	s_load_b32 s38, s[36:37], 0x0
.LBB211_8:
	v_cmp_ne_u32_e32 vcc_lo, 1, v1
	s_cbranch_vccnz .LBB211_10
; %bb.9:
	s_wait_xcnt 0x0
	s_load_b32 s37, s[36:37], 0x4
.LBB211_10:
	s_wait_kmcnt 0x0
	s_mov_b32 s39, s37
.LBB211_11:
	s_load_b32 s33, s[0:1], 0x0
	v_lshl_add_u32 v14, v0, 2, 0
	v_lshlrev_b32_e32 v1, 3, v0
	v_or_b32_e32 v15, 0xfffffc00, v0
	s_wait_xcnt 0x0
	s_mov_b32 s0, 0
	v_mov_b32_e32 v2, v14
	v_add3_u32 v16, v1, 0, 0x4000
	v_dual_mov_b32 v1, 0 :: v_dual_mov_b32 v3, v15
	s_wait_kmcnt 0x0
	s_delay_alu instid0(VALU_DEP_2)
	v_dual_mov_b32 v5, v16 :: v_dual_mov_b32 v4, s33
.LBB211_12:                             ; =>This Inner Loop Header: Depth=1
	s_delay_alu instid0(VALU_DEP_2)
	v_add_nc_u32_e32 v3, 0x400, v3
	ds_store_b32 v2, v4
	ds_store_2addr_b32 v5, v1, v1 offset1:1
	v_add_nc_u32_e32 v5, 0x2000, v5
	v_add_nc_u32_e32 v2, 0x1000, v2
	v_cmp_lt_u32_e32 vcc_lo, 0xbff, v3
	s_or_b32 s0, vcc_lo, s0
	s_delay_alu instid0(SALU_CYCLE_1)
	s_and_not1_b32 exec_lo, exec_lo, s0
	s_cbranch_execnz .LBB211_12
; %bb.13:
	s_or_b32 exec_lo, exec_lo, s0
	s_wait_dscnt 0x0
	s_barrier_signal -1
	s_barrier_wait -1
	s_load_b32 s0, s[28:29], 0x0
	s_bfe_u32 s1, ttmp6, 0x4000c
	s_wait_xcnt 0x0
	s_and_b32 s28, ttmp6, 15
	s_add_co_i32 s1, s1, 1
	s_getreg_b32 s29, hwreg(HW_REG_IB_STS2, 6, 4)
	s_mul_i32 s1, ttmp9, s1
	v_lshrrev_b32_e32 v2, 6, v0
	s_add_co_i32 s28, s28, s1
	s_cmp_eq_u32 s29, 0
	s_cselect_b32 s1, ttmp9, s28
	s_and_b32 vcc_lo, exec_lo, s41
	s_wait_kmcnt 0x0
	s_add_co_i32 s0, s0, s1
	s_mov_b32 s1, 0
	s_load_b32 s28, s[30:31], s0 offset:0x0 scale_offset
	s_cbranch_vccz .LBB211_31
; %bb.14:
	s_wait_kmcnt 0x0
	s_ashr_i32 s29, s28, 31
	v_mov_b32_e32 v3, 0
	s_lshl_b64 s[30:31], s[28:29], 3
	s_mov_b32 s0, s20
	s_add_nc_u64 s[4:5], s[4:5], s[30:31]
	s_mov_b32 s29, exec_lo
	s_load_b128 s[44:47], s[4:5], 0x0
	v_sub_nc_u64_e64 v[4:5], v[2:3], s[0:1]
	s_wait_kmcnt 0x0
	s_delay_alu instid0(VALU_DEP_1)
	v_add_nc_u64_e32 v[4:5], s[44:45], v[4:5]
	s_sub_nc_u64 s[0:1], s[46:47], s[0:1]
	s_delay_alu instid0(VALU_DEP_1) | instid1(SALU_CYCLE_1)
	v_cmpx_gt_i64_e64 s[0:1], v[4:5]
	s_cbranch_execz .LBB211_30
; %bb.15:
	v_dual_mov_b32 v7, v3 :: v_dual_bitop2_b32 v6, 63, v0 bitop3:0x40
	s_mov_b32 s5, 0
	s_mov_b32 s4, s21
	;; [unrolled: 1-line block ×3, first 2 shown]
	s_delay_alu instid0(VALU_DEP_1)
	v_sub_nc_u64_e64 v[6:7], v[6:7], s[4:5]
	s_branch .LBB211_17
.LBB211_16:                             ;   in Loop: Header=BB211_17 Depth=1
	s_or_b32 exec_lo, exec_lo, s31
	v_add_nc_u64_e32 v[4:5], 16, v[4:5]
	s_delay_alu instid0(VALU_DEP_1) | instskip(SKIP_1) | instid1(SALU_CYCLE_1)
	v_cmp_le_i64_e32 vcc_lo, s[0:1], v[4:5]
	s_or_b32 s30, vcc_lo, s30
	s_and_not1_b32 exec_lo, exec_lo, s30
	s_cbranch_execz .LBB211_30
.LBB211_17:                             ; =>This Loop Header: Depth=1
                                        ;     Child Loop BB211_21 Depth 2
                                        ;       Child Loop BB211_24 Depth 3
	v_lshl_add_u64 v[8:9], v[4:5], 2, s[6:7]
	s_mov_b32 s31, exec_lo
	global_load_b32 v1, v[8:9], off
	s_wait_loadcnt 0x0
	s_wait_xcnt 0x0
	v_subrev_nc_u32_e32 v8, s20, v1
	s_delay_alu instid0(VALU_DEP_1) | instskip(NEXT) | instid1(VALU_DEP_1)
	v_ashrrev_i32_e32 v9, 31, v8
	v_lshl_add_u64 v[8:9], v[8:9], 3, s[10:11]
	global_load_b128 v[10:13], v[8:9], off
	s_wait_loadcnt 0x0
	s_wait_xcnt 0x0
	v_sub_nc_u64_e64 v[8:9], v[12:13], s[4:5]
	v_add_nc_u64_e32 v[10:11], v[10:11], v[6:7]
	s_delay_alu instid0(VALU_DEP_1)
	v_cmpx_lt_i64_e64 v[10:11], v[8:9]
	s_cbranch_execz .LBB211_16
; %bb.18:                               ;   in Loop: Header=BB211_17 Depth=1
	v_lshl_add_u64 v[12:13], v[4:5], 3, s[8:9]
	s_mov_b32 s36, 0
	global_load_b64 v[12:13], v[12:13], off
	s_wait_loadcnt 0x0
	v_mul_f32_e64 v1, v13, -s3
	s_delay_alu instid0(VALU_DEP_1) | instskip(NEXT) | instid1(VALU_DEP_1)
	v_dual_mul_f32 v3, s40, v13 :: v_dual_fmac_f32 v1, s40, v12
	v_fmac_f32_e32 v3, s3, v12
	s_branch .LBB211_21
.LBB211_19:                             ;   in Loop: Header=BB211_21 Depth=2
	s_or_b32 exec_lo, exec_lo, s41
.LBB211_20:                             ;   in Loop: Header=BB211_21 Depth=2
	s_delay_alu instid0(SALU_CYCLE_1)
	s_or_b32 exec_lo, exec_lo, s37
	s_wait_loadcnt 0x0
	v_mul_f32_e64 v18, v13, -v3
	v_mul_f32_e32 v13, v1, v13
	v_lshl_add_u32 v17, v17, 3, 0
	v_add_nc_u64_e32 v[10:11], 64, v[10:11]
	s_delay_alu instid0(VALU_DEP_3) | instskip(SKIP_4) | instid1(SALU_CYCLE_1)
	v_dual_fmac_f32 v13, v3, v12 :: v_dual_fmac_f32 v18, v1, v12
	ds_add_f32 v17, v18 offset:16384
	ds_add_f32 v17, v13 offset:16388
	v_cmp_ge_i64_e32 vcc_lo, v[10:11], v[8:9]
	s_or_b32 s36, vcc_lo, s36
	s_and_not1_b32 exec_lo, exec_lo, s36
	s_cbranch_execz .LBB211_16
.LBB211_21:                             ;   Parent Loop BB211_17 Depth=1
                                        ; =>  This Loop Header: Depth=2
                                        ;       Child Loop BB211_24 Depth 3
	s_wait_xcnt 0x0
	v_lshl_add_u64 v[12:13], v[10:11], 2, s[24:25]
	s_mov_b32 s37, exec_lo
	global_load_b32 v17, v[12:13], off
	s_wait_xcnt 0x0
	v_lshl_add_u64 v[12:13], v[10:11], 3, s[26:27]
	global_load_b64 v[12:13], v[12:13], off
	s_wait_loadcnt 0x1
	v_subrev_nc_u32_e32 v18, s21, v17
	s_delay_alu instid0(VALU_DEP_1) | instskip(NEXT) | instid1(VALU_DEP_1)
	v_mul_lo_u32 v17, 0x89, v18
	v_and_b32_e32 v17, 0xfff, v17
	s_delay_alu instid0(VALU_DEP_1)
	v_lshl_add_u32 v19, v17, 2, 0
	ds_load_b32 v20, v19
	s_wait_dscnt 0x0
	s_wait_xcnt 0x0
	v_cmpx_ne_u32_e64 v20, v18
	s_cbranch_execz .LBB211_20
; %bb.22:                               ;   in Loop: Header=BB211_21 Depth=2
	s_mov_b32 s41, 0
	s_branch .LBB211_24
.LBB211_23:                             ;   in Loop: Header=BB211_24 Depth=3
	s_or_b32 exec_lo, exec_lo, s44
	s_delay_alu instid0(SALU_CYCLE_1) | instskip(NEXT) | instid1(SALU_CYCLE_1)
	s_and_b32 s42, exec_lo, s43
	s_or_b32 s41, s42, s41
	s_delay_alu instid0(SALU_CYCLE_1)
	s_and_not1_b32 exec_lo, exec_lo, s41
	s_cbranch_execz .LBB211_19
.LBB211_24:                             ;   Parent Loop BB211_17 Depth=1
                                        ;     Parent Loop BB211_21 Depth=2
                                        ; =>    This Inner Loop Header: Depth=3
	s_mov_b32 s42, 0
	s_mov_b32 s43, exec_lo
	v_cmpx_ne_u32_e64 s33, v20
	s_xor_b32 s43, exec_lo, s43
	s_cbranch_execz .LBB211_26
; %bb.25:                               ;   in Loop: Header=BB211_24 Depth=3
	v_add_nc_u32_e32 v17, 1, v17
	s_mov_b32 s42, exec_lo
                                        ; implicit-def: $vgpr19
	s_delay_alu instid0(VALU_DEP_1)
	v_and_b32_e32 v17, 0xfff, v17
	s_and_not1_saveexec_b32 s43, s43
	s_cbranch_execz .LBB211_28
	s_branch .LBB211_27
.LBB211_26:                             ;   in Loop: Header=BB211_24 Depth=3
	s_and_not1_saveexec_b32 s43, s43
	s_cbranch_execz .LBB211_28
.LBB211_27:                             ;   in Loop: Header=BB211_24 Depth=3
	v_mov_b32_e32 v20, s33
	s_and_not1_b32 s42, s42, exec_lo
	ds_cmpstore_rtn_b32 v19, v19, v18, v20
	s_wait_dscnt 0x0
	v_cmp_ne_u32_e32 vcc_lo, s33, v19
	s_and_b32 s44, vcc_lo, exec_lo
	s_delay_alu instid0(SALU_CYCLE_1)
	s_or_b32 s42, s42, s44
.LBB211_28:                             ;   in Loop: Header=BB211_24 Depth=3
	s_or_b32 exec_lo, exec_lo, s43
	s_mov_b32 s43, -1
                                        ; implicit-def: $vgpr19
                                        ; implicit-def: $vgpr20
	s_and_saveexec_b32 s44, s42
	s_cbranch_execz .LBB211_23
; %bb.29:                               ;   in Loop: Header=BB211_24 Depth=3
	v_lshl_add_u32 v19, v17, 2, 0
	ds_load_b32 v20, v19
	s_wait_dscnt 0x0
	v_cmp_eq_u32_e32 vcc_lo, v20, v18
	s_or_not1_b32 s43, vcc_lo, exec_lo
	s_branch .LBB211_23
.LBB211_30:
	s_or_b32 exec_lo, exec_lo, s29
.LBB211_31:
	s_delay_alu instid0(SALU_CYCLE_1)
	s_and_not1_b32 vcc_lo, exec_lo, s2
	s_cbranch_vccnz .LBB211_34
; %bb.32:
	s_wait_kmcnt 0x0
	s_ashr_i32 s29, s28, 31
	v_mov_b32_e32 v1, 0
	s_lshl_b64 s[0:1], s[28:29], 3
	s_delay_alu instid0(SALU_CYCLE_1) | instskip(SKIP_4) | instid1(SALU_CYCLE_1)
	s_add_nc_u64 s[0:1], s[12:13], s[0:1]
	s_load_b128 s[4:7], s[0:1], 0x0
	s_wait_xcnt 0x0
	s_mov_b32 s1, 0
	s_mov_b32 s0, s23
	v_sub_nc_u64_e64 v[4:5], v[0:1], s[0:1]
	s_wait_kmcnt 0x0
	s_delay_alu instid0(VALU_DEP_1) | instskip(SKIP_2) | instid1(VALU_DEP_1)
	v_add_nc_u64_e32 v[4:5], s[4:5], v[4:5]
	s_sub_nc_u64 s[2:3], s[6:7], s[0:1]
	s_mov_b32 s0, exec_lo
	v_cmpx_gt_i64_e64 s[2:3], v[4:5]
	s_cbranch_execnz .LBB211_72
.LBB211_33:
	s_or_b32 exec_lo, exec_lo, s0
.LBB211_34:
	v_mbcnt_lo_u32_b32 v4, -1, 0
	v_mov_b32_e32 v1, 0
	v_lshl_add_u32 v3, v2, 2, 0
	s_wait_xcnt 0x0
	v_cmp_lt_u32_e64 s0, 63, v0
	v_cmp_lt_u32_e64 s1, 0x7f, v0
	v_xor_b32_e32 v2, 31, v4
	v_cmp_lt_u32_e64 s2, 0xbf, v0
	v_cmp_lt_u32_e64 s3, 0xff, v0
	;; [unrolled: 1-line block ×4, first 2 shown]
	v_lshrrev_b32_e64 v2, v2, -1
	v_cmp_lt_u32_e64 s6, 0x1bf, v0
	v_cmp_lt_u32_e64 s7, 0x1ff, v0
	;; [unrolled: 1-line block ×9, first 2 shown]
	v_mov_b32_e32 v6, 0
	s_mov_b32 s16, 0
	s_wait_dscnt 0x0
	v_cmp_eq_u32_e32 vcc_lo, 0x3ff, v0
	s_barrier_signal -1
	s_barrier_wait -1
	s_branch .LBB211_36
.LBB211_35:                             ;   in Loop: Header=BB211_36 Depth=1
	s_or_b32 exec_lo, exec_lo, s15
	s_wait_dscnt 0x0
	s_barrier_signal -1
	s_barrier_wait -1
	ds_load_b32 v4, v1 offset:49212
	v_add_nc_u32_e32 v15, 0x400, v15
	v_add_nc_u32_e32 v16, 0x2000, v16
	;; [unrolled: 1-line block ×3, first 2 shown]
	s_delay_alu instid0(VALU_DEP_3)
	v_cmp_lt_u32_e64 s15, 0xbff, v15
	s_or_b32 s16, s15, s16
	s_wait_dscnt 0x0
	v_add_nc_u32_e32 v6, v4, v6
	s_and_not1_b32 exec_lo, exec_lo, s16
	s_cbranch_execz .LBB211_81
.LBB211_36:                             ; =>This Inner Loop Header: Depth=1
	ds_load_b32 v7, v14
	ds_load_2addr_b32 v[4:5], v16 offset1:1
	s_wait_dscnt 0x0
	s_barrier_signal -1
	s_barrier_wait -1
	v_cmp_gt_i32_e64 s15, s33, v7
	s_bcnt1_i32_b32 s17, s15
	s_delay_alu instid0(SALU_CYCLE_1) | instskip(NEXT) | instid1(VALU_DEP_1)
	v_dual_mov_b32 v9, s17 :: v_dual_bitop2_b32 v8, s15, v2 bitop3:0x40
	v_bcnt_u32_b32 v8, v8, 0
	ds_store_b32 v3, v9 offset:49152
	s_wait_dscnt 0x0
	s_barrier_signal -1
	s_barrier_wait -1
	s_and_saveexec_b32 s17, s0
	s_cbranch_execz .LBB211_53
; %bb.37:                               ;   in Loop: Header=BB211_36 Depth=1
	ds_load_b32 v9, v1 offset:49152
	s_wait_dscnt 0x0
	v_add_nc_u32_e32 v8, v9, v8
	s_or_b32 exec_lo, exec_lo, s17
	s_and_saveexec_b32 s17, s1
	s_cbranch_execnz .LBB211_54
.LBB211_38:                             ;   in Loop: Header=BB211_36 Depth=1
	s_or_b32 exec_lo, exec_lo, s17
	s_and_saveexec_b32 s17, s2
	s_cbranch_execz .LBB211_55
.LBB211_39:                             ;   in Loop: Header=BB211_36 Depth=1
	ds_load_b32 v9, v1 offset:49160
	s_wait_dscnt 0x0
	v_add_nc_u32_e32 v8, v9, v8
	s_or_b32 exec_lo, exec_lo, s17
	s_and_saveexec_b32 s17, s3
	s_cbranch_execnz .LBB211_56
.LBB211_40:                             ;   in Loop: Header=BB211_36 Depth=1
	s_or_b32 exec_lo, exec_lo, s17
	s_and_saveexec_b32 s17, s4
	s_cbranch_execz .LBB211_57
.LBB211_41:                             ;   in Loop: Header=BB211_36 Depth=1
	ds_load_b32 v9, v1 offset:49168
	s_wait_dscnt 0x0
	v_add_nc_u32_e32 v8, v9, v8
	s_or_b32 exec_lo, exec_lo, s17
	s_and_saveexec_b32 s17, s5
	s_cbranch_execnz .LBB211_58
.LBB211_42:                             ;   in Loop: Header=BB211_36 Depth=1
	s_or_b32 exec_lo, exec_lo, s17
	s_and_saveexec_b32 s17, s6
	s_cbranch_execz .LBB211_59
.LBB211_43:                             ;   in Loop: Header=BB211_36 Depth=1
	ds_load_b32 v9, v1 offset:49176
	s_wait_dscnt 0x0
	v_add_nc_u32_e32 v8, v9, v8
	s_or_b32 exec_lo, exec_lo, s17
	s_and_saveexec_b32 s17, s7
	s_cbranch_execnz .LBB211_60
.LBB211_44:                             ;   in Loop: Header=BB211_36 Depth=1
	s_or_b32 exec_lo, exec_lo, s17
	s_and_saveexec_b32 s17, s8
	s_cbranch_execz .LBB211_61
.LBB211_45:                             ;   in Loop: Header=BB211_36 Depth=1
	ds_load_b32 v9, v1 offset:49184
	s_wait_dscnt 0x0
	v_add_nc_u32_e32 v8, v9, v8
	s_or_b32 exec_lo, exec_lo, s17
	s_and_saveexec_b32 s17, s9
	s_cbranch_execnz .LBB211_62
.LBB211_46:                             ;   in Loop: Header=BB211_36 Depth=1
	s_or_b32 exec_lo, exec_lo, s17
	s_and_saveexec_b32 s17, s10
	s_cbranch_execz .LBB211_63
.LBB211_47:                             ;   in Loop: Header=BB211_36 Depth=1
	ds_load_b32 v9, v1 offset:49192
	s_wait_dscnt 0x0
	v_add_nc_u32_e32 v8, v9, v8
	s_or_b32 exec_lo, exec_lo, s17
	s_and_saveexec_b32 s17, s11
	s_cbranch_execnz .LBB211_64
.LBB211_48:                             ;   in Loop: Header=BB211_36 Depth=1
	s_or_b32 exec_lo, exec_lo, s17
	s_and_saveexec_b32 s17, s12
	s_cbranch_execz .LBB211_65
.LBB211_49:                             ;   in Loop: Header=BB211_36 Depth=1
	ds_load_b32 v9, v1 offset:49200
	s_wait_dscnt 0x0
	v_add_nc_u32_e32 v8, v9, v8
	s_or_b32 exec_lo, exec_lo, s17
	s_and_saveexec_b32 s17, s13
	s_cbranch_execnz .LBB211_66
.LBB211_50:                             ;   in Loop: Header=BB211_36 Depth=1
	s_or_b32 exec_lo, exec_lo, s17
	s_and_saveexec_b32 s17, s14
	s_cbranch_execz .LBB211_67
.LBB211_51:                             ;   in Loop: Header=BB211_36 Depth=1
	ds_load_b32 v9, v1 offset:49208
	s_wait_dscnt 0x0
	v_add_nc_u32_e32 v8, v9, v8
	s_or_b32 exec_lo, exec_lo, s17
	s_and_saveexec_b32 s17, s15
	s_cbranch_execnz .LBB211_68
.LBB211_52:                             ;   in Loop: Header=BB211_36 Depth=1
	s_or_b32 exec_lo, exec_lo, s17
	s_and_saveexec_b32 s15, vcc_lo
	s_cbranch_execz .LBB211_35
	s_branch .LBB211_69
.LBB211_53:                             ;   in Loop: Header=BB211_36 Depth=1
	s_or_b32 exec_lo, exec_lo, s17
	s_and_saveexec_b32 s17, s1
	s_cbranch_execz .LBB211_38
.LBB211_54:                             ;   in Loop: Header=BB211_36 Depth=1
	ds_load_b32 v9, v1 offset:49156
	s_wait_dscnt 0x0
	v_add_nc_u32_e32 v8, v9, v8
	s_or_b32 exec_lo, exec_lo, s17
	s_and_saveexec_b32 s17, s2
	s_cbranch_execnz .LBB211_39
.LBB211_55:                             ;   in Loop: Header=BB211_36 Depth=1
	s_or_b32 exec_lo, exec_lo, s17
	s_and_saveexec_b32 s17, s3
	s_cbranch_execz .LBB211_40
.LBB211_56:                             ;   in Loop: Header=BB211_36 Depth=1
	ds_load_b32 v9, v1 offset:49164
	s_wait_dscnt 0x0
	v_add_nc_u32_e32 v8, v9, v8
	s_or_b32 exec_lo, exec_lo, s17
	s_and_saveexec_b32 s17, s4
	s_cbranch_execnz .LBB211_41
.LBB211_57:                             ;   in Loop: Header=BB211_36 Depth=1
	s_or_b32 exec_lo, exec_lo, s17
	s_and_saveexec_b32 s17, s5
	s_cbranch_execz .LBB211_42
.LBB211_58:                             ;   in Loop: Header=BB211_36 Depth=1
	ds_load_b32 v9, v1 offset:49172
	s_wait_dscnt 0x0
	v_add_nc_u32_e32 v8, v9, v8
	s_or_b32 exec_lo, exec_lo, s17
	s_and_saveexec_b32 s17, s6
	s_cbranch_execnz .LBB211_43
.LBB211_59:                             ;   in Loop: Header=BB211_36 Depth=1
	s_or_b32 exec_lo, exec_lo, s17
	s_and_saveexec_b32 s17, s7
	s_cbranch_execz .LBB211_44
.LBB211_60:                             ;   in Loop: Header=BB211_36 Depth=1
	ds_load_b32 v9, v1 offset:49180
	s_wait_dscnt 0x0
	v_add_nc_u32_e32 v8, v9, v8
	s_or_b32 exec_lo, exec_lo, s17
	s_and_saveexec_b32 s17, s8
	s_cbranch_execnz .LBB211_45
.LBB211_61:                             ;   in Loop: Header=BB211_36 Depth=1
	s_or_b32 exec_lo, exec_lo, s17
	s_and_saveexec_b32 s17, s9
	s_cbranch_execz .LBB211_46
.LBB211_62:                             ;   in Loop: Header=BB211_36 Depth=1
	ds_load_b32 v9, v1 offset:49188
	s_wait_dscnt 0x0
	v_add_nc_u32_e32 v8, v9, v8
	s_or_b32 exec_lo, exec_lo, s17
	s_and_saveexec_b32 s17, s10
	s_cbranch_execnz .LBB211_47
.LBB211_63:                             ;   in Loop: Header=BB211_36 Depth=1
	s_or_b32 exec_lo, exec_lo, s17
	s_and_saveexec_b32 s17, s11
	s_cbranch_execz .LBB211_48
.LBB211_64:                             ;   in Loop: Header=BB211_36 Depth=1
	ds_load_b32 v9, v1 offset:49196
	s_wait_dscnt 0x0
	v_add_nc_u32_e32 v8, v9, v8
	s_or_b32 exec_lo, exec_lo, s17
	s_and_saveexec_b32 s17, s12
	s_cbranch_execnz .LBB211_49
.LBB211_65:                             ;   in Loop: Header=BB211_36 Depth=1
	s_or_b32 exec_lo, exec_lo, s17
	s_and_saveexec_b32 s17, s13
	s_cbranch_execz .LBB211_50
.LBB211_66:                             ;   in Loop: Header=BB211_36 Depth=1
	ds_load_b32 v9, v1 offset:49204
	s_wait_dscnt 0x0
	v_add_nc_u32_e32 v8, v9, v8
	s_or_b32 exec_lo, exec_lo, s17
	s_and_saveexec_b32 s17, s14
	s_cbranch_execnz .LBB211_51
.LBB211_67:                             ;   in Loop: Header=BB211_36 Depth=1
	s_or_b32 exec_lo, exec_lo, s17
	s_and_saveexec_b32 s17, s15
	s_cbranch_execz .LBB211_52
.LBB211_68:                             ;   in Loop: Header=BB211_36 Depth=1
	s_delay_alu instid0(VALU_DEP_1) | instskip(SKIP_1) | instid1(VALU_DEP_2)
	v_add3_u32 v9, v6, -1, v8
	v_add_lshl_u32 v10, v6, v8, 3
	v_lshl_add_u32 v9, v9, 2, 0
	s_delay_alu instid0(VALU_DEP_2)
	v_add3_u32 v10, 0, v10, 0x3ff8
	ds_store_b32 v9, v7
	ds_store_2addr_b32 v10, v4, v5 offset1:1
	s_or_b32 exec_lo, exec_lo, s17
	s_and_saveexec_b32 s15, vcc_lo
	s_cbranch_execz .LBB211_35
.LBB211_69:                             ;   in Loop: Header=BB211_36 Depth=1
	ds_store_b32 v1, v8 offset:49212
	s_branch .LBB211_35
.LBB211_70:                             ;   in Loop: Header=BB211_72 Depth=1
	s_or_b32 exec_lo, exec_lo, s5
.LBB211_71:                             ;   in Loop: Header=BB211_72 Depth=1
	s_delay_alu instid0(SALU_CYCLE_1)
	s_or_b32 exec_lo, exec_lo, s4
	s_wait_loadcnt 0x0
	v_mul_f32_e64 v3, v7, -s39
	v_mul_f32_e32 v7, s38, v7
	v_lshl_add_u32 v1, v1, 3, 0
	v_add_nc_u64_e32 v[4:5], 0x400, v[4:5]
	s_delay_alu instid0(VALU_DEP_4) | instskip(NEXT) | instid1(VALU_DEP_4)
	v_fmac_f32_e32 v3, s38, v6
	v_fmac_f32_e32 v7, s39, v6
	ds_add_f32 v1, v3 offset:16384
	ds_add_f32 v1, v7 offset:16388
	v_cmp_le_i64_e32 vcc_lo, s[2:3], v[4:5]
	s_or_b32 s1, vcc_lo, s1
	s_delay_alu instid0(SALU_CYCLE_1)
	s_and_not1_b32 exec_lo, exec_lo, s1
	s_cbranch_execz .LBB211_33
.LBB211_72:                             ; =>This Loop Header: Depth=1
                                        ;     Child Loop BB211_75 Depth 2
	v_lshl_add_u64 v[6:7], v[4:5], 2, s[14:15]
	s_mov_b32 s4, exec_lo
	global_load_b32 v1, v[6:7], off
	s_wait_xcnt 0x0
	v_lshl_add_u64 v[6:7], v[4:5], 3, s[16:17]
	global_load_b64 v[6:7], v[6:7], off
	s_wait_loadcnt 0x1
	v_subrev_nc_u32_e32 v3, s23, v1
	s_delay_alu instid0(VALU_DEP_1) | instskip(NEXT) | instid1(VALU_DEP_1)
	v_mul_lo_u32 v1, 0x89, v3
	v_and_b32_e32 v1, 0xfff, v1
	s_delay_alu instid0(VALU_DEP_1)
	v_lshl_add_u32 v8, v1, 2, 0
	ds_load_b32 v9, v8
	s_wait_dscnt 0x0
	s_wait_xcnt 0x0
	v_cmpx_ne_u32_e64 v9, v3
	s_cbranch_execz .LBB211_71
; %bb.73:                               ;   in Loop: Header=BB211_72 Depth=1
	s_mov_b32 s5, 0
	s_branch .LBB211_75
.LBB211_74:                             ;   in Loop: Header=BB211_75 Depth=2
	s_or_b32 exec_lo, exec_lo, s8
	s_delay_alu instid0(SALU_CYCLE_1) | instskip(NEXT) | instid1(SALU_CYCLE_1)
	s_and_b32 s6, exec_lo, s7
	s_or_b32 s5, s6, s5
	s_delay_alu instid0(SALU_CYCLE_1)
	s_and_not1_b32 exec_lo, exec_lo, s5
	s_cbranch_execz .LBB211_70
.LBB211_75:                             ;   Parent Loop BB211_72 Depth=1
                                        ; =>  This Inner Loop Header: Depth=2
	s_mov_b32 s6, 0
	s_mov_b32 s7, exec_lo
	v_cmpx_ne_u32_e64 s33, v9
	s_xor_b32 s7, exec_lo, s7
	s_cbranch_execz .LBB211_77
; %bb.76:                               ;   in Loop: Header=BB211_75 Depth=2
	v_add_nc_u32_e32 v1, 1, v1
	s_mov_b32 s6, exec_lo
                                        ; implicit-def: $vgpr8
	s_delay_alu instid0(VALU_DEP_1)
	v_and_b32_e32 v1, 0xfff, v1
	s_and_not1_saveexec_b32 s7, s7
	s_cbranch_execz .LBB211_79
	s_branch .LBB211_78
.LBB211_77:                             ;   in Loop: Header=BB211_75 Depth=2
	s_and_not1_saveexec_b32 s7, s7
	s_cbranch_execz .LBB211_79
.LBB211_78:                             ;   in Loop: Header=BB211_75 Depth=2
	v_mov_b32_e32 v9, s33
	s_and_not1_b32 s6, s6, exec_lo
	ds_cmpstore_rtn_b32 v8, v8, v3, v9
	s_wait_dscnt 0x0
	v_cmp_ne_u32_e32 vcc_lo, s33, v8
	s_and_b32 s8, vcc_lo, exec_lo
	s_delay_alu instid0(SALU_CYCLE_1)
	s_or_b32 s6, s6, s8
.LBB211_79:                             ;   in Loop: Header=BB211_75 Depth=2
	s_or_b32 exec_lo, exec_lo, s7
	s_mov_b32 s7, -1
                                        ; implicit-def: $vgpr8
                                        ; implicit-def: $vgpr9
	s_and_saveexec_b32 s8, s6
	s_cbranch_execz .LBB211_74
; %bb.80:                               ;   in Loop: Header=BB211_75 Depth=2
	v_lshl_add_u32 v8, v1, 2, 0
	ds_load_b32 v9, v8
	s_wait_dscnt 0x0
	v_cmp_eq_u32_e32 vcc_lo, v9, v3
	s_or_not1_b32 s7, vcc_lo, exec_lo
	s_branch .LBB211_74
.LBB211_81:
	s_or_b32 exec_lo, exec_lo, s16
	s_wait_kmcnt 0x0
	s_ashr_i32 s29, s28, 31
	s_delay_alu instid0(SALU_CYCLE_1) | instskip(NEXT) | instid1(SALU_CYCLE_1)
	s_lshl_b64 s[0:1], s[28:29], 3
	s_add_nc_u64 s[4:5], s[18:19], s[0:1]
	s_load_b128 s[0:3], s[4:5], 0x0
	s_wait_xcnt 0x0
	s_mov_b32 s4, exec_lo
	s_wait_kmcnt 0x0
	s_sub_co_i32 s3, s2, s0
	s_delay_alu instid0(SALU_CYCLE_1)
	v_cmpx_gt_i32_e64 s3, v0
	s_cbranch_execz .LBB211_91
; %bb.82:
	s_sub_co_i32 s4, s0, s2
	s_and_b32 s2, s3, 7
	s_cmp_lt_u32 s4, -7
	s_mov_b32 s23, 0
	s_cselect_b32 s4, -1, 0
	s_and_b32 s5, s3, -8
	s_cmp_lg_u32 s2, 0
	s_sub_nc_u64 s[0:1], s[0:1], s[22:23]
	s_cselect_b32 s6, -1, 0
	s_mov_b32 s7, 0
	s_branch .LBB211_84
.LBB211_83:                             ;   in Loop: Header=BB211_84 Depth=1
	v_add_nc_u32_e32 v0, 0x400, v0
	s_delay_alu instid0(VALU_DEP_2) | instskip(NEXT) | instid1(VALU_DEP_2)
	v_lshl_add_u64 v[4:5], v[4:5], 3, s[34:35]
	v_cmp_le_i32_e32 vcc_lo, s3, v0
	s_wait_dscnt 0x0
	global_store_b64 v[4:5], v[2:3], off
	s_or_b32 s7, vcc_lo, s7
	s_wait_xcnt 0x0
	s_and_not1_b32 exec_lo, exec_lo, s7
	s_cbranch_execz .LBB211_91
.LBB211_84:                             ; =>This Loop Header: Depth=1
                                        ;     Child Loop BB211_86 Depth 2
                                        ;     Child Loop BB211_90 Depth 2
	v_lshlrev_b32_e32 v1, 2, v0
	v_mov_b64_e32 v[4:5], s[0:1]
	s_and_not1_b32 vcc_lo, exec_lo, s4
	s_mov_b32 s8, 0
	s_delay_alu instid0(VALU_DEP_2) | instskip(NEXT) | instid1(VALU_DEP_1)
	v_add_nc_u32_e32 v2, 0, v1
	v_add3_u32 v3, v2, v1, 0x4000
	ds_load_b32 v1, v2
	ds_load_2addr_b32 v[2:3], v3 offset1:1
	s_cbranch_vccnz .LBB211_88
; %bb.85:                               ;   in Loop: Header=BB211_84 Depth=1
	v_mov_b64_e32 v[4:5], s[0:1]
	s_mov_b32 s9, 0
.LBB211_86:                             ;   Parent Loop BB211_84 Depth=1
                                        ; =>  This Inner Loop Header: Depth=2
	s_delay_alu instid0(SALU_CYCLE_1)
	v_dual_mov_b32 v10, s9 :: v_dual_mov_b32 v11, s23
	v_mov_b32_e32 v17, s23
	s_add_co_i32 s8, s8, 8
	s_add_co_i32 s9, s9, 32
	ds_load_2addr_b32 v[6:7], v10 offset1:1
	ds_load_2addr_b32 v[8:9], v10 offset0:2 offset1:3
	ds_load_2addr_b32 v[12:13], v10 offset0:4 offset1:5
	;; [unrolled: 1-line block ×3, first 2 shown]
	s_cmp_eq_u32 s5, s8
	s_wait_dscnt 0x3
	v_cmp_gt_i32_e32 vcc_lo, v1, v6
	v_cndmask_b32_e64 v10, 0, 1, vcc_lo
	v_cmp_gt_i32_e32 vcc_lo, v1, v7
	v_mov_b32_e32 v7, s23
	s_delay_alu instid0(VALU_DEP_3) | instskip(SKIP_4) | instid1(VALU_DEP_3)
	v_add_nc_u64_e32 v[4:5], v[4:5], v[10:11]
	v_cndmask_b32_e64 v16, 0, 1, vcc_lo
	s_wait_dscnt 0x2
	v_cmp_gt_i32_e32 vcc_lo, v1, v8
	v_cndmask_b32_e64 v6, 0, 1, vcc_lo
	v_add_nc_u64_e32 v[4:5], v[4:5], v[16:17]
	v_cmp_gt_i32_e32 vcc_lo, v1, v9
	v_mov_b32_e32 v9, s23
	v_cndmask_b32_e64 v10, 0, 1, vcc_lo
	s_delay_alu instid0(VALU_DEP_4) | instskip(SKIP_3) | instid1(VALU_DEP_3)
	v_add_nc_u64_e32 v[4:5], v[4:5], v[6:7]
	s_wait_dscnt 0x1
	v_cmp_gt_i32_e32 vcc_lo, v1, v12
	v_cndmask_b32_e64 v6, 0, 1, vcc_lo
	v_add_nc_u64_e32 v[4:5], v[4:5], v[10:11]
	v_cmp_gt_i32_e32 vcc_lo, v1, v13
	v_cndmask_b32_e64 v8, 0, 1, vcc_lo
	s_delay_alu instid0(VALU_DEP_3) | instskip(SKIP_3) | instid1(VALU_DEP_3)
	v_add_nc_u64_e32 v[4:5], v[4:5], v[6:7]
	s_wait_dscnt 0x0
	v_cmp_gt_i32_e32 vcc_lo, v1, v14
	v_cndmask_b32_e64 v6, 0, 1, vcc_lo
	v_add_nc_u64_e32 v[4:5], v[4:5], v[8:9]
	v_cmp_gt_i32_e32 vcc_lo, v1, v15
	v_cndmask_b32_e64 v8, 0, 1, vcc_lo
	s_delay_alu instid0(VALU_DEP_3) | instskip(NEXT) | instid1(VALU_DEP_1)
	v_add_nc_u64_e32 v[4:5], v[4:5], v[6:7]
	v_add_nc_u64_e32 v[4:5], v[4:5], v[8:9]
	s_cbranch_scc0 .LBB211_86
; %bb.87:                               ;   in Loop: Header=BB211_84 Depth=1
	s_mov_b32 s8, s5
.LBB211_88:                             ;   in Loop: Header=BB211_84 Depth=1
	s_and_not1_b32 vcc_lo, exec_lo, s6
	s_cbranch_vccnz .LBB211_83
; %bb.89:                               ;   in Loop: Header=BB211_84 Depth=1
	s_lshl_b32 s8, s8, 2
	s_mov_b32 s9, s2
	s_add_co_i32 s8, s8, 0
.LBB211_90:                             ;   Parent Loop BB211_84 Depth=1
                                        ; =>  This Inner Loop Header: Depth=2
	s_delay_alu instid0(SALU_CYCLE_1)
	v_dual_mov_b32 v6, s8 :: v_dual_mov_b32 v7, s23
	s_add_co_i32 s9, s9, -1
	s_add_co_i32 s8, s8, 4
	s_cmp_lg_u32 s9, 0
	ds_load_b32 v6, v6
	s_wait_dscnt 0x0
	v_cmp_gt_i32_e32 vcc_lo, v1, v6
	v_cndmask_b32_e64 v6, 0, 1, vcc_lo
	s_delay_alu instid0(VALU_DEP_1)
	v_add_nc_u64_e32 v[4:5], v[4:5], v[6:7]
	s_cbranch_scc1 .LBB211_90
	s_branch .LBB211_83
.LBB211_91:
	s_endpgm
	.section	.rodata,"a",@progbits
	.p2align	6, 0x0
	.amdhsa_kernel _ZN9rocsparseL41csrgemm_numeric_fill_block_per_row_kernelILj1024ELj64ELj4096ELj137ELj64Eli21rocsparse_complex_numIfEEEvT5_PKS3_S5_NS_24const_host_device_scalarIT6_EEPKT4_S5_PKS7_SB_S5_SD_S8_SB_S5_SD_SB_S5_PS7_21rocsparse_index_base_SF_SF_SF_bbb
		.amdhsa_group_segment_fixed_size 0
		.amdhsa_private_segment_fixed_size 0
		.amdhsa_kernarg_size 156
		.amdhsa_user_sgpr_count 2
		.amdhsa_user_sgpr_dispatch_ptr 0
		.amdhsa_user_sgpr_queue_ptr 0
		.amdhsa_user_sgpr_kernarg_segment_ptr 1
		.amdhsa_user_sgpr_dispatch_id 0
		.amdhsa_user_sgpr_kernarg_preload_length 0
		.amdhsa_user_sgpr_kernarg_preload_offset 0
		.amdhsa_user_sgpr_private_segment_size 0
		.amdhsa_wavefront_size32 1
		.amdhsa_uses_dynamic_stack 0
		.amdhsa_enable_private_segment 0
		.amdhsa_system_sgpr_workgroup_id_x 1
		.amdhsa_system_sgpr_workgroup_id_y 0
		.amdhsa_system_sgpr_workgroup_id_z 0
		.amdhsa_system_sgpr_workgroup_info 0
		.amdhsa_system_vgpr_workitem_id 0
		.amdhsa_next_free_vgpr 21
		.amdhsa_next_free_sgpr 48
		.amdhsa_named_barrier_count 0
		.amdhsa_reserve_vcc 1
		.amdhsa_float_round_mode_32 0
		.amdhsa_float_round_mode_16_64 0
		.amdhsa_float_denorm_mode_32 3
		.amdhsa_float_denorm_mode_16_64 3
		.amdhsa_fp16_overflow 0
		.amdhsa_memory_ordered 1
		.amdhsa_forward_progress 1
		.amdhsa_inst_pref_size 27
		.amdhsa_round_robin_scheduling 0
		.amdhsa_exception_fp_ieee_invalid_op 0
		.amdhsa_exception_fp_denorm_src 0
		.amdhsa_exception_fp_ieee_div_zero 0
		.amdhsa_exception_fp_ieee_overflow 0
		.amdhsa_exception_fp_ieee_underflow 0
		.amdhsa_exception_fp_ieee_inexact 0
		.amdhsa_exception_int_div_zero 0
	.end_amdhsa_kernel
	.section	.text._ZN9rocsparseL41csrgemm_numeric_fill_block_per_row_kernelILj1024ELj64ELj4096ELj137ELj64Eli21rocsparse_complex_numIfEEEvT5_PKS3_S5_NS_24const_host_device_scalarIT6_EEPKT4_S5_PKS7_SB_S5_SD_S8_SB_S5_SD_SB_S5_PS7_21rocsparse_index_base_SF_SF_SF_bbb,"axG",@progbits,_ZN9rocsparseL41csrgemm_numeric_fill_block_per_row_kernelILj1024ELj64ELj4096ELj137ELj64Eli21rocsparse_complex_numIfEEEvT5_PKS3_S5_NS_24const_host_device_scalarIT6_EEPKT4_S5_PKS7_SB_S5_SD_S8_SB_S5_SD_SB_S5_PS7_21rocsparse_index_base_SF_SF_SF_bbb,comdat
.Lfunc_end211:
	.size	_ZN9rocsparseL41csrgemm_numeric_fill_block_per_row_kernelILj1024ELj64ELj4096ELj137ELj64Eli21rocsparse_complex_numIfEEEvT5_PKS3_S5_NS_24const_host_device_scalarIT6_EEPKT4_S5_PKS7_SB_S5_SD_S8_SB_S5_SD_SB_S5_PS7_21rocsparse_index_base_SF_SF_SF_bbb, .Lfunc_end211-_ZN9rocsparseL41csrgemm_numeric_fill_block_per_row_kernelILj1024ELj64ELj4096ELj137ELj64Eli21rocsparse_complex_numIfEEEvT5_PKS3_S5_NS_24const_host_device_scalarIT6_EEPKT4_S5_PKS7_SB_S5_SD_S8_SB_S5_SD_SB_S5_PS7_21rocsparse_index_base_SF_SF_SF_bbb
                                        ; -- End function
	.set _ZN9rocsparseL41csrgemm_numeric_fill_block_per_row_kernelILj1024ELj64ELj4096ELj137ELj64Eli21rocsparse_complex_numIfEEEvT5_PKS3_S5_NS_24const_host_device_scalarIT6_EEPKT4_S5_PKS7_SB_S5_SD_S8_SB_S5_SD_SB_S5_PS7_21rocsparse_index_base_SF_SF_SF_bbb.num_vgpr, 21
	.set _ZN9rocsparseL41csrgemm_numeric_fill_block_per_row_kernelILj1024ELj64ELj4096ELj137ELj64Eli21rocsparse_complex_numIfEEEvT5_PKS3_S5_NS_24const_host_device_scalarIT6_EEPKT4_S5_PKS7_SB_S5_SD_S8_SB_S5_SD_SB_S5_PS7_21rocsparse_index_base_SF_SF_SF_bbb.num_agpr, 0
	.set _ZN9rocsparseL41csrgemm_numeric_fill_block_per_row_kernelILj1024ELj64ELj4096ELj137ELj64Eli21rocsparse_complex_numIfEEEvT5_PKS3_S5_NS_24const_host_device_scalarIT6_EEPKT4_S5_PKS7_SB_S5_SD_S8_SB_S5_SD_SB_S5_PS7_21rocsparse_index_base_SF_SF_SF_bbb.numbered_sgpr, 48
	.set _ZN9rocsparseL41csrgemm_numeric_fill_block_per_row_kernelILj1024ELj64ELj4096ELj137ELj64Eli21rocsparse_complex_numIfEEEvT5_PKS3_S5_NS_24const_host_device_scalarIT6_EEPKT4_S5_PKS7_SB_S5_SD_S8_SB_S5_SD_SB_S5_PS7_21rocsparse_index_base_SF_SF_SF_bbb.num_named_barrier, 0
	.set _ZN9rocsparseL41csrgemm_numeric_fill_block_per_row_kernelILj1024ELj64ELj4096ELj137ELj64Eli21rocsparse_complex_numIfEEEvT5_PKS3_S5_NS_24const_host_device_scalarIT6_EEPKT4_S5_PKS7_SB_S5_SD_S8_SB_S5_SD_SB_S5_PS7_21rocsparse_index_base_SF_SF_SF_bbb.private_seg_size, 0
	.set _ZN9rocsparseL41csrgemm_numeric_fill_block_per_row_kernelILj1024ELj64ELj4096ELj137ELj64Eli21rocsparse_complex_numIfEEEvT5_PKS3_S5_NS_24const_host_device_scalarIT6_EEPKT4_S5_PKS7_SB_S5_SD_S8_SB_S5_SD_SB_S5_PS7_21rocsparse_index_base_SF_SF_SF_bbb.uses_vcc, 1
	.set _ZN9rocsparseL41csrgemm_numeric_fill_block_per_row_kernelILj1024ELj64ELj4096ELj137ELj64Eli21rocsparse_complex_numIfEEEvT5_PKS3_S5_NS_24const_host_device_scalarIT6_EEPKT4_S5_PKS7_SB_S5_SD_S8_SB_S5_SD_SB_S5_PS7_21rocsparse_index_base_SF_SF_SF_bbb.uses_flat_scratch, 0
	.set _ZN9rocsparseL41csrgemm_numeric_fill_block_per_row_kernelILj1024ELj64ELj4096ELj137ELj64Eli21rocsparse_complex_numIfEEEvT5_PKS3_S5_NS_24const_host_device_scalarIT6_EEPKT4_S5_PKS7_SB_S5_SD_S8_SB_S5_SD_SB_S5_PS7_21rocsparse_index_base_SF_SF_SF_bbb.has_dyn_sized_stack, 0
	.set _ZN9rocsparseL41csrgemm_numeric_fill_block_per_row_kernelILj1024ELj64ELj4096ELj137ELj64Eli21rocsparse_complex_numIfEEEvT5_PKS3_S5_NS_24const_host_device_scalarIT6_EEPKT4_S5_PKS7_SB_S5_SD_S8_SB_S5_SD_SB_S5_PS7_21rocsparse_index_base_SF_SF_SF_bbb.has_recursion, 0
	.set _ZN9rocsparseL41csrgemm_numeric_fill_block_per_row_kernelILj1024ELj64ELj4096ELj137ELj64Eli21rocsparse_complex_numIfEEEvT5_PKS3_S5_NS_24const_host_device_scalarIT6_EEPKT4_S5_PKS7_SB_S5_SD_S8_SB_S5_SD_SB_S5_PS7_21rocsparse_index_base_SF_SF_SF_bbb.has_indirect_call, 0
	.section	.AMDGPU.csdata,"",@progbits
; Kernel info:
; codeLenInByte = 3376
; TotalNumSgprs: 50
; NumVgprs: 21
; ScratchSize: 0
; MemoryBound: 0
; FloatMode: 240
; IeeeMode: 1
; LDSByteSize: 0 bytes/workgroup (compile time only)
; SGPRBlocks: 0
; VGPRBlocks: 1
; NumSGPRsForWavesPerEU: 50
; NumVGPRsForWavesPerEU: 21
; NamedBarCnt: 0
; Occupancy: 16
; WaveLimiterHint : 1
; COMPUTE_PGM_RSRC2:SCRATCH_EN: 0
; COMPUTE_PGM_RSRC2:USER_SGPR: 2
; COMPUTE_PGM_RSRC2:TRAP_HANDLER: 0
; COMPUTE_PGM_RSRC2:TGID_X_EN: 1
; COMPUTE_PGM_RSRC2:TGID_Y_EN: 0
; COMPUTE_PGM_RSRC2:TGID_Z_EN: 0
; COMPUTE_PGM_RSRC2:TIDIG_COMP_CNT: 0
	.section	.text._ZN9rocsparseL41csrgemm_numeric_fill_block_per_row_kernelILj1024ELj64ELj8192ELj137ELj32Eli21rocsparse_complex_numIfEEEvT5_PKS3_S5_NS_24const_host_device_scalarIT6_EEPKT4_S5_PKS7_SB_S5_SD_S8_SB_S5_SD_SB_S5_PS7_21rocsparse_index_base_SF_SF_SF_bbb,"axG",@progbits,_ZN9rocsparseL41csrgemm_numeric_fill_block_per_row_kernelILj1024ELj64ELj8192ELj137ELj32Eli21rocsparse_complex_numIfEEEvT5_PKS3_S5_NS_24const_host_device_scalarIT6_EEPKT4_S5_PKS7_SB_S5_SD_S8_SB_S5_SD_SB_S5_PS7_21rocsparse_index_base_SF_SF_SF_bbb,comdat
	.globl	_ZN9rocsparseL41csrgemm_numeric_fill_block_per_row_kernelILj1024ELj64ELj8192ELj137ELj32Eli21rocsparse_complex_numIfEEEvT5_PKS3_S5_NS_24const_host_device_scalarIT6_EEPKT4_S5_PKS7_SB_S5_SD_S8_SB_S5_SD_SB_S5_PS7_21rocsparse_index_base_SF_SF_SF_bbb ; -- Begin function _ZN9rocsparseL41csrgemm_numeric_fill_block_per_row_kernelILj1024ELj64ELj8192ELj137ELj32Eli21rocsparse_complex_numIfEEEvT5_PKS3_S5_NS_24const_host_device_scalarIT6_EEPKT4_S5_PKS7_SB_S5_SD_S8_SB_S5_SD_SB_S5_PS7_21rocsparse_index_base_SF_SF_SF_bbb
	.p2align	8
	.type	_ZN9rocsparseL41csrgemm_numeric_fill_block_per_row_kernelILj1024ELj64ELj8192ELj137ELj32Eli21rocsparse_complex_numIfEEEvT5_PKS3_S5_NS_24const_host_device_scalarIT6_EEPKT4_S5_PKS7_SB_S5_SD_S8_SB_S5_SD_SB_S5_PS7_21rocsparse_index_base_SF_SF_SF_bbb,@function
_ZN9rocsparseL41csrgemm_numeric_fill_block_per_row_kernelILj1024ELj64ELj8192ELj137ELj32Eli21rocsparse_complex_numIfEEEvT5_PKS3_S5_NS_24const_host_device_scalarIT6_EEPKT4_S5_PKS7_SB_S5_SD_S8_SB_S5_SD_SB_S5_PS7_21rocsparse_index_base_SF_SF_SF_bbb: ; @_ZN9rocsparseL41csrgemm_numeric_fill_block_per_row_kernelILj1024ELj64ELj8192ELj137ELj32Eli21rocsparse_complex_numIfEEEvT5_PKS3_S5_NS_24const_host_device_scalarIT6_EEPKT4_S5_PKS7_SB_S5_SD_S8_SB_S5_SD_SB_S5_PS7_21rocsparse_index_base_SF_SF_SF_bbb
; %bb.0:
	s_clause 0x3
	s_load_b32 s22, s[0:1], 0x98
	s_load_b128 s[44:47], s[0:1], 0x88
	s_load_b128 s[16:19], s[0:1], 0x8
	s_load_b64 s[20:21], s[0:1], 0x50
	s_mov_b32 s3, 0
	s_mov_b32 s24, 0
	s_wait_kmcnt 0x0
	s_bitcmp1_b32 s22, 0
	s_cselect_b32 s25, -1, 0
	s_bitcmp1_b32 s22, 16
	s_cselect_b32 s2, -1, 0
	s_delay_alu instid0(SALU_CYCLE_1) | instskip(SKIP_2) | instid1(VALU_DEP_1)
	s_xor_b32 s4, s2, -1
	s_bitcmp0_b32 s22, 0
	v_cndmask_b32_e64 v1, 0, 1, s4
	v_cmp_ne_u32_e32 vcc_lo, 1, v1
	s_cbranch_scc1 .LBB212_5
; %bb.1:
	s_load_b64 s[2:3], s[0:1], 0x18
	s_and_b32 vcc_lo, exec_lo, vcc_lo
	s_wait_kmcnt 0x0
	s_mov_b32 s24, s2
	s_cbranch_vccnz .LBB212_3
; %bb.2:
	s_load_b32 s24, s[2:3], 0x0
.LBB212_3:
	s_and_not1_b32 vcc_lo, exec_lo, s4
	s_cbranch_vccnz .LBB212_5
; %bb.4:
	s_wait_xcnt 0x0
	s_load_b32 s3, s[2:3], 0x4
.LBB212_5:
	s_clause 0x3
	s_load_b64 s[34:35], s[0:1], 0x80
	s_load_b256 s[36:43], s[0:1], 0x58
	s_load_b128 s[12:15], s[0:1], 0x40
	s_load_b256 s[4:11], s[0:1], 0x20
	s_bitcmp1_b32 s22, 8
	s_wait_xcnt 0x0
	s_cselect_b32 s2, -1, 0
	s_bfe_u32 s23, s22, 0x10008
	s_mov_b32 s22, 0
	s_cmp_eq_u32 s23, 0
	s_mov_b32 s23, 0
	s_cbranch_scc1 .LBB212_11
; %bb.6:
	v_cmp_ne_u32_e32 vcc_lo, 1, v1
	s_mov_b32 s22, s20
	s_cbranch_vccnz .LBB212_8
; %bb.7:
	s_load_b32 s22, s[20:21], 0x0
.LBB212_8:
	v_cmp_ne_u32_e32 vcc_lo, 1, v1
	s_cbranch_vccnz .LBB212_10
; %bb.9:
	s_wait_xcnt 0x0
	s_load_b32 s21, s[20:21], 0x4
.LBB212_10:
	s_wait_kmcnt 0x0
	s_mov_b32 s23, s21
.LBB212_11:
	s_load_b32 s33, s[0:1], 0x0
	v_dual_lshlrev_b32 v1, 2, v0 :: v_dual_lshlrev_b32 v13, 3, v0
	s_wait_xcnt 0x0
	s_bfe_u32 s1, ttmp6, 0x4000c
	v_mov_b32_e32 v5, 0
	s_add_co_i32 s1, s1, 1
	v_add_nc_u32_e32 v12, 0, v1
	v_add3_u32 v2, 0x8000, 0, v13
	s_mul_i32 s1, ttmp9, s1
	s_delay_alu instid0(VALU_DEP_2) | instskip(SKIP_1) | instid1(VALU_DEP_2)
	v_add_nc_u32_e32 v1, v12, v1
	s_wait_kmcnt 0x0
	v_dual_mov_b32 v8, s33 :: v_dual_add_nc_u32 v3, 0x8000, v2
	s_delay_alu instid0(VALU_DEP_2)
	v_dual_mov_b32 v9, s33 :: v_dual_add_nc_u32 v4, 0x8000, v1
	v_dual_mov_b32 v11, s33 :: v_dual_add_nc_u32 v6, 0xa000, v1
	;; [unrolled: 1-line block ×3, first 2 shown]
	ds_store_2addr_b32 v4, v5, v5 offset1:1
	v_dual_mov_b32 v4, s33 :: v_dual_add_nc_u32 v1, 0xe000, v1
	v_mov_b32_e32 v14, s33
	ds_store_2addr_stride64_b32 v12, v8, v4 offset1:16
	ds_store_2addr_b32 v6, v5, v5 offset1:1
	ds_store_2addr_b32 v7, v5, v5 offset1:1
	ds_store_2addr_stride64_b32 v12, v9, v10 offset0:32 offset1:48
	ds_store_2addr_b32 v1, v5, v5 offset1:1
	ds_store_b32 v12, v11 offset:16384
	ds_store_2addr_b32 v3, v5, v5 offset1:1
	ds_store_b32 v12, v14 offset:20480
	v_dual_mov_b32 v6, s33 :: v_dual_add_nc_u32 v1, 0xa000, v2
	v_dual_mov_b32 v3, s33 :: v_dual_add_nc_u32 v4, 0xc000, v2
	v_add_nc_u32_e32 v2, 0xe000, v2
	ds_store_2addr_b32 v1, v5, v5 offset1:1
	ds_store_b32 v12, v3 offset:24576
	ds_store_2addr_b32 v4, v5, v5 offset1:1
	ds_store_b32 v12, v6 offset:28672
	ds_store_2addr_b32 v2, v5, v5 offset1:1
	s_wait_dscnt 0x0
	s_barrier_signal -1
	s_barrier_wait -1
	s_load_b32 s0, s[16:17], 0x0
	s_wait_xcnt 0x0
	s_and_b32 s16, ttmp6, 15
	s_getreg_b32 s17, hwreg(HW_REG_IB_STS2, 6, 4)
	s_add_co_i32 s16, s16, s1
	s_cmp_eq_u32 s17, 0
	s_cselect_b32 s1, ttmp9, s16
	s_and_not1_b32 vcc_lo, exec_lo, s25
	s_wait_kmcnt 0x0
	s_add_co_i32 s0, s0, s1
	s_mov_b32 s1, 0
	s_load_b32 s48, s[18:19], s0 offset:0x0 scale_offset
	s_cbranch_vccnz .LBB212_29
; %bb.12:
	s_wait_kmcnt 0x0
	s_ashr_i32 s49, s48, 31
	v_lshrrev_b32_e32 v4, 6, v0
	s_lshl_b64 s[16:17], s[48:49], 3
	s_mov_b32 s0, s44
	s_add_nc_u64 s[4:5], s[4:5], s[16:17]
	s_delay_alu instid0(VALU_DEP_1) | instskip(SKIP_2) | instid1(VALU_DEP_1)
	v_sub_nc_u64_e64 v[2:3], v[4:5], s[0:1]
	s_load_b128 s[16:19], s[4:5], 0x0
	s_wait_kmcnt 0x0
	v_add_nc_u64_e32 v[2:3], s[16:17], v[2:3]
	s_sub_nc_u64 s[0:1], s[18:19], s[0:1]
	s_mov_b32 s16, exec_lo
	s_delay_alu instid0(VALU_DEP_1)
	v_cmpx_gt_i64_e64 s[0:1], v[2:3]
	s_cbranch_execz .LBB212_28
; %bb.13:
	v_and_b32_e32 v4, 63, v0
	s_mov_b32 s5, 0
	s_mov_b32 s4, s45
	;; [unrolled: 1-line block ×3, first 2 shown]
	s_delay_alu instid0(VALU_DEP_1)
	v_sub_nc_u64_e64 v[4:5], v[4:5], s[4:5]
	s_branch .LBB212_15
.LBB212_14:                             ;   in Loop: Header=BB212_15 Depth=1
	s_or_b32 exec_lo, exec_lo, s18
	v_add_nc_u64_e32 v[2:3], 16, v[2:3]
	s_delay_alu instid0(VALU_DEP_1) | instskip(SKIP_1) | instid1(SALU_CYCLE_1)
	v_cmp_le_i64_e32 vcc_lo, s[0:1], v[2:3]
	s_or_b32 s17, vcc_lo, s17
	s_and_not1_b32 exec_lo, exec_lo, s17
	s_cbranch_execz .LBB212_28
.LBB212_15:                             ; =>This Loop Header: Depth=1
                                        ;     Child Loop BB212_19 Depth 2
                                        ;       Child Loop BB212_22 Depth 3
	v_lshl_add_u64 v[6:7], v[2:3], 2, s[6:7]
	s_mov_b32 s18, exec_lo
	global_load_b32 v1, v[6:7], off
	s_wait_loadcnt 0x0
	s_wait_xcnt 0x0
	v_subrev_nc_u32_e32 v6, s44, v1
	s_delay_alu instid0(VALU_DEP_1) | instskip(NEXT) | instid1(VALU_DEP_1)
	v_ashrrev_i32_e32 v7, 31, v6
	v_lshl_add_u64 v[6:7], v[6:7], 3, s[10:11]
	global_load_b128 v[8:11], v[6:7], off
	s_wait_loadcnt 0x0
	s_wait_xcnt 0x0
	v_sub_nc_u64_e64 v[6:7], v[10:11], s[4:5]
	v_add_nc_u64_e32 v[8:9], v[8:9], v[4:5]
	s_delay_alu instid0(VALU_DEP_1)
	v_cmpx_lt_i64_e64 v[8:9], v[6:7]
	s_cbranch_execz .LBB212_14
; %bb.16:                               ;   in Loop: Header=BB212_15 Depth=1
	v_lshl_add_u64 v[10:11], v[2:3], 3, s[8:9]
	s_mov_b32 s19, 0
	global_load_b64 v[10:11], v[10:11], off
	s_wait_loadcnt 0x0
	v_mul_f32_e64 v1, v11, -s3
	s_delay_alu instid0(VALU_DEP_1) | instskip(NEXT) | instid1(VALU_DEP_1)
	v_dual_mul_f32 v14, s24, v11 :: v_dual_fmac_f32 v1, s24, v10
	v_fmac_f32_e32 v14, s3, v10
	s_branch .LBB212_19
.LBB212_17:                             ;   in Loop: Header=BB212_19 Depth=2
	s_or_b32 exec_lo, exec_lo, s21
.LBB212_18:                             ;   in Loop: Header=BB212_19 Depth=2
	s_delay_alu instid0(SALU_CYCLE_1) | instskip(SKIP_4) | instid1(VALU_DEP_3)
	s_or_b32 exec_lo, exec_lo, s20
	s_wait_loadcnt 0x0
	v_dual_mul_f32 v16, v11, -v14 :: v_dual_mul_f32 v11, v1, v11
	v_lshl_add_u32 v15, v15, 3, 0
	v_add_nc_u64_e32 v[8:9], 64, v[8:9]
	v_dual_fmac_f32 v16, v1, v10 :: v_dual_fmac_f32 v11, v14, v10
	ds_add_f32 v15, v16 offset:32768
	ds_add_f32 v15, v11 offset:32772
	v_cmp_ge_i64_e32 vcc_lo, v[8:9], v[6:7]
	s_or_b32 s19, vcc_lo, s19
	s_delay_alu instid0(SALU_CYCLE_1)
	s_and_not1_b32 exec_lo, exec_lo, s19
	s_cbranch_execz .LBB212_14
.LBB212_19:                             ;   Parent Loop BB212_15 Depth=1
                                        ; =>  This Loop Header: Depth=2
                                        ;       Child Loop BB212_22 Depth 3
	s_wait_xcnt 0x0
	v_lshl_add_u64 v[10:11], v[8:9], 2, s[12:13]
	s_mov_b32 s20, exec_lo
	global_load_b32 v15, v[10:11], off
	s_wait_xcnt 0x0
	v_lshl_add_u64 v[10:11], v[8:9], 3, s[14:15]
	global_load_b64 v[10:11], v[10:11], off
	s_wait_loadcnt 0x1
	v_subrev_nc_u32_e32 v16, s45, v15
	s_delay_alu instid0(VALU_DEP_1) | instskip(NEXT) | instid1(VALU_DEP_1)
	v_mul_lo_u32 v15, 0x89, v16
	v_and_b32_e32 v15, 0x1fff, v15
	s_delay_alu instid0(VALU_DEP_1)
	v_lshl_add_u32 v17, v15, 2, 0
	ds_load_b32 v18, v17
	s_wait_dscnt 0x0
	s_wait_xcnt 0x0
	v_cmpx_ne_u32_e64 v18, v16
	s_cbranch_execz .LBB212_18
; %bb.20:                               ;   in Loop: Header=BB212_19 Depth=2
	s_mov_b32 s21, 0
	s_branch .LBB212_22
.LBB212_21:                             ;   in Loop: Header=BB212_22 Depth=3
	s_or_b32 exec_lo, exec_lo, s27
	s_delay_alu instid0(SALU_CYCLE_1) | instskip(NEXT) | instid1(SALU_CYCLE_1)
	s_and_b32 s25, exec_lo, s26
	s_or_b32 s21, s25, s21
	s_delay_alu instid0(SALU_CYCLE_1)
	s_and_not1_b32 exec_lo, exec_lo, s21
	s_cbranch_execz .LBB212_17
.LBB212_22:                             ;   Parent Loop BB212_15 Depth=1
                                        ;     Parent Loop BB212_19 Depth=2
                                        ; =>    This Inner Loop Header: Depth=3
	s_mov_b32 s25, 0
	s_mov_b32 s26, exec_lo
	v_cmpx_ne_u32_e64 s33, v18
	s_xor_b32 s26, exec_lo, s26
	s_cbranch_execz .LBB212_24
; %bb.23:                               ;   in Loop: Header=BB212_22 Depth=3
	v_add_nc_u32_e32 v15, 1, v15
	s_mov_b32 s25, exec_lo
                                        ; implicit-def: $vgpr17
	s_delay_alu instid0(VALU_DEP_1)
	v_and_b32_e32 v15, 0x1fff, v15
	s_and_not1_saveexec_b32 s26, s26
	s_cbranch_execz .LBB212_26
	s_branch .LBB212_25
.LBB212_24:                             ;   in Loop: Header=BB212_22 Depth=3
	s_and_not1_saveexec_b32 s26, s26
	s_cbranch_execz .LBB212_26
.LBB212_25:                             ;   in Loop: Header=BB212_22 Depth=3
	v_mov_b32_e32 v18, s33
	s_and_not1_b32 s25, s25, exec_lo
	ds_cmpstore_rtn_b32 v17, v17, v16, v18
	s_wait_dscnt 0x0
	v_cmp_ne_u32_e32 vcc_lo, s33, v17
	s_and_b32 s27, vcc_lo, exec_lo
	s_delay_alu instid0(SALU_CYCLE_1)
	s_or_b32 s25, s25, s27
.LBB212_26:                             ;   in Loop: Header=BB212_22 Depth=3
	s_or_b32 exec_lo, exec_lo, s26
	s_mov_b32 s26, -1
                                        ; implicit-def: $vgpr17
                                        ; implicit-def: $vgpr18
	s_and_saveexec_b32 s27, s25
	s_cbranch_execz .LBB212_21
; %bb.27:                               ;   in Loop: Header=BB212_22 Depth=3
	v_lshl_add_u32 v17, v15, 2, 0
	ds_load_b32 v18, v17
	s_wait_dscnt 0x0
	v_cmp_eq_u32_e32 vcc_lo, v18, v16
	s_or_not1_b32 s26, vcc_lo, exec_lo
	s_branch .LBB212_21
.LBB212_28:
	s_or_b32 exec_lo, exec_lo, s16
.LBB212_29:
	s_delay_alu instid0(SALU_CYCLE_1)
	s_and_not1_b32 vcc_lo, exec_lo, s2
	s_cbranch_vccnz .LBB212_32
; %bb.30:
	s_wait_kmcnt 0x0
	s_ashr_i32 s49, s48, 31
	v_mov_b32_e32 v1, 0
	s_lshl_b64 s[0:1], s[48:49], 3
	s_delay_alu instid0(SALU_CYCLE_1) | instskip(SKIP_4) | instid1(SALU_CYCLE_1)
	s_add_nc_u64 s[0:1], s[36:37], s[0:1]
	s_load_b128 s[4:7], s[0:1], 0x0
	s_wait_xcnt 0x0
	s_mov_b32 s1, 0
	s_mov_b32 s0, s47
	v_sub_nc_u64_e64 v[2:3], v[0:1], s[0:1]
	s_wait_kmcnt 0x0
	s_delay_alu instid0(VALU_DEP_1) | instskip(SKIP_2) | instid1(VALU_DEP_1)
	v_add_nc_u64_e32 v[2:3], s[4:5], v[2:3]
	s_sub_nc_u64 s[2:3], s[6:7], s[0:1]
	s_mov_b32 s0, exec_lo
	v_cmpx_gt_i64_e64 s[2:3], v[2:3]
	s_cbranch_execnz .LBB212_102
.LBB212_31:
	s_or_b32 exec_lo, exec_lo, s0
.LBB212_32:
	v_mbcnt_lo_u32_b32 v1, -1, 0
	v_lshrrev_b32_e32 v2, 3, v0
	s_wait_xcnt 0x0
	v_cmp_lt_u32_e64 s0, 31, v0
	v_cmp_lt_u32_e64 s1, 63, v0
	;; [unrolled: 1-line block ×3, first 2 shown]
	v_xor_b32_e32 v3, 31, v1
	v_and_b32_e32 v4, 0x7c, v2
	v_mov_b32_e32 v1, 0
	v_cmp_lt_u32_e64 s3, 0x7f, v0
	v_cmp_lt_u32_e64 s4, 0x9f, v0
	v_lshrrev_b32_e64 v2, v3, -1
	v_add3_u32 v3, 0x18000, 0, v4
	v_cmp_lt_u32_e64 s5, 0xbf, v0
	v_cmp_lt_u32_e64 s6, 0xdf, v0
	;; [unrolled: 1-line block ×26, first 2 shown]
	v_add3_u32 v6, v13, 0, 0x8000
	v_or_b32_e32 v7, 0xfffffc00, v0
	s_mov_b32 s36, 0
	s_add_co_i32 s37, 0, 0x18000
	s_add_co_i32 s38, 0, 0x18004
	;; [unrolled: 1-line block ×32, first 2 shown]
	s_wait_dscnt 0x0
	s_barrier_signal -1
	s_barrier_wait -1
	v_cmp_eq_u32_e32 vcc_lo, 0x3ff, v0
	s_branch .LBB212_34
.LBB212_33:                             ;   in Loop: Header=BB212_34 Depth=1
	s_or_b32 exec_lo, exec_lo, s31
	v_dual_mov_b32 v4, s72 :: v_dual_add_nc_u32 v7, 0x400, v7
	s_wait_dscnt 0x0
	s_barrier_signal -1
	s_barrier_wait -1
	ds_load_b32 v4, v4
	v_cmp_lt_u32_e64 s31, 0x1bff, v7
	v_add_nc_u32_e32 v6, 0x2000, v6
	v_add_nc_u32_e32 v12, 0x1000, v12
	s_or_b32 s36, s31, s36
	s_wait_dscnt 0x0
	v_add_nc_u32_e32 v1, v4, v1
	s_and_not1_b32 exec_lo, exec_lo, s36
	s_cbranch_execz .LBB212_111
.LBB212_34:                             ; =>This Inner Loop Header: Depth=1
	ds_load_b32 v8, v12
	ds_load_2addr_b32 v[4:5], v6 offset1:1
	s_wait_dscnt 0x0
	s_barrier_signal -1
	s_barrier_wait -1
	v_cmp_gt_i32_e64 s31, s33, v8
	s_bcnt1_i32_b32 s73, s31
	s_delay_alu instid0(SALU_CYCLE_1) | instskip(NEXT) | instid1(VALU_DEP_1)
	v_dual_mov_b32 v10, s73 :: v_dual_bitop2_b32 v9, s31, v2 bitop3:0x40
	v_bcnt_u32_b32 v9, v9, 0
	ds_store_b32 v3, v10
	s_wait_dscnt 0x0
	s_barrier_signal -1
	s_barrier_wait -1
	s_and_saveexec_b32 s73, s0
	s_cbranch_execz .LBB212_67
; %bb.35:                               ;   in Loop: Header=BB212_34 Depth=1
	v_mov_b32_e32 v10, s37
	ds_load_b32 v10, v10
	s_wait_dscnt 0x0
	v_add_nc_u32_e32 v9, v10, v9
	s_or_b32 exec_lo, exec_lo, s73
	s_and_saveexec_b32 s73, s1
	s_cbranch_execnz .LBB212_68
.LBB212_36:                             ;   in Loop: Header=BB212_34 Depth=1
	s_or_b32 exec_lo, exec_lo, s73
	s_and_saveexec_b32 s73, s2
	s_cbranch_execz .LBB212_69
.LBB212_37:                             ;   in Loop: Header=BB212_34 Depth=1
	v_mov_b32_e32 v10, s39
	ds_load_b32 v10, v10
	s_wait_dscnt 0x0
	v_add_nc_u32_e32 v9, v10, v9
	s_or_b32 exec_lo, exec_lo, s73
	s_and_saveexec_b32 s73, s3
	s_cbranch_execnz .LBB212_70
.LBB212_38:                             ;   in Loop: Header=BB212_34 Depth=1
	s_or_b32 exec_lo, exec_lo, s73
	s_and_saveexec_b32 s73, s4
	s_cbranch_execz .LBB212_71
.LBB212_39:                             ;   in Loop: Header=BB212_34 Depth=1
	v_mov_b32_e32 v10, s41
	ds_load_b32 v10, v10
	s_wait_dscnt 0x0
	v_add_nc_u32_e32 v9, v10, v9
	s_or_b32 exec_lo, exec_lo, s73
	s_and_saveexec_b32 s73, s5
	s_cbranch_execnz .LBB212_72
.LBB212_40:                             ;   in Loop: Header=BB212_34 Depth=1
	s_or_b32 exec_lo, exec_lo, s73
	s_and_saveexec_b32 s73, s6
	s_cbranch_execz .LBB212_73
.LBB212_41:                             ;   in Loop: Header=BB212_34 Depth=1
	v_mov_b32_e32 v10, s45
	ds_load_b32 v10, v10
	s_wait_dscnt 0x0
	v_add_nc_u32_e32 v9, v10, v9
	s_or_b32 exec_lo, exec_lo, s73
	s_and_saveexec_b32 s73, s7
	s_cbranch_execnz .LBB212_74
.LBB212_42:                             ;   in Loop: Header=BB212_34 Depth=1
	s_or_b32 exec_lo, exec_lo, s73
	s_and_saveexec_b32 s73, s8
	s_cbranch_execz .LBB212_75
.LBB212_43:                             ;   in Loop: Header=BB212_34 Depth=1
	v_mov_b32_e32 v10, s49
	ds_load_b32 v10, v10
	s_wait_dscnt 0x0
	v_add_nc_u32_e32 v9, v10, v9
	s_or_b32 exec_lo, exec_lo, s73
	s_and_saveexec_b32 s73, s9
	s_cbranch_execnz .LBB212_76
.LBB212_44:                             ;   in Loop: Header=BB212_34 Depth=1
	s_or_b32 exec_lo, exec_lo, s73
	s_and_saveexec_b32 s73, s10
	s_cbranch_execz .LBB212_77
.LBB212_45:                             ;   in Loop: Header=BB212_34 Depth=1
	v_mov_b32_e32 v10, s51
	ds_load_b32 v10, v10
	s_wait_dscnt 0x0
	v_add_nc_u32_e32 v9, v10, v9
	s_or_b32 exec_lo, exec_lo, s73
	s_and_saveexec_b32 s73, s11
	s_cbranch_execnz .LBB212_78
.LBB212_46:                             ;   in Loop: Header=BB212_34 Depth=1
	s_or_b32 exec_lo, exec_lo, s73
	s_and_saveexec_b32 s73, s12
	s_cbranch_execz .LBB212_79
.LBB212_47:                             ;   in Loop: Header=BB212_34 Depth=1
	v_mov_b32_e32 v10, s53
	ds_load_b32 v10, v10
	s_wait_dscnt 0x0
	v_add_nc_u32_e32 v9, v10, v9
	s_or_b32 exec_lo, exec_lo, s73
	s_and_saveexec_b32 s73, s13
	s_cbranch_execnz .LBB212_80
.LBB212_48:                             ;   in Loop: Header=BB212_34 Depth=1
	s_or_b32 exec_lo, exec_lo, s73
	s_and_saveexec_b32 s73, s14
	s_cbranch_execz .LBB212_81
.LBB212_49:                             ;   in Loop: Header=BB212_34 Depth=1
	v_mov_b32_e32 v10, s55
	ds_load_b32 v10, v10
	s_wait_dscnt 0x0
	v_add_nc_u32_e32 v9, v10, v9
	s_or_b32 exec_lo, exec_lo, s73
	s_and_saveexec_b32 s73, s15
	s_cbranch_execnz .LBB212_82
.LBB212_50:                             ;   in Loop: Header=BB212_34 Depth=1
	s_or_b32 exec_lo, exec_lo, s73
	s_and_saveexec_b32 s73, s16
	s_cbranch_execz .LBB212_83
.LBB212_51:                             ;   in Loop: Header=BB212_34 Depth=1
	v_mov_b32_e32 v10, s57
	ds_load_b32 v10, v10
	s_wait_dscnt 0x0
	v_add_nc_u32_e32 v9, v10, v9
	s_or_b32 exec_lo, exec_lo, s73
	s_and_saveexec_b32 s73, s17
	s_cbranch_execnz .LBB212_84
.LBB212_52:                             ;   in Loop: Header=BB212_34 Depth=1
	s_or_b32 exec_lo, exec_lo, s73
	s_and_saveexec_b32 s73, s18
	s_cbranch_execz .LBB212_85
.LBB212_53:                             ;   in Loop: Header=BB212_34 Depth=1
	v_mov_b32_e32 v10, s59
	ds_load_b32 v10, v10
	s_wait_dscnt 0x0
	v_add_nc_u32_e32 v9, v10, v9
	s_or_b32 exec_lo, exec_lo, s73
	s_and_saveexec_b32 s73, s19
	s_cbranch_execnz .LBB212_86
.LBB212_54:                             ;   in Loop: Header=BB212_34 Depth=1
	s_or_b32 exec_lo, exec_lo, s73
	s_and_saveexec_b32 s73, s20
	s_cbranch_execz .LBB212_87
.LBB212_55:                             ;   in Loop: Header=BB212_34 Depth=1
	v_mov_b32_e32 v10, s61
	ds_load_b32 v10, v10
	s_wait_dscnt 0x0
	v_add_nc_u32_e32 v9, v10, v9
	s_or_b32 exec_lo, exec_lo, s73
	s_and_saveexec_b32 s73, s21
	s_cbranch_execnz .LBB212_88
.LBB212_56:                             ;   in Loop: Header=BB212_34 Depth=1
	s_or_b32 exec_lo, exec_lo, s73
	s_and_saveexec_b32 s73, s22
	s_cbranch_execz .LBB212_89
.LBB212_57:                             ;   in Loop: Header=BB212_34 Depth=1
	v_mov_b32_e32 v10, s63
	ds_load_b32 v10, v10
	s_wait_dscnt 0x0
	v_add_nc_u32_e32 v9, v10, v9
	s_or_b32 exec_lo, exec_lo, s73
	s_and_saveexec_b32 s73, s23
	s_cbranch_execnz .LBB212_90
.LBB212_58:                             ;   in Loop: Header=BB212_34 Depth=1
	s_or_b32 exec_lo, exec_lo, s73
	s_and_saveexec_b32 s73, s24
	s_cbranch_execz .LBB212_91
.LBB212_59:                             ;   in Loop: Header=BB212_34 Depth=1
	v_mov_b32_e32 v10, s65
	ds_load_b32 v10, v10
	s_wait_dscnt 0x0
	v_add_nc_u32_e32 v9, v10, v9
	s_or_b32 exec_lo, exec_lo, s73
	s_and_saveexec_b32 s73, s25
	s_cbranch_execnz .LBB212_92
.LBB212_60:                             ;   in Loop: Header=BB212_34 Depth=1
	s_or_b32 exec_lo, exec_lo, s73
	s_and_saveexec_b32 s73, s26
	s_cbranch_execz .LBB212_93
.LBB212_61:                             ;   in Loop: Header=BB212_34 Depth=1
	v_mov_b32_e32 v10, s67
	ds_load_b32 v10, v10
	s_wait_dscnt 0x0
	v_add_nc_u32_e32 v9, v10, v9
	s_or_b32 exec_lo, exec_lo, s73
	s_and_saveexec_b32 s73, s27
	s_cbranch_execnz .LBB212_94
.LBB212_62:                             ;   in Loop: Header=BB212_34 Depth=1
	s_or_b32 exec_lo, exec_lo, s73
	s_and_saveexec_b32 s73, s28
	s_cbranch_execz .LBB212_95
.LBB212_63:                             ;   in Loop: Header=BB212_34 Depth=1
	v_mov_b32_e32 v10, s69
	ds_load_b32 v10, v10
	s_wait_dscnt 0x0
	v_add_nc_u32_e32 v9, v10, v9
	s_or_b32 exec_lo, exec_lo, s73
	s_and_saveexec_b32 s73, s29
	s_cbranch_execnz .LBB212_96
.LBB212_64:                             ;   in Loop: Header=BB212_34 Depth=1
	s_or_b32 exec_lo, exec_lo, s73
	s_and_saveexec_b32 s73, s30
	s_cbranch_execz .LBB212_97
.LBB212_65:                             ;   in Loop: Header=BB212_34 Depth=1
	v_mov_b32_e32 v10, s71
	ds_load_b32 v10, v10
	s_wait_dscnt 0x0
	v_add_nc_u32_e32 v9, v10, v9
	s_or_b32 exec_lo, exec_lo, s73
	s_and_saveexec_b32 s73, s31
	s_cbranch_execnz .LBB212_98
.LBB212_66:                             ;   in Loop: Header=BB212_34 Depth=1
	s_or_b32 exec_lo, exec_lo, s73
	s_and_saveexec_b32 s31, vcc_lo
	s_cbranch_execz .LBB212_33
	s_branch .LBB212_99
.LBB212_67:                             ;   in Loop: Header=BB212_34 Depth=1
	s_or_b32 exec_lo, exec_lo, s73
	s_and_saveexec_b32 s73, s1
	s_cbranch_execz .LBB212_36
.LBB212_68:                             ;   in Loop: Header=BB212_34 Depth=1
	v_mov_b32_e32 v10, s38
	ds_load_b32 v10, v10
	s_wait_dscnt 0x0
	v_add_nc_u32_e32 v9, v10, v9
	s_or_b32 exec_lo, exec_lo, s73
	s_and_saveexec_b32 s73, s2
	s_cbranch_execnz .LBB212_37
.LBB212_69:                             ;   in Loop: Header=BB212_34 Depth=1
	s_or_b32 exec_lo, exec_lo, s73
	s_and_saveexec_b32 s73, s3
	s_cbranch_execz .LBB212_38
.LBB212_70:                             ;   in Loop: Header=BB212_34 Depth=1
	v_mov_b32_e32 v10, s40
	ds_load_b32 v10, v10
	s_wait_dscnt 0x0
	v_add_nc_u32_e32 v9, v10, v9
	s_or_b32 exec_lo, exec_lo, s73
	s_and_saveexec_b32 s73, s4
	s_cbranch_execnz .LBB212_39
.LBB212_71:                             ;   in Loop: Header=BB212_34 Depth=1
	s_or_b32 exec_lo, exec_lo, s73
	s_and_saveexec_b32 s73, s5
	s_cbranch_execz .LBB212_40
.LBB212_72:                             ;   in Loop: Header=BB212_34 Depth=1
	v_mov_b32_e32 v10, s44
	ds_load_b32 v10, v10
	s_wait_dscnt 0x0
	v_add_nc_u32_e32 v9, v10, v9
	s_or_b32 exec_lo, exec_lo, s73
	s_and_saveexec_b32 s73, s6
	s_cbranch_execnz .LBB212_41
.LBB212_73:                             ;   in Loop: Header=BB212_34 Depth=1
	s_or_b32 exec_lo, exec_lo, s73
	s_and_saveexec_b32 s73, s7
	s_cbranch_execz .LBB212_42
.LBB212_74:                             ;   in Loop: Header=BB212_34 Depth=1
	v_mov_b32_e32 v10, s47
	ds_load_b32 v10, v10
	s_wait_dscnt 0x0
	v_add_nc_u32_e32 v9, v10, v9
	s_or_b32 exec_lo, exec_lo, s73
	s_and_saveexec_b32 s73, s8
	s_cbranch_execnz .LBB212_43
.LBB212_75:                             ;   in Loop: Header=BB212_34 Depth=1
	s_or_b32 exec_lo, exec_lo, s73
	s_and_saveexec_b32 s73, s9
	s_cbranch_execz .LBB212_44
.LBB212_76:                             ;   in Loop: Header=BB212_34 Depth=1
	v_mov_b32_e32 v10, s50
	ds_load_b32 v10, v10
	s_wait_dscnt 0x0
	v_add_nc_u32_e32 v9, v10, v9
	s_or_b32 exec_lo, exec_lo, s73
	s_and_saveexec_b32 s73, s10
	s_cbranch_execnz .LBB212_45
.LBB212_77:                             ;   in Loop: Header=BB212_34 Depth=1
	s_or_b32 exec_lo, exec_lo, s73
	s_and_saveexec_b32 s73, s11
	s_cbranch_execz .LBB212_46
.LBB212_78:                             ;   in Loop: Header=BB212_34 Depth=1
	v_mov_b32_e32 v10, s52
	ds_load_b32 v10, v10
	s_wait_dscnt 0x0
	v_add_nc_u32_e32 v9, v10, v9
	s_or_b32 exec_lo, exec_lo, s73
	s_and_saveexec_b32 s73, s12
	s_cbranch_execnz .LBB212_47
.LBB212_79:                             ;   in Loop: Header=BB212_34 Depth=1
	s_or_b32 exec_lo, exec_lo, s73
	s_and_saveexec_b32 s73, s13
	s_cbranch_execz .LBB212_48
.LBB212_80:                             ;   in Loop: Header=BB212_34 Depth=1
	v_mov_b32_e32 v10, s54
	ds_load_b32 v10, v10
	s_wait_dscnt 0x0
	v_add_nc_u32_e32 v9, v10, v9
	s_or_b32 exec_lo, exec_lo, s73
	s_and_saveexec_b32 s73, s14
	s_cbranch_execnz .LBB212_49
.LBB212_81:                             ;   in Loop: Header=BB212_34 Depth=1
	s_or_b32 exec_lo, exec_lo, s73
	s_and_saveexec_b32 s73, s15
	s_cbranch_execz .LBB212_50
.LBB212_82:                             ;   in Loop: Header=BB212_34 Depth=1
	v_mov_b32_e32 v10, s56
	ds_load_b32 v10, v10
	s_wait_dscnt 0x0
	v_add_nc_u32_e32 v9, v10, v9
	s_or_b32 exec_lo, exec_lo, s73
	s_and_saveexec_b32 s73, s16
	s_cbranch_execnz .LBB212_51
.LBB212_83:                             ;   in Loop: Header=BB212_34 Depth=1
	s_or_b32 exec_lo, exec_lo, s73
	s_and_saveexec_b32 s73, s17
	s_cbranch_execz .LBB212_52
.LBB212_84:                             ;   in Loop: Header=BB212_34 Depth=1
	v_mov_b32_e32 v10, s58
	ds_load_b32 v10, v10
	s_wait_dscnt 0x0
	v_add_nc_u32_e32 v9, v10, v9
	s_or_b32 exec_lo, exec_lo, s73
	s_and_saveexec_b32 s73, s18
	s_cbranch_execnz .LBB212_53
.LBB212_85:                             ;   in Loop: Header=BB212_34 Depth=1
	s_or_b32 exec_lo, exec_lo, s73
	s_and_saveexec_b32 s73, s19
	s_cbranch_execz .LBB212_54
.LBB212_86:                             ;   in Loop: Header=BB212_34 Depth=1
	v_mov_b32_e32 v10, s60
	ds_load_b32 v10, v10
	s_wait_dscnt 0x0
	v_add_nc_u32_e32 v9, v10, v9
	s_or_b32 exec_lo, exec_lo, s73
	s_and_saveexec_b32 s73, s20
	s_cbranch_execnz .LBB212_55
.LBB212_87:                             ;   in Loop: Header=BB212_34 Depth=1
	s_or_b32 exec_lo, exec_lo, s73
	s_and_saveexec_b32 s73, s21
	s_cbranch_execz .LBB212_56
.LBB212_88:                             ;   in Loop: Header=BB212_34 Depth=1
	v_mov_b32_e32 v10, s62
	ds_load_b32 v10, v10
	s_wait_dscnt 0x0
	v_add_nc_u32_e32 v9, v10, v9
	s_or_b32 exec_lo, exec_lo, s73
	s_and_saveexec_b32 s73, s22
	s_cbranch_execnz .LBB212_57
.LBB212_89:                             ;   in Loop: Header=BB212_34 Depth=1
	s_or_b32 exec_lo, exec_lo, s73
	s_and_saveexec_b32 s73, s23
	s_cbranch_execz .LBB212_58
.LBB212_90:                             ;   in Loop: Header=BB212_34 Depth=1
	v_mov_b32_e32 v10, s64
	ds_load_b32 v10, v10
	s_wait_dscnt 0x0
	v_add_nc_u32_e32 v9, v10, v9
	s_or_b32 exec_lo, exec_lo, s73
	s_and_saveexec_b32 s73, s24
	s_cbranch_execnz .LBB212_59
.LBB212_91:                             ;   in Loop: Header=BB212_34 Depth=1
	s_or_b32 exec_lo, exec_lo, s73
	s_and_saveexec_b32 s73, s25
	s_cbranch_execz .LBB212_60
.LBB212_92:                             ;   in Loop: Header=BB212_34 Depth=1
	v_mov_b32_e32 v10, s66
	ds_load_b32 v10, v10
	s_wait_dscnt 0x0
	v_add_nc_u32_e32 v9, v10, v9
	s_or_b32 exec_lo, exec_lo, s73
	s_and_saveexec_b32 s73, s26
	s_cbranch_execnz .LBB212_61
.LBB212_93:                             ;   in Loop: Header=BB212_34 Depth=1
	s_or_b32 exec_lo, exec_lo, s73
	s_and_saveexec_b32 s73, s27
	s_cbranch_execz .LBB212_62
.LBB212_94:                             ;   in Loop: Header=BB212_34 Depth=1
	v_mov_b32_e32 v10, s68
	ds_load_b32 v10, v10
	s_wait_dscnt 0x0
	v_add_nc_u32_e32 v9, v10, v9
	s_or_b32 exec_lo, exec_lo, s73
	s_and_saveexec_b32 s73, s28
	s_cbranch_execnz .LBB212_63
.LBB212_95:                             ;   in Loop: Header=BB212_34 Depth=1
	s_or_b32 exec_lo, exec_lo, s73
	s_and_saveexec_b32 s73, s29
	s_cbranch_execz .LBB212_64
.LBB212_96:                             ;   in Loop: Header=BB212_34 Depth=1
	v_mov_b32_e32 v10, s70
	ds_load_b32 v10, v10
	s_wait_dscnt 0x0
	v_add_nc_u32_e32 v9, v10, v9
	s_or_b32 exec_lo, exec_lo, s73
	s_and_saveexec_b32 s73, s30
	s_cbranch_execnz .LBB212_65
.LBB212_97:                             ;   in Loop: Header=BB212_34 Depth=1
	s_or_b32 exec_lo, exec_lo, s73
	s_and_saveexec_b32 s73, s31
	s_cbranch_execz .LBB212_66
.LBB212_98:                             ;   in Loop: Header=BB212_34 Depth=1
	s_delay_alu instid0(VALU_DEP_1) | instskip(SKIP_1) | instid1(VALU_DEP_2)
	v_add3_u32 v10, v1, -1, v9
	v_add_lshl_u32 v11, v1, v9, 3
	v_lshl_add_u32 v10, v10, 2, 0
	s_delay_alu instid0(VALU_DEP_2)
	v_add3_u32 v11, 0, v11, 0x7ff8
	ds_store_b32 v10, v8
	ds_store_2addr_b32 v11, v4, v5 offset1:1
	s_or_b32 exec_lo, exec_lo, s73
	s_and_saveexec_b32 s31, vcc_lo
	s_cbranch_execz .LBB212_33
.LBB212_99:                             ;   in Loop: Header=BB212_34 Depth=1
	v_mov_b32_e32 v4, s72
	ds_store_b32 v4, v9
	s_branch .LBB212_33
.LBB212_100:                            ;   in Loop: Header=BB212_102 Depth=1
	s_or_b32 exec_lo, exec_lo, s5
.LBB212_101:                            ;   in Loop: Header=BB212_102 Depth=1
	s_delay_alu instid0(SALU_CYCLE_1)
	s_or_b32 exec_lo, exec_lo, s4
	s_wait_loadcnt 0x0
	v_mul_f32_e64 v6, v5, -s23
	v_mul_f32_e32 v5, s22, v5
	v_lshl_add_u32 v1, v1, 3, 0
	v_add_nc_u64_e32 v[2:3], 0x400, v[2:3]
	s_delay_alu instid0(VALU_DEP_3) | instskip(SKIP_4) | instid1(SALU_CYCLE_1)
	v_dual_fmac_f32 v6, s22, v4 :: v_dual_fmac_f32 v5, s23, v4
	ds_add_f32 v1, v6 offset:32768
	ds_add_f32 v1, v5 offset:32772
	v_cmp_le_i64_e32 vcc_lo, s[2:3], v[2:3]
	s_or_b32 s1, vcc_lo, s1
	s_and_not1_b32 exec_lo, exec_lo, s1
	s_cbranch_execz .LBB212_31
.LBB212_102:                            ; =>This Loop Header: Depth=1
                                        ;     Child Loop BB212_105 Depth 2
	v_lshl_add_u64 v[4:5], v[2:3], 2, s[38:39]
	s_mov_b32 s4, exec_lo
	global_load_b32 v1, v[4:5], off
	s_wait_xcnt 0x0
	v_lshl_add_u64 v[4:5], v[2:3], 3, s[40:41]
	global_load_b64 v[4:5], v[4:5], off
	s_wait_loadcnt 0x1
	v_subrev_nc_u32_e32 v6, s47, v1
	s_delay_alu instid0(VALU_DEP_1) | instskip(NEXT) | instid1(VALU_DEP_1)
	v_mul_lo_u32 v1, 0x89, v6
	v_and_b32_e32 v1, 0x1fff, v1
	s_delay_alu instid0(VALU_DEP_1)
	v_lshl_add_u32 v7, v1, 2, 0
	ds_load_b32 v8, v7
	s_wait_dscnt 0x0
	s_wait_xcnt 0x0
	v_cmpx_ne_u32_e64 v8, v6
	s_cbranch_execz .LBB212_101
; %bb.103:                              ;   in Loop: Header=BB212_102 Depth=1
	s_mov_b32 s5, 0
	s_branch .LBB212_105
.LBB212_104:                            ;   in Loop: Header=BB212_105 Depth=2
	s_or_b32 exec_lo, exec_lo, s8
	s_delay_alu instid0(SALU_CYCLE_1) | instskip(NEXT) | instid1(SALU_CYCLE_1)
	s_and_b32 s6, exec_lo, s7
	s_or_b32 s5, s6, s5
	s_delay_alu instid0(SALU_CYCLE_1)
	s_and_not1_b32 exec_lo, exec_lo, s5
	s_cbranch_execz .LBB212_100
.LBB212_105:                            ;   Parent Loop BB212_102 Depth=1
                                        ; =>  This Inner Loop Header: Depth=2
	s_mov_b32 s6, 0
	s_mov_b32 s7, exec_lo
	v_cmpx_ne_u32_e64 s33, v8
	s_xor_b32 s7, exec_lo, s7
	s_cbranch_execz .LBB212_107
; %bb.106:                              ;   in Loop: Header=BB212_105 Depth=2
	v_add_nc_u32_e32 v1, 1, v1
	s_mov_b32 s6, exec_lo
                                        ; implicit-def: $vgpr7
	s_delay_alu instid0(VALU_DEP_1)
	v_and_b32_e32 v1, 0x1fff, v1
	s_and_not1_saveexec_b32 s7, s7
	s_cbranch_execz .LBB212_109
	s_branch .LBB212_108
.LBB212_107:                            ;   in Loop: Header=BB212_105 Depth=2
	s_and_not1_saveexec_b32 s7, s7
	s_cbranch_execz .LBB212_109
.LBB212_108:                            ;   in Loop: Header=BB212_105 Depth=2
	v_mov_b32_e32 v8, s33
	s_and_not1_b32 s6, s6, exec_lo
	ds_cmpstore_rtn_b32 v7, v7, v6, v8
	s_wait_dscnt 0x0
	v_cmp_ne_u32_e32 vcc_lo, s33, v7
	s_and_b32 s8, vcc_lo, exec_lo
	s_delay_alu instid0(SALU_CYCLE_1)
	s_or_b32 s6, s6, s8
.LBB212_109:                            ;   in Loop: Header=BB212_105 Depth=2
	s_or_b32 exec_lo, exec_lo, s7
	s_mov_b32 s7, -1
                                        ; implicit-def: $vgpr7
                                        ; implicit-def: $vgpr8
	s_and_saveexec_b32 s8, s6
	s_cbranch_execz .LBB212_104
; %bb.110:                              ;   in Loop: Header=BB212_105 Depth=2
	v_lshl_add_u32 v7, v1, 2, 0
	ds_load_b32 v8, v7
	s_wait_dscnt 0x0
	v_cmp_eq_u32_e32 vcc_lo, v8, v6
	s_or_not1_b32 s7, vcc_lo, exec_lo
	s_branch .LBB212_104
.LBB212_111:
	s_or_b32 exec_lo, exec_lo, s36
	s_wait_kmcnt 0x0
	s_ashr_i32 s49, s48, 31
	s_delay_alu instid0(SALU_CYCLE_1) | instskip(NEXT) | instid1(SALU_CYCLE_1)
	s_lshl_b64 s[0:1], s[48:49], 3
	s_add_nc_u64 s[4:5], s[42:43], s[0:1]
	s_load_b128 s[0:3], s[4:5], 0x0
	s_wait_xcnt 0x0
	s_mov_b32 s4, exec_lo
	s_wait_kmcnt 0x0
	s_sub_co_i32 s3, s2, s0
	s_delay_alu instid0(SALU_CYCLE_1)
	v_cmpx_gt_i32_e64 s3, v0
	s_cbranch_execz .LBB212_121
; %bb.112:
	s_sub_co_i32 s4, s0, s2
	s_and_b32 s2, s3, 7
	s_cmp_lt_u32 s4, -7
	s_mov_b32 s47, 0
	s_cselect_b32 s4, -1, 0
	s_and_b32 s5, s3, -8
	s_cmp_lg_u32 s2, 0
	s_sub_nc_u64 s[0:1], s[0:1], s[46:47]
	s_cselect_b32 s6, -1, 0
	s_mov_b32 s7, 0
	s_branch .LBB212_114
.LBB212_113:                            ;   in Loop: Header=BB212_114 Depth=1
	v_add_nc_u32_e32 v0, 0x400, v0
	s_delay_alu instid0(VALU_DEP_2) | instskip(NEXT) | instid1(VALU_DEP_2)
	v_lshl_add_u64 v[4:5], v[4:5], 3, s[34:35]
	v_cmp_le_i32_e32 vcc_lo, s3, v0
	s_wait_dscnt 0x0
	global_store_b64 v[4:5], v[2:3], off
	s_or_b32 s7, vcc_lo, s7
	s_wait_xcnt 0x0
	s_and_not1_b32 exec_lo, exec_lo, s7
	s_cbranch_execz .LBB212_121
.LBB212_114:                            ; =>This Loop Header: Depth=1
                                        ;     Child Loop BB212_116 Depth 2
                                        ;     Child Loop BB212_120 Depth 2
	v_lshlrev_b32_e32 v1, 2, v0
	v_mov_b64_e32 v[4:5], s[0:1]
	s_and_not1_b32 vcc_lo, exec_lo, s4
	s_mov_b32 s8, 0
	s_delay_alu instid0(VALU_DEP_2) | instskip(NEXT) | instid1(VALU_DEP_1)
	v_add_nc_u32_e32 v2, 0, v1
	v_add3_u32 v3, v2, v1, 0x8000
	ds_load_b32 v1, v2
	ds_load_2addr_b32 v[2:3], v3 offset1:1
	s_cbranch_vccnz .LBB212_118
; %bb.115:                              ;   in Loop: Header=BB212_114 Depth=1
	v_mov_b64_e32 v[4:5], s[0:1]
	s_mov_b32 s9, 0
.LBB212_116:                            ;   Parent Loop BB212_114 Depth=1
                                        ; =>  This Inner Loop Header: Depth=2
	s_delay_alu instid0(SALU_CYCLE_1)
	v_dual_mov_b32 v10, s9 :: v_dual_mov_b32 v11, s47
	v_mov_b32_e32 v17, s47
	s_add_co_i32 s8, s8, 8
	s_add_co_i32 s9, s9, 32
	ds_load_2addr_b32 v[6:7], v10 offset1:1
	ds_load_2addr_b32 v[8:9], v10 offset0:2 offset1:3
	ds_load_2addr_b32 v[12:13], v10 offset0:4 offset1:5
	;; [unrolled: 1-line block ×3, first 2 shown]
	s_cmp_eq_u32 s5, s8
	s_wait_dscnt 0x3
	v_cmp_gt_i32_e32 vcc_lo, v1, v6
	v_cndmask_b32_e64 v10, 0, 1, vcc_lo
	v_cmp_gt_i32_e32 vcc_lo, v1, v7
	v_mov_b32_e32 v7, s47
	s_delay_alu instid0(VALU_DEP_3) | instskip(SKIP_4) | instid1(VALU_DEP_3)
	v_add_nc_u64_e32 v[4:5], v[4:5], v[10:11]
	v_cndmask_b32_e64 v16, 0, 1, vcc_lo
	s_wait_dscnt 0x2
	v_cmp_gt_i32_e32 vcc_lo, v1, v8
	v_cndmask_b32_e64 v6, 0, 1, vcc_lo
	v_add_nc_u64_e32 v[4:5], v[4:5], v[16:17]
	v_cmp_gt_i32_e32 vcc_lo, v1, v9
	v_mov_b32_e32 v9, s47
	v_cndmask_b32_e64 v10, 0, 1, vcc_lo
	s_delay_alu instid0(VALU_DEP_4) | instskip(SKIP_3) | instid1(VALU_DEP_3)
	v_add_nc_u64_e32 v[4:5], v[4:5], v[6:7]
	s_wait_dscnt 0x1
	v_cmp_gt_i32_e32 vcc_lo, v1, v12
	v_cndmask_b32_e64 v6, 0, 1, vcc_lo
	v_add_nc_u64_e32 v[4:5], v[4:5], v[10:11]
	v_cmp_gt_i32_e32 vcc_lo, v1, v13
	v_cndmask_b32_e64 v8, 0, 1, vcc_lo
	s_delay_alu instid0(VALU_DEP_3) | instskip(SKIP_3) | instid1(VALU_DEP_3)
	v_add_nc_u64_e32 v[4:5], v[4:5], v[6:7]
	s_wait_dscnt 0x0
	v_cmp_gt_i32_e32 vcc_lo, v1, v14
	v_cndmask_b32_e64 v6, 0, 1, vcc_lo
	v_add_nc_u64_e32 v[4:5], v[4:5], v[8:9]
	v_cmp_gt_i32_e32 vcc_lo, v1, v15
	v_cndmask_b32_e64 v8, 0, 1, vcc_lo
	s_delay_alu instid0(VALU_DEP_3) | instskip(NEXT) | instid1(VALU_DEP_1)
	v_add_nc_u64_e32 v[4:5], v[4:5], v[6:7]
	v_add_nc_u64_e32 v[4:5], v[4:5], v[8:9]
	s_cbranch_scc0 .LBB212_116
; %bb.117:                              ;   in Loop: Header=BB212_114 Depth=1
	s_mov_b32 s8, s5
.LBB212_118:                            ;   in Loop: Header=BB212_114 Depth=1
	s_and_not1_b32 vcc_lo, exec_lo, s6
	s_cbranch_vccnz .LBB212_113
; %bb.119:                              ;   in Loop: Header=BB212_114 Depth=1
	s_lshl_b32 s8, s8, 2
	s_mov_b32 s9, s2
	s_add_co_i32 s8, s8, 0
.LBB212_120:                            ;   Parent Loop BB212_114 Depth=1
                                        ; =>  This Inner Loop Header: Depth=2
	s_delay_alu instid0(SALU_CYCLE_1)
	v_dual_mov_b32 v6, s8 :: v_dual_mov_b32 v7, s47
	s_add_co_i32 s9, s9, -1
	s_add_co_i32 s8, s8, 4
	s_cmp_lg_u32 s9, 0
	ds_load_b32 v6, v6
	s_wait_dscnt 0x0
	v_cmp_gt_i32_e32 vcc_lo, v1, v6
	v_cndmask_b32_e64 v6, 0, 1, vcc_lo
	s_delay_alu instid0(VALU_DEP_1)
	v_add_nc_u64_e32 v[4:5], v[4:5], v[6:7]
	s_cbranch_scc1 .LBB212_120
	s_branch .LBB212_113
.LBB212_121:
	s_endpgm
	.section	.rodata,"a",@progbits
	.p2align	6, 0x0
	.amdhsa_kernel _ZN9rocsparseL41csrgemm_numeric_fill_block_per_row_kernelILj1024ELj64ELj8192ELj137ELj32Eli21rocsparse_complex_numIfEEEvT5_PKS3_S5_NS_24const_host_device_scalarIT6_EEPKT4_S5_PKS7_SB_S5_SD_S8_SB_S5_SD_SB_S5_PS7_21rocsparse_index_base_SF_SF_SF_bbb
		.amdhsa_group_segment_fixed_size 0
		.amdhsa_private_segment_fixed_size 0
		.amdhsa_kernarg_size 156
		.amdhsa_user_sgpr_count 2
		.amdhsa_user_sgpr_dispatch_ptr 0
		.amdhsa_user_sgpr_queue_ptr 0
		.amdhsa_user_sgpr_kernarg_segment_ptr 1
		.amdhsa_user_sgpr_dispatch_id 0
		.amdhsa_user_sgpr_kernarg_preload_length 0
		.amdhsa_user_sgpr_kernarg_preload_offset 0
		.amdhsa_user_sgpr_private_segment_size 0
		.amdhsa_wavefront_size32 1
		.amdhsa_uses_dynamic_stack 0
		.amdhsa_enable_private_segment 0
		.amdhsa_system_sgpr_workgroup_id_x 1
		.amdhsa_system_sgpr_workgroup_id_y 0
		.amdhsa_system_sgpr_workgroup_id_z 0
		.amdhsa_system_sgpr_workgroup_info 0
		.amdhsa_system_vgpr_workitem_id 0
		.amdhsa_next_free_vgpr 19
		.amdhsa_next_free_sgpr 74
		.amdhsa_named_barrier_count 0
		.amdhsa_reserve_vcc 1
		.amdhsa_float_round_mode_32 0
		.amdhsa_float_round_mode_16_64 0
		.amdhsa_float_denorm_mode_32 3
		.amdhsa_float_denorm_mode_16_64 3
		.amdhsa_fp16_overflow 0
		.amdhsa_memory_ordered 1
		.amdhsa_forward_progress 1
		.amdhsa_inst_pref_size 37
		.amdhsa_round_robin_scheduling 0
		.amdhsa_exception_fp_ieee_invalid_op 0
		.amdhsa_exception_fp_denorm_src 0
		.amdhsa_exception_fp_ieee_div_zero 0
		.amdhsa_exception_fp_ieee_overflow 0
		.amdhsa_exception_fp_ieee_underflow 0
		.amdhsa_exception_fp_ieee_inexact 0
		.amdhsa_exception_int_div_zero 0
	.end_amdhsa_kernel
	.section	.text._ZN9rocsparseL41csrgemm_numeric_fill_block_per_row_kernelILj1024ELj64ELj8192ELj137ELj32Eli21rocsparse_complex_numIfEEEvT5_PKS3_S5_NS_24const_host_device_scalarIT6_EEPKT4_S5_PKS7_SB_S5_SD_S8_SB_S5_SD_SB_S5_PS7_21rocsparse_index_base_SF_SF_SF_bbb,"axG",@progbits,_ZN9rocsparseL41csrgemm_numeric_fill_block_per_row_kernelILj1024ELj64ELj8192ELj137ELj32Eli21rocsparse_complex_numIfEEEvT5_PKS3_S5_NS_24const_host_device_scalarIT6_EEPKT4_S5_PKS7_SB_S5_SD_S8_SB_S5_SD_SB_S5_PS7_21rocsparse_index_base_SF_SF_SF_bbb,comdat
.Lfunc_end212:
	.size	_ZN9rocsparseL41csrgemm_numeric_fill_block_per_row_kernelILj1024ELj64ELj8192ELj137ELj32Eli21rocsparse_complex_numIfEEEvT5_PKS3_S5_NS_24const_host_device_scalarIT6_EEPKT4_S5_PKS7_SB_S5_SD_S8_SB_S5_SD_SB_S5_PS7_21rocsparse_index_base_SF_SF_SF_bbb, .Lfunc_end212-_ZN9rocsparseL41csrgemm_numeric_fill_block_per_row_kernelILj1024ELj64ELj8192ELj137ELj32Eli21rocsparse_complex_numIfEEEvT5_PKS3_S5_NS_24const_host_device_scalarIT6_EEPKT4_S5_PKS7_SB_S5_SD_S8_SB_S5_SD_SB_S5_PS7_21rocsparse_index_base_SF_SF_SF_bbb
                                        ; -- End function
	.set _ZN9rocsparseL41csrgemm_numeric_fill_block_per_row_kernelILj1024ELj64ELj8192ELj137ELj32Eli21rocsparse_complex_numIfEEEvT5_PKS3_S5_NS_24const_host_device_scalarIT6_EEPKT4_S5_PKS7_SB_S5_SD_S8_SB_S5_SD_SB_S5_PS7_21rocsparse_index_base_SF_SF_SF_bbb.num_vgpr, 19
	.set _ZN9rocsparseL41csrgemm_numeric_fill_block_per_row_kernelILj1024ELj64ELj8192ELj137ELj32Eli21rocsparse_complex_numIfEEEvT5_PKS3_S5_NS_24const_host_device_scalarIT6_EEPKT4_S5_PKS7_SB_S5_SD_S8_SB_S5_SD_SB_S5_PS7_21rocsparse_index_base_SF_SF_SF_bbb.num_agpr, 0
	.set _ZN9rocsparseL41csrgemm_numeric_fill_block_per_row_kernelILj1024ELj64ELj8192ELj137ELj32Eli21rocsparse_complex_numIfEEEvT5_PKS3_S5_NS_24const_host_device_scalarIT6_EEPKT4_S5_PKS7_SB_S5_SD_S8_SB_S5_SD_SB_S5_PS7_21rocsparse_index_base_SF_SF_SF_bbb.numbered_sgpr, 74
	.set _ZN9rocsparseL41csrgemm_numeric_fill_block_per_row_kernelILj1024ELj64ELj8192ELj137ELj32Eli21rocsparse_complex_numIfEEEvT5_PKS3_S5_NS_24const_host_device_scalarIT6_EEPKT4_S5_PKS7_SB_S5_SD_S8_SB_S5_SD_SB_S5_PS7_21rocsparse_index_base_SF_SF_SF_bbb.num_named_barrier, 0
	.set _ZN9rocsparseL41csrgemm_numeric_fill_block_per_row_kernelILj1024ELj64ELj8192ELj137ELj32Eli21rocsparse_complex_numIfEEEvT5_PKS3_S5_NS_24const_host_device_scalarIT6_EEPKT4_S5_PKS7_SB_S5_SD_S8_SB_S5_SD_SB_S5_PS7_21rocsparse_index_base_SF_SF_SF_bbb.private_seg_size, 0
	.set _ZN9rocsparseL41csrgemm_numeric_fill_block_per_row_kernelILj1024ELj64ELj8192ELj137ELj32Eli21rocsparse_complex_numIfEEEvT5_PKS3_S5_NS_24const_host_device_scalarIT6_EEPKT4_S5_PKS7_SB_S5_SD_S8_SB_S5_SD_SB_S5_PS7_21rocsparse_index_base_SF_SF_SF_bbb.uses_vcc, 1
	.set _ZN9rocsparseL41csrgemm_numeric_fill_block_per_row_kernelILj1024ELj64ELj8192ELj137ELj32Eli21rocsparse_complex_numIfEEEvT5_PKS3_S5_NS_24const_host_device_scalarIT6_EEPKT4_S5_PKS7_SB_S5_SD_S8_SB_S5_SD_SB_S5_PS7_21rocsparse_index_base_SF_SF_SF_bbb.uses_flat_scratch, 0
	.set _ZN9rocsparseL41csrgemm_numeric_fill_block_per_row_kernelILj1024ELj64ELj8192ELj137ELj32Eli21rocsparse_complex_numIfEEEvT5_PKS3_S5_NS_24const_host_device_scalarIT6_EEPKT4_S5_PKS7_SB_S5_SD_S8_SB_S5_SD_SB_S5_PS7_21rocsparse_index_base_SF_SF_SF_bbb.has_dyn_sized_stack, 0
	.set _ZN9rocsparseL41csrgemm_numeric_fill_block_per_row_kernelILj1024ELj64ELj8192ELj137ELj32Eli21rocsparse_complex_numIfEEEvT5_PKS3_S5_NS_24const_host_device_scalarIT6_EEPKT4_S5_PKS7_SB_S5_SD_S8_SB_S5_SD_SB_S5_PS7_21rocsparse_index_base_SF_SF_SF_bbb.has_recursion, 0
	.set _ZN9rocsparseL41csrgemm_numeric_fill_block_per_row_kernelILj1024ELj64ELj8192ELj137ELj32Eli21rocsparse_complex_numIfEEEvT5_PKS3_S5_NS_24const_host_device_scalarIT6_EEPKT4_S5_PKS7_SB_S5_SD_S8_SB_S5_SD_SB_S5_PS7_21rocsparse_index_base_SF_SF_SF_bbb.has_indirect_call, 0
	.section	.AMDGPU.csdata,"",@progbits
; Kernel info:
; codeLenInByte = 4716
; TotalNumSgprs: 76
; NumVgprs: 19
; ScratchSize: 0
; MemoryBound: 0
; FloatMode: 240
; IeeeMode: 1
; LDSByteSize: 0 bytes/workgroup (compile time only)
; SGPRBlocks: 0
; VGPRBlocks: 1
; NumSGPRsForWavesPerEU: 76
; NumVGPRsForWavesPerEU: 19
; NamedBarCnt: 0
; Occupancy: 16
; WaveLimiterHint : 1
; COMPUTE_PGM_RSRC2:SCRATCH_EN: 0
; COMPUTE_PGM_RSRC2:USER_SGPR: 2
; COMPUTE_PGM_RSRC2:TRAP_HANDLER: 0
; COMPUTE_PGM_RSRC2:TGID_X_EN: 1
; COMPUTE_PGM_RSRC2:TGID_Y_EN: 0
; COMPUTE_PGM_RSRC2:TGID_Z_EN: 0
; COMPUTE_PGM_RSRC2:TIDIG_COMP_CNT: 0
	.section	.text._ZN9rocsparseL41csrgemm_numeric_fill_block_per_row_kernelILj1024ELj64ELj8192ELj137ELj64Eli21rocsparse_complex_numIfEEEvT5_PKS3_S5_NS_24const_host_device_scalarIT6_EEPKT4_S5_PKS7_SB_S5_SD_S8_SB_S5_SD_SB_S5_PS7_21rocsparse_index_base_SF_SF_SF_bbb,"axG",@progbits,_ZN9rocsparseL41csrgemm_numeric_fill_block_per_row_kernelILj1024ELj64ELj8192ELj137ELj64Eli21rocsparse_complex_numIfEEEvT5_PKS3_S5_NS_24const_host_device_scalarIT6_EEPKT4_S5_PKS7_SB_S5_SD_S8_SB_S5_SD_SB_S5_PS7_21rocsparse_index_base_SF_SF_SF_bbb,comdat
	.globl	_ZN9rocsparseL41csrgemm_numeric_fill_block_per_row_kernelILj1024ELj64ELj8192ELj137ELj64Eli21rocsparse_complex_numIfEEEvT5_PKS3_S5_NS_24const_host_device_scalarIT6_EEPKT4_S5_PKS7_SB_S5_SD_S8_SB_S5_SD_SB_S5_PS7_21rocsparse_index_base_SF_SF_SF_bbb ; -- Begin function _ZN9rocsparseL41csrgemm_numeric_fill_block_per_row_kernelILj1024ELj64ELj8192ELj137ELj64Eli21rocsparse_complex_numIfEEEvT5_PKS3_S5_NS_24const_host_device_scalarIT6_EEPKT4_S5_PKS7_SB_S5_SD_S8_SB_S5_SD_SB_S5_PS7_21rocsparse_index_base_SF_SF_SF_bbb
	.p2align	8
	.type	_ZN9rocsparseL41csrgemm_numeric_fill_block_per_row_kernelILj1024ELj64ELj8192ELj137ELj64Eli21rocsparse_complex_numIfEEEvT5_PKS3_S5_NS_24const_host_device_scalarIT6_EEPKT4_S5_PKS7_SB_S5_SD_S8_SB_S5_SD_SB_S5_PS7_21rocsparse_index_base_SF_SF_SF_bbb,@function
_ZN9rocsparseL41csrgemm_numeric_fill_block_per_row_kernelILj1024ELj64ELj8192ELj137ELj64Eli21rocsparse_complex_numIfEEEvT5_PKS3_S5_NS_24const_host_device_scalarIT6_EEPKT4_S5_PKS7_SB_S5_SD_S8_SB_S5_SD_SB_S5_PS7_21rocsparse_index_base_SF_SF_SF_bbb: ; @_ZN9rocsparseL41csrgemm_numeric_fill_block_per_row_kernelILj1024ELj64ELj8192ELj137ELj64Eli21rocsparse_complex_numIfEEEvT5_PKS3_S5_NS_24const_host_device_scalarIT6_EEPKT4_S5_PKS7_SB_S5_SD_S8_SB_S5_SD_SB_S5_PS7_21rocsparse_index_base_SF_SF_SF_bbb
; %bb.0:
	s_clause 0x3
	s_load_b32 s33, s[0:1], 0x98
	s_load_b128 s[20:23], s[0:1], 0x88
	s_load_b128 s[28:31], s[0:1], 0x8
	s_load_b64 s[36:37], s[0:1], 0x50
	s_mov_b32 s3, 0
	s_mov_b32 s40, 0
	s_wait_kmcnt 0x0
	s_bitcmp1_b32 s33, 0
	s_cselect_b32 s41, -1, 0
	s_bitcmp1_b32 s33, 16
	s_cselect_b32 s2, -1, 0
	s_delay_alu instid0(SALU_CYCLE_1) | instskip(SKIP_2) | instid1(VALU_DEP_1)
	s_xor_b32 s4, s2, -1
	s_bitcmp0_b32 s33, 0
	v_cndmask_b32_e64 v1, 0, 1, s4
	v_cmp_ne_u32_e32 vcc_lo, 1, v1
	s_cbranch_scc1 .LBB213_5
; %bb.1:
	s_load_b64 s[2:3], s[0:1], 0x18
	s_and_b32 vcc_lo, exec_lo, vcc_lo
	s_wait_kmcnt 0x0
	s_mov_b32 s40, s2
	s_cbranch_vccnz .LBB213_3
; %bb.2:
	s_load_b32 s40, s[2:3], 0x0
.LBB213_3:
	s_and_not1_b32 vcc_lo, exec_lo, s4
	s_cbranch_vccnz .LBB213_5
; %bb.4:
	s_wait_xcnt 0x0
	s_load_b32 s3, s[2:3], 0x4
.LBB213_5:
	s_clause 0x3
	s_load_b64 s[34:35], s[0:1], 0x80
	s_load_b256 s[12:19], s[0:1], 0x58
	s_load_b128 s[24:27], s[0:1], 0x40
	s_load_b256 s[4:11], s[0:1], 0x20
	s_bitcmp1_b32 s33, 8
	s_mov_b32 s38, 0
	s_wait_xcnt 0x0
	s_cselect_b32 s2, -1, 0
	s_bfe_u32 s33, s33, 0x10008
	s_mov_b32 s39, 0
	s_cmp_eq_u32 s33, 0
	s_cbranch_scc1 .LBB213_11
; %bb.6:
	v_cmp_ne_u32_e32 vcc_lo, 1, v1
	s_mov_b32 s38, s36
	s_cbranch_vccnz .LBB213_8
; %bb.7:
	s_load_b32 s38, s[36:37], 0x0
.LBB213_8:
	v_cmp_ne_u32_e32 vcc_lo, 1, v1
	s_cbranch_vccnz .LBB213_10
; %bb.9:
	s_wait_xcnt 0x0
	s_load_b32 s37, s[36:37], 0x4
.LBB213_10:
	s_wait_kmcnt 0x0
	s_mov_b32 s39, s37
.LBB213_11:
	s_load_b32 s33, s[0:1], 0x0
	v_dual_lshlrev_b32 v1, 2, v0 :: v_dual_lshlrev_b32 v15, 3, v0
	s_wait_xcnt 0x0
	s_bfe_u32 s1, ttmp6, 0x4000c
	v_mov_b32_e32 v3, 0
	s_add_co_i32 s1, s1, 1
	v_add_nc_u32_e32 v14, 0, v1
	v_add3_u32 v2, 0x8000, 0, v15
	s_mul_i32 s1, ttmp9, s1
	s_delay_alu instid0(VALU_DEP_2) | instskip(NEXT) | instid1(VALU_DEP_2)
	v_add_nc_u32_e32 v1, v14, v1
	v_add_nc_u32_e32 v4, 0x8000, v2
	s_wait_kmcnt 0x0
	s_delay_alu instid0(VALU_DEP_2)
	v_dual_mov_b32 v8, s33 :: v_dual_add_nc_u32 v5, 0x8000, v1
	v_mov_b32_e32 v10, s33
	v_dual_mov_b32 v9, s33 :: v_dual_add_nc_u32 v6, 0xa000, v1
	v_dual_mov_b32 v12, s33 :: v_dual_add_nc_u32 v7, 0xc000, v1
	ds_store_2addr_b32 v5, v3, v3 offset1:1
	v_mov_b32_e32 v5, s33
	v_add_nc_u32_e32 v1, 0xe000, v1
	v_mov_b32_e32 v11, s33
	ds_store_2addr_stride64_b32 v14, v8, v5 offset1:16
	ds_store_2addr_b32 v6, v3, v3 offset1:1
	ds_store_2addr_b32 v7, v3, v3 offset1:1
	ds_store_2addr_stride64_b32 v14, v9, v10 offset0:32 offset1:48
	ds_store_2addr_b32 v1, v3, v3 offset1:1
	ds_store_b32 v14, v11 offset:16384
	ds_store_2addr_b32 v4, v3, v3 offset1:1
	ds_store_b32 v14, v12 offset:20480
	v_dual_mov_b32 v4, s33 :: v_dual_add_nc_u32 v1, 0xa000, v2
	v_dual_mov_b32 v6, s33 :: v_dual_add_nc_u32 v5, 0xc000, v2
	v_add_nc_u32_e32 v2, 0xe000, v2
	ds_store_2addr_b32 v1, v3, v3 offset1:1
	ds_store_b32 v14, v4 offset:24576
	ds_store_2addr_b32 v5, v3, v3 offset1:1
	ds_store_b32 v14, v6 offset:28672
	ds_store_2addr_b32 v2, v3, v3 offset1:1
	s_wait_dscnt 0x0
	s_barrier_signal -1
	s_barrier_wait -1
	s_load_b32 s0, s[28:29], 0x0
	s_wait_xcnt 0x0
	s_and_b32 s28, ttmp6, 15
	s_getreg_b32 s29, hwreg(HW_REG_IB_STS2, 6, 4)
	s_add_co_i32 s28, s28, s1
	s_cmp_eq_u32 s29, 0
	v_lshrrev_b32_e32 v2, 6, v0
	s_cselect_b32 s1, ttmp9, s28
	s_and_not1_b32 vcc_lo, exec_lo, s41
	s_wait_kmcnt 0x0
	s_add_co_i32 s0, s0, s1
	s_mov_b32 s1, 0
	s_load_b32 s28, s[30:31], s0 offset:0x0 scale_offset
	s_cbranch_vccnz .LBB213_29
; %bb.12:
	s_wait_kmcnt 0x0
	s_ashr_i32 s29, s28, 31
	s_mov_b32 s0, s20
	s_lshl_b64 s[30:31], s[28:29], 3
	v_sub_nc_u64_e64 v[4:5], v[2:3], s[0:1]
	s_add_nc_u64 s[4:5], s[4:5], s[30:31]
	s_mov_b32 s29, exec_lo
	s_load_b128 s[44:47], s[4:5], 0x0
	s_wait_kmcnt 0x0
	s_delay_alu instid0(VALU_DEP_1)
	v_add_nc_u64_e32 v[4:5], s[44:45], v[4:5]
	s_sub_nc_u64 s[0:1], s[46:47], s[0:1]
	s_delay_alu instid0(VALU_DEP_1) | instid1(SALU_CYCLE_1)
	v_cmpx_gt_i64_e64 s[0:1], v[4:5]
	s_cbranch_execz .LBB213_28
; %bb.13:
	v_dual_mov_b32 v7, v3 :: v_dual_bitop2_b32 v6, 63, v0 bitop3:0x40
	s_mov_b32 s5, 0
	s_mov_b32 s4, s21
	;; [unrolled: 1-line block ×3, first 2 shown]
	s_delay_alu instid0(VALU_DEP_1)
	v_sub_nc_u64_e64 v[6:7], v[6:7], s[4:5]
	s_branch .LBB213_15
.LBB213_14:                             ;   in Loop: Header=BB213_15 Depth=1
	s_or_b32 exec_lo, exec_lo, s31
	v_add_nc_u64_e32 v[4:5], 16, v[4:5]
	s_delay_alu instid0(VALU_DEP_1) | instskip(SKIP_1) | instid1(SALU_CYCLE_1)
	v_cmp_le_i64_e32 vcc_lo, s[0:1], v[4:5]
	s_or_b32 s30, vcc_lo, s30
	s_and_not1_b32 exec_lo, exec_lo, s30
	s_cbranch_execz .LBB213_28
.LBB213_15:                             ; =>This Loop Header: Depth=1
                                        ;     Child Loop BB213_19 Depth 2
                                        ;       Child Loop BB213_22 Depth 3
	v_lshl_add_u64 v[8:9], v[4:5], 2, s[6:7]
	s_mov_b32 s31, exec_lo
	global_load_b32 v1, v[8:9], off
	s_wait_loadcnt 0x0
	s_wait_xcnt 0x0
	v_subrev_nc_u32_e32 v8, s20, v1
	s_delay_alu instid0(VALU_DEP_1) | instskip(NEXT) | instid1(VALU_DEP_1)
	v_ashrrev_i32_e32 v9, 31, v8
	v_lshl_add_u64 v[8:9], v[8:9], 3, s[10:11]
	global_load_b128 v[10:13], v[8:9], off
	s_wait_loadcnt 0x0
	s_wait_xcnt 0x0
	v_sub_nc_u64_e64 v[8:9], v[12:13], s[4:5]
	v_add_nc_u64_e32 v[10:11], v[10:11], v[6:7]
	s_delay_alu instid0(VALU_DEP_1)
	v_cmpx_lt_i64_e64 v[10:11], v[8:9]
	s_cbranch_execz .LBB213_14
; %bb.16:                               ;   in Loop: Header=BB213_15 Depth=1
	v_lshl_add_u64 v[12:13], v[4:5], 3, s[8:9]
	s_mov_b32 s36, 0
	global_load_b64 v[12:13], v[12:13], off
	s_wait_loadcnt 0x0
	v_mul_f32_e64 v1, v13, -s3
	s_delay_alu instid0(VALU_DEP_1) | instskip(NEXT) | instid1(VALU_DEP_1)
	v_dual_mul_f32 v3, s40, v13 :: v_dual_fmac_f32 v1, s40, v12
	v_fmac_f32_e32 v3, s3, v12
	s_branch .LBB213_19
.LBB213_17:                             ;   in Loop: Header=BB213_19 Depth=2
	s_or_b32 exec_lo, exec_lo, s41
.LBB213_18:                             ;   in Loop: Header=BB213_19 Depth=2
	s_delay_alu instid0(SALU_CYCLE_1)
	s_or_b32 exec_lo, exec_lo, s37
	s_wait_loadcnt 0x0
	v_mul_f32_e64 v17, v13, -v3
	v_mul_f32_e32 v13, v1, v13
	v_lshl_add_u32 v16, v16, 3, 0
	v_add_nc_u64_e32 v[10:11], 64, v[10:11]
	s_delay_alu instid0(VALU_DEP_3)
	v_fmac_f32_e32 v13, v3, v12
	v_fmac_f32_e32 v17, v1, v12
	ds_add_f32 v16, v17 offset:32768
	ds_add_f32 v16, v13 offset:32772
	v_cmp_ge_i64_e32 vcc_lo, v[10:11], v[8:9]
	s_or_b32 s36, vcc_lo, s36
	s_delay_alu instid0(SALU_CYCLE_1)
	s_and_not1_b32 exec_lo, exec_lo, s36
	s_cbranch_execz .LBB213_14
.LBB213_19:                             ;   Parent Loop BB213_15 Depth=1
                                        ; =>  This Loop Header: Depth=2
                                        ;       Child Loop BB213_22 Depth 3
	s_wait_xcnt 0x0
	v_lshl_add_u64 v[12:13], v[10:11], 2, s[24:25]
	s_mov_b32 s37, exec_lo
	global_load_b32 v16, v[12:13], off
	s_wait_xcnt 0x0
	v_lshl_add_u64 v[12:13], v[10:11], 3, s[26:27]
	global_load_b64 v[12:13], v[12:13], off
	s_wait_loadcnt 0x1
	v_subrev_nc_u32_e32 v17, s21, v16
	s_delay_alu instid0(VALU_DEP_1) | instskip(NEXT) | instid1(VALU_DEP_1)
	v_mul_lo_u32 v16, 0x89, v17
	v_and_b32_e32 v16, 0x1fff, v16
	s_delay_alu instid0(VALU_DEP_1)
	v_lshl_add_u32 v18, v16, 2, 0
	ds_load_b32 v19, v18
	s_wait_dscnt 0x0
	s_wait_xcnt 0x0
	v_cmpx_ne_u32_e64 v19, v17
	s_cbranch_execz .LBB213_18
; %bb.20:                               ;   in Loop: Header=BB213_19 Depth=2
	s_mov_b32 s41, 0
	s_branch .LBB213_22
.LBB213_21:                             ;   in Loop: Header=BB213_22 Depth=3
	s_or_b32 exec_lo, exec_lo, s44
	s_delay_alu instid0(SALU_CYCLE_1) | instskip(NEXT) | instid1(SALU_CYCLE_1)
	s_and_b32 s42, exec_lo, s43
	s_or_b32 s41, s42, s41
	s_delay_alu instid0(SALU_CYCLE_1)
	s_and_not1_b32 exec_lo, exec_lo, s41
	s_cbranch_execz .LBB213_17
.LBB213_22:                             ;   Parent Loop BB213_15 Depth=1
                                        ;     Parent Loop BB213_19 Depth=2
                                        ; =>    This Inner Loop Header: Depth=3
	s_mov_b32 s42, 0
	s_mov_b32 s43, exec_lo
	v_cmpx_ne_u32_e64 s33, v19
	s_xor_b32 s43, exec_lo, s43
	s_cbranch_execz .LBB213_24
; %bb.23:                               ;   in Loop: Header=BB213_22 Depth=3
	v_add_nc_u32_e32 v16, 1, v16
	s_mov_b32 s42, exec_lo
                                        ; implicit-def: $vgpr18
	s_delay_alu instid0(VALU_DEP_1)
	v_and_b32_e32 v16, 0x1fff, v16
	s_and_not1_saveexec_b32 s43, s43
	s_cbranch_execz .LBB213_26
	s_branch .LBB213_25
.LBB213_24:                             ;   in Loop: Header=BB213_22 Depth=3
	s_and_not1_saveexec_b32 s43, s43
	s_cbranch_execz .LBB213_26
.LBB213_25:                             ;   in Loop: Header=BB213_22 Depth=3
	v_mov_b32_e32 v19, s33
	s_and_not1_b32 s42, s42, exec_lo
	ds_cmpstore_rtn_b32 v18, v18, v17, v19
	s_wait_dscnt 0x0
	v_cmp_ne_u32_e32 vcc_lo, s33, v18
	s_and_b32 s44, vcc_lo, exec_lo
	s_delay_alu instid0(SALU_CYCLE_1)
	s_or_b32 s42, s42, s44
.LBB213_26:                             ;   in Loop: Header=BB213_22 Depth=3
	s_or_b32 exec_lo, exec_lo, s43
	s_mov_b32 s43, -1
                                        ; implicit-def: $vgpr18
                                        ; implicit-def: $vgpr19
	s_and_saveexec_b32 s44, s42
	s_cbranch_execz .LBB213_21
; %bb.27:                               ;   in Loop: Header=BB213_22 Depth=3
	v_lshl_add_u32 v18, v16, 2, 0
	ds_load_b32 v19, v18
	s_wait_dscnt 0x0
	v_cmp_eq_u32_e32 vcc_lo, v19, v17
	s_or_not1_b32 s43, vcc_lo, exec_lo
	s_branch .LBB213_21
.LBB213_28:
	s_or_b32 exec_lo, exec_lo, s29
.LBB213_29:
	s_delay_alu instid0(SALU_CYCLE_1)
	s_and_not1_b32 vcc_lo, exec_lo, s2
	s_cbranch_vccnz .LBB213_32
; %bb.30:
	s_wait_kmcnt 0x0
	s_ashr_i32 s29, s28, 31
	v_mov_b32_e32 v1, 0
	s_lshl_b64 s[0:1], s[28:29], 3
	s_delay_alu instid0(SALU_CYCLE_1) | instskip(SKIP_4) | instid1(SALU_CYCLE_1)
	s_add_nc_u64 s[0:1], s[12:13], s[0:1]
	s_load_b128 s[4:7], s[0:1], 0x0
	s_wait_xcnt 0x0
	s_mov_b32 s1, 0
	s_mov_b32 s0, s23
	v_sub_nc_u64_e64 v[4:5], v[0:1], s[0:1]
	s_wait_kmcnt 0x0
	s_delay_alu instid0(VALU_DEP_1) | instskip(SKIP_2) | instid1(VALU_DEP_1)
	v_add_nc_u64_e32 v[4:5], s[4:5], v[4:5]
	s_sub_nc_u64 s[2:3], s[6:7], s[0:1]
	s_mov_b32 s0, exec_lo
	v_cmpx_gt_i64_e64 s[2:3], v[4:5]
	s_cbranch_execnz .LBB213_70
.LBB213_31:
	s_or_b32 exec_lo, exec_lo, s0
.LBB213_32:
	v_mbcnt_lo_u32_b32 v1, -1, 0
	v_lshlrev_b32_e32 v2, 2, v2
	s_add_co_i32 s36, 0, 0x1803c
	s_wait_xcnt 0x0
	v_cmp_lt_u32_e64 s0, 63, v0
	v_cmp_lt_u32_e64 s1, 0x7f, v0
	v_dual_mov_b32 v1, 0 :: v_dual_bitop2_b32 v4, 31, v1 bitop3:0x14
	v_mov_b32_e32 v8, s36
	v_add3_u32 v3, 0x18000, 0, v2
	v_cmp_lt_u32_e64 s2, 0xbf, v0
	s_delay_alu instid0(VALU_DEP_4)
	v_lshrrev_b32_e64 v2, v4, -1
	v_cmp_lt_u32_e64 s3, 0xff, v0
	v_cmp_lt_u32_e64 s4, 0x13f, v0
	;; [unrolled: 1-line block ×12, first 2 shown]
	v_add3_u32 v6, v15, 0, 0x8000
	v_or_b32_e32 v7, 0xfffffc00, v0
	s_mov_b32 s16, 0
	s_add_co_i32 s17, 0, 0x18000
	s_add_co_i32 s20, 0, 0x18004
	;; [unrolled: 1-line block ×15, first 2 shown]
	s_wait_dscnt 0x0
	s_barrier_signal -1
	s_barrier_wait -1
	v_cmp_eq_u32_e32 vcc_lo, 0x3ff, v0
	s_branch .LBB213_34
.LBB213_33:                             ;   in Loop: Header=BB213_34 Depth=1
	s_or_b32 exec_lo, exec_lo, s15
	s_wait_dscnt 0x0
	s_barrier_signal -1
	s_barrier_wait -1
	ds_load_b32 v4, v8
	v_add_nc_u32_e32 v7, 0x400, v7
	v_add_nc_u32_e32 v6, 0x2000, v6
	;; [unrolled: 1-line block ×3, first 2 shown]
	s_delay_alu instid0(VALU_DEP_3)
	v_cmp_lt_u32_e64 s15, 0x1bff, v7
	s_or_b32 s16, s15, s16
	s_wait_dscnt 0x0
	v_add_nc_u32_e32 v1, v4, v1
	s_and_not1_b32 exec_lo, exec_lo, s16
	s_cbranch_execz .LBB213_79
.LBB213_34:                             ; =>This Inner Loop Header: Depth=1
	ds_load_b32 v9, v14
	ds_load_2addr_b32 v[4:5], v6 offset1:1
	s_wait_dscnt 0x0
	s_barrier_signal -1
	s_barrier_wait -1
	v_cmp_gt_i32_e64 s15, s33, v9
	s_bcnt1_i32_b32 s41, s15
	s_delay_alu instid0(SALU_CYCLE_1) | instskip(NEXT) | instid1(VALU_DEP_1)
	v_dual_mov_b32 v11, s41 :: v_dual_bitop2_b32 v10, s15, v2 bitop3:0x40
	v_bcnt_u32_b32 v10, v10, 0
	ds_store_b32 v3, v11
	s_wait_dscnt 0x0
	s_barrier_signal -1
	s_barrier_wait -1
	s_and_saveexec_b32 s41, s0
	s_cbranch_execz .LBB213_51
; %bb.35:                               ;   in Loop: Header=BB213_34 Depth=1
	v_mov_b32_e32 v11, s17
	ds_load_b32 v11, v11
	s_wait_dscnt 0x0
	v_add_nc_u32_e32 v10, v11, v10
	s_or_b32 exec_lo, exec_lo, s41
	s_and_saveexec_b32 s41, s1
	s_cbranch_execnz .LBB213_52
.LBB213_36:                             ;   in Loop: Header=BB213_34 Depth=1
	s_or_b32 exec_lo, exec_lo, s41
	s_and_saveexec_b32 s41, s2
	s_cbranch_execz .LBB213_53
.LBB213_37:                             ;   in Loop: Header=BB213_34 Depth=1
	v_mov_b32_e32 v11, s21
	ds_load_b32 v11, v11
	s_wait_dscnt 0x0
	v_add_nc_u32_e32 v10, v11, v10
	s_or_b32 exec_lo, exec_lo, s41
	s_and_saveexec_b32 s41, s3
	s_cbranch_execnz .LBB213_54
.LBB213_38:                             ;   in Loop: Header=BB213_34 Depth=1
	s_or_b32 exec_lo, exec_lo, s41
	s_and_saveexec_b32 s41, s4
	s_cbranch_execz .LBB213_55
.LBB213_39:                             ;   in Loop: Header=BB213_34 Depth=1
	v_mov_b32_e32 v11, s24
	ds_load_b32 v11, v11
	s_wait_dscnt 0x0
	v_add_nc_u32_e32 v10, v11, v10
	s_or_b32 exec_lo, exec_lo, s41
	s_and_saveexec_b32 s41, s5
	s_cbranch_execnz .LBB213_56
.LBB213_40:                             ;   in Loop: Header=BB213_34 Depth=1
	s_or_b32 exec_lo, exec_lo, s41
	s_and_saveexec_b32 s41, s6
	s_cbranch_execz .LBB213_57
.LBB213_41:                             ;   in Loop: Header=BB213_34 Depth=1
	v_mov_b32_e32 v11, s26
	ds_load_b32 v11, v11
	s_wait_dscnt 0x0
	v_add_nc_u32_e32 v10, v11, v10
	s_or_b32 exec_lo, exec_lo, s41
	s_and_saveexec_b32 s41, s7
	s_cbranch_execnz .LBB213_58
.LBB213_42:                             ;   in Loop: Header=BB213_34 Depth=1
	s_or_b32 exec_lo, exec_lo, s41
	s_and_saveexec_b32 s41, s8
	s_cbranch_execz .LBB213_59
.LBB213_43:                             ;   in Loop: Header=BB213_34 Depth=1
	v_mov_b32_e32 v11, s29
	ds_load_b32 v11, v11
	s_wait_dscnt 0x0
	v_add_nc_u32_e32 v10, v11, v10
	s_or_b32 exec_lo, exec_lo, s41
	s_and_saveexec_b32 s41, s9
	s_cbranch_execnz .LBB213_60
.LBB213_44:                             ;   in Loop: Header=BB213_34 Depth=1
	s_or_b32 exec_lo, exec_lo, s41
	s_and_saveexec_b32 s41, s10
	s_cbranch_execz .LBB213_61
.LBB213_45:                             ;   in Loop: Header=BB213_34 Depth=1
	v_mov_b32_e32 v11, s31
	ds_load_b32 v11, v11
	s_wait_dscnt 0x0
	v_add_nc_u32_e32 v10, v11, v10
	s_or_b32 exec_lo, exec_lo, s41
	s_and_saveexec_b32 s41, s11
	s_cbranch_execnz .LBB213_62
.LBB213_46:                             ;   in Loop: Header=BB213_34 Depth=1
	s_or_b32 exec_lo, exec_lo, s41
	s_and_saveexec_b32 s41, s12
	s_cbranch_execz .LBB213_63
.LBB213_47:                             ;   in Loop: Header=BB213_34 Depth=1
	v_mov_b32_e32 v11, s38
	ds_load_b32 v11, v11
	s_wait_dscnt 0x0
	v_add_nc_u32_e32 v10, v11, v10
	s_or_b32 exec_lo, exec_lo, s41
	s_and_saveexec_b32 s41, s13
	s_cbranch_execnz .LBB213_64
.LBB213_48:                             ;   in Loop: Header=BB213_34 Depth=1
	s_or_b32 exec_lo, exec_lo, s41
	s_and_saveexec_b32 s41, s14
	s_cbranch_execz .LBB213_65
.LBB213_49:                             ;   in Loop: Header=BB213_34 Depth=1
	v_mov_b32_e32 v11, s40
	ds_load_b32 v11, v11
	s_wait_dscnt 0x0
	v_add_nc_u32_e32 v10, v11, v10
	s_or_b32 exec_lo, exec_lo, s41
	s_and_saveexec_b32 s41, s15
	s_cbranch_execnz .LBB213_66
.LBB213_50:                             ;   in Loop: Header=BB213_34 Depth=1
	s_or_b32 exec_lo, exec_lo, s41
	s_and_saveexec_b32 s15, vcc_lo
	s_cbranch_execz .LBB213_33
	s_branch .LBB213_67
.LBB213_51:                             ;   in Loop: Header=BB213_34 Depth=1
	s_or_b32 exec_lo, exec_lo, s41
	s_and_saveexec_b32 s41, s1
	s_cbranch_execz .LBB213_36
.LBB213_52:                             ;   in Loop: Header=BB213_34 Depth=1
	v_mov_b32_e32 v11, s20
	ds_load_b32 v11, v11
	s_wait_dscnt 0x0
	v_add_nc_u32_e32 v10, v11, v10
	s_or_b32 exec_lo, exec_lo, s41
	s_and_saveexec_b32 s41, s2
	s_cbranch_execnz .LBB213_37
.LBB213_53:                             ;   in Loop: Header=BB213_34 Depth=1
	s_or_b32 exec_lo, exec_lo, s41
	s_and_saveexec_b32 s41, s3
	s_cbranch_execz .LBB213_38
.LBB213_54:                             ;   in Loop: Header=BB213_34 Depth=1
	v_mov_b32_e32 v11, s23
	ds_load_b32 v11, v11
	s_wait_dscnt 0x0
	v_add_nc_u32_e32 v10, v11, v10
	s_or_b32 exec_lo, exec_lo, s41
	s_and_saveexec_b32 s41, s4
	s_cbranch_execnz .LBB213_39
.LBB213_55:                             ;   in Loop: Header=BB213_34 Depth=1
	s_or_b32 exec_lo, exec_lo, s41
	s_and_saveexec_b32 s41, s5
	s_cbranch_execz .LBB213_40
.LBB213_56:                             ;   in Loop: Header=BB213_34 Depth=1
	v_mov_b32_e32 v11, s25
	ds_load_b32 v11, v11
	s_wait_dscnt 0x0
	v_add_nc_u32_e32 v10, v11, v10
	s_or_b32 exec_lo, exec_lo, s41
	s_and_saveexec_b32 s41, s6
	s_cbranch_execnz .LBB213_41
.LBB213_57:                             ;   in Loop: Header=BB213_34 Depth=1
	s_or_b32 exec_lo, exec_lo, s41
	s_and_saveexec_b32 s41, s7
	s_cbranch_execz .LBB213_42
.LBB213_58:                             ;   in Loop: Header=BB213_34 Depth=1
	v_mov_b32_e32 v11, s27
	ds_load_b32 v11, v11
	s_wait_dscnt 0x0
	v_add_nc_u32_e32 v10, v11, v10
	s_or_b32 exec_lo, exec_lo, s41
	s_and_saveexec_b32 s41, s8
	s_cbranch_execnz .LBB213_43
.LBB213_59:                             ;   in Loop: Header=BB213_34 Depth=1
	s_or_b32 exec_lo, exec_lo, s41
	s_and_saveexec_b32 s41, s9
	s_cbranch_execz .LBB213_44
.LBB213_60:                             ;   in Loop: Header=BB213_34 Depth=1
	v_mov_b32_e32 v11, s30
	ds_load_b32 v11, v11
	s_wait_dscnt 0x0
	v_add_nc_u32_e32 v10, v11, v10
	s_or_b32 exec_lo, exec_lo, s41
	s_and_saveexec_b32 s41, s10
	s_cbranch_execnz .LBB213_45
.LBB213_61:                             ;   in Loop: Header=BB213_34 Depth=1
	s_or_b32 exec_lo, exec_lo, s41
	s_and_saveexec_b32 s41, s11
	s_cbranch_execz .LBB213_46
.LBB213_62:                             ;   in Loop: Header=BB213_34 Depth=1
	v_mov_b32_e32 v11, s37
	ds_load_b32 v11, v11
	s_wait_dscnt 0x0
	v_add_nc_u32_e32 v10, v11, v10
	s_or_b32 exec_lo, exec_lo, s41
	s_and_saveexec_b32 s41, s12
	s_cbranch_execnz .LBB213_47
.LBB213_63:                             ;   in Loop: Header=BB213_34 Depth=1
	s_or_b32 exec_lo, exec_lo, s41
	s_and_saveexec_b32 s41, s13
	s_cbranch_execz .LBB213_48
.LBB213_64:                             ;   in Loop: Header=BB213_34 Depth=1
	v_mov_b32_e32 v11, s39
	ds_load_b32 v11, v11
	s_wait_dscnt 0x0
	v_add_nc_u32_e32 v10, v11, v10
	s_or_b32 exec_lo, exec_lo, s41
	s_and_saveexec_b32 s41, s14
	s_cbranch_execnz .LBB213_49
.LBB213_65:                             ;   in Loop: Header=BB213_34 Depth=1
	s_or_b32 exec_lo, exec_lo, s41
	s_and_saveexec_b32 s41, s15
	s_cbranch_execz .LBB213_50
.LBB213_66:                             ;   in Loop: Header=BB213_34 Depth=1
	s_delay_alu instid0(VALU_DEP_1) | instskip(SKIP_1) | instid1(VALU_DEP_2)
	v_add3_u32 v11, v1, -1, v10
	v_add_lshl_u32 v12, v1, v10, 3
	v_lshl_add_u32 v11, v11, 2, 0
	s_delay_alu instid0(VALU_DEP_2)
	v_add3_u32 v12, 0, v12, 0x7ff8
	ds_store_b32 v11, v9
	ds_store_2addr_b32 v12, v4, v5 offset1:1
	s_or_b32 exec_lo, exec_lo, s41
	s_and_saveexec_b32 s15, vcc_lo
	s_cbranch_execz .LBB213_33
.LBB213_67:                             ;   in Loop: Header=BB213_34 Depth=1
	v_mov_b32_e32 v4, s36
	ds_store_b32 v4, v10
	s_branch .LBB213_33
.LBB213_68:                             ;   in Loop: Header=BB213_70 Depth=1
	s_or_b32 exec_lo, exec_lo, s5
.LBB213_69:                             ;   in Loop: Header=BB213_70 Depth=1
	s_delay_alu instid0(SALU_CYCLE_1)
	s_or_b32 exec_lo, exec_lo, s4
	s_wait_loadcnt 0x0
	v_mul_f32_e64 v3, v7, -s39
	v_mul_f32_e32 v7, s38, v7
	v_lshl_add_u32 v1, v1, 3, 0
	v_add_nc_u64_e32 v[4:5], 0x400, v[4:5]
	s_delay_alu instid0(VALU_DEP_4) | instskip(NEXT) | instid1(VALU_DEP_4)
	v_fmac_f32_e32 v3, s38, v6
	v_fmac_f32_e32 v7, s39, v6
	ds_add_f32 v1, v3 offset:32768
	ds_add_f32 v1, v7 offset:32772
	v_cmp_le_i64_e32 vcc_lo, s[2:3], v[4:5]
	s_or_b32 s1, vcc_lo, s1
	s_delay_alu instid0(SALU_CYCLE_1)
	s_and_not1_b32 exec_lo, exec_lo, s1
	s_cbranch_execz .LBB213_31
.LBB213_70:                             ; =>This Loop Header: Depth=1
                                        ;     Child Loop BB213_73 Depth 2
	v_lshl_add_u64 v[6:7], v[4:5], 2, s[14:15]
	s_mov_b32 s4, exec_lo
	global_load_b32 v1, v[6:7], off
	s_wait_xcnt 0x0
	v_lshl_add_u64 v[6:7], v[4:5], 3, s[16:17]
	global_load_b64 v[6:7], v[6:7], off
	s_wait_loadcnt 0x1
	v_subrev_nc_u32_e32 v3, s23, v1
	s_delay_alu instid0(VALU_DEP_1) | instskip(NEXT) | instid1(VALU_DEP_1)
	v_mul_lo_u32 v1, 0x89, v3
	v_and_b32_e32 v1, 0x1fff, v1
	s_delay_alu instid0(VALU_DEP_1)
	v_lshl_add_u32 v8, v1, 2, 0
	ds_load_b32 v9, v8
	s_wait_dscnt 0x0
	s_wait_xcnt 0x0
	v_cmpx_ne_u32_e64 v9, v3
	s_cbranch_execz .LBB213_69
; %bb.71:                               ;   in Loop: Header=BB213_70 Depth=1
	s_mov_b32 s5, 0
	s_branch .LBB213_73
.LBB213_72:                             ;   in Loop: Header=BB213_73 Depth=2
	s_or_b32 exec_lo, exec_lo, s8
	s_delay_alu instid0(SALU_CYCLE_1) | instskip(NEXT) | instid1(SALU_CYCLE_1)
	s_and_b32 s6, exec_lo, s7
	s_or_b32 s5, s6, s5
	s_delay_alu instid0(SALU_CYCLE_1)
	s_and_not1_b32 exec_lo, exec_lo, s5
	s_cbranch_execz .LBB213_68
.LBB213_73:                             ;   Parent Loop BB213_70 Depth=1
                                        ; =>  This Inner Loop Header: Depth=2
	s_mov_b32 s6, 0
	s_mov_b32 s7, exec_lo
	v_cmpx_ne_u32_e64 s33, v9
	s_xor_b32 s7, exec_lo, s7
	s_cbranch_execz .LBB213_75
; %bb.74:                               ;   in Loop: Header=BB213_73 Depth=2
	v_add_nc_u32_e32 v1, 1, v1
	s_mov_b32 s6, exec_lo
                                        ; implicit-def: $vgpr8
	s_delay_alu instid0(VALU_DEP_1)
	v_and_b32_e32 v1, 0x1fff, v1
	s_and_not1_saveexec_b32 s7, s7
	s_cbranch_execz .LBB213_77
	s_branch .LBB213_76
.LBB213_75:                             ;   in Loop: Header=BB213_73 Depth=2
	s_and_not1_saveexec_b32 s7, s7
	s_cbranch_execz .LBB213_77
.LBB213_76:                             ;   in Loop: Header=BB213_73 Depth=2
	v_mov_b32_e32 v9, s33
	s_and_not1_b32 s6, s6, exec_lo
	ds_cmpstore_rtn_b32 v8, v8, v3, v9
	s_wait_dscnt 0x0
	v_cmp_ne_u32_e32 vcc_lo, s33, v8
	s_and_b32 s8, vcc_lo, exec_lo
	s_delay_alu instid0(SALU_CYCLE_1)
	s_or_b32 s6, s6, s8
.LBB213_77:                             ;   in Loop: Header=BB213_73 Depth=2
	s_or_b32 exec_lo, exec_lo, s7
	s_mov_b32 s7, -1
                                        ; implicit-def: $vgpr8
                                        ; implicit-def: $vgpr9
	s_and_saveexec_b32 s8, s6
	s_cbranch_execz .LBB213_72
; %bb.78:                               ;   in Loop: Header=BB213_73 Depth=2
	v_lshl_add_u32 v8, v1, 2, 0
	ds_load_b32 v9, v8
	s_wait_dscnt 0x0
	v_cmp_eq_u32_e32 vcc_lo, v9, v3
	s_or_not1_b32 s7, vcc_lo, exec_lo
	s_branch .LBB213_72
.LBB213_79:
	s_or_b32 exec_lo, exec_lo, s16
	s_wait_kmcnt 0x0
	s_ashr_i32 s29, s28, 31
	s_delay_alu instid0(SALU_CYCLE_1) | instskip(NEXT) | instid1(SALU_CYCLE_1)
	s_lshl_b64 s[0:1], s[28:29], 3
	s_add_nc_u64 s[4:5], s[18:19], s[0:1]
	s_load_b128 s[0:3], s[4:5], 0x0
	s_wait_xcnt 0x0
	s_mov_b32 s4, exec_lo
	s_wait_kmcnt 0x0
	s_sub_co_i32 s3, s2, s0
	s_delay_alu instid0(SALU_CYCLE_1)
	v_cmpx_gt_i32_e64 s3, v0
	s_cbranch_execz .LBB213_89
; %bb.80:
	s_sub_co_i32 s4, s0, s2
	s_and_b32 s2, s3, 7
	s_cmp_lt_u32 s4, -7
	s_mov_b32 s23, 0
	s_cselect_b32 s4, -1, 0
	s_and_b32 s5, s3, -8
	s_cmp_lg_u32 s2, 0
	s_sub_nc_u64 s[0:1], s[0:1], s[22:23]
	s_cselect_b32 s6, -1, 0
	s_mov_b32 s7, 0
	s_branch .LBB213_82
.LBB213_81:                             ;   in Loop: Header=BB213_82 Depth=1
	v_add_nc_u32_e32 v0, 0x400, v0
	s_delay_alu instid0(VALU_DEP_2) | instskip(NEXT) | instid1(VALU_DEP_2)
	v_lshl_add_u64 v[4:5], v[4:5], 3, s[34:35]
	v_cmp_le_i32_e32 vcc_lo, s3, v0
	s_wait_dscnt 0x0
	global_store_b64 v[4:5], v[2:3], off
	s_or_b32 s7, vcc_lo, s7
	s_wait_xcnt 0x0
	s_and_not1_b32 exec_lo, exec_lo, s7
	s_cbranch_execz .LBB213_89
.LBB213_82:                             ; =>This Loop Header: Depth=1
                                        ;     Child Loop BB213_84 Depth 2
                                        ;     Child Loop BB213_88 Depth 2
	v_lshlrev_b32_e32 v1, 2, v0
	v_mov_b64_e32 v[4:5], s[0:1]
	s_and_not1_b32 vcc_lo, exec_lo, s4
	s_mov_b32 s8, 0
	s_delay_alu instid0(VALU_DEP_2) | instskip(NEXT) | instid1(VALU_DEP_1)
	v_add_nc_u32_e32 v2, 0, v1
	v_add3_u32 v3, v2, v1, 0x8000
	ds_load_b32 v1, v2
	ds_load_2addr_b32 v[2:3], v3 offset1:1
	s_cbranch_vccnz .LBB213_86
; %bb.83:                               ;   in Loop: Header=BB213_82 Depth=1
	v_mov_b64_e32 v[4:5], s[0:1]
	s_mov_b32 s9, 0
.LBB213_84:                             ;   Parent Loop BB213_82 Depth=1
                                        ; =>  This Inner Loop Header: Depth=2
	s_delay_alu instid0(SALU_CYCLE_1)
	v_dual_mov_b32 v10, s9 :: v_dual_mov_b32 v11, s23
	v_mov_b32_e32 v17, s23
	s_add_co_i32 s8, s8, 8
	s_add_co_i32 s9, s9, 32
	ds_load_2addr_b32 v[6:7], v10 offset1:1
	ds_load_2addr_b32 v[8:9], v10 offset0:2 offset1:3
	ds_load_2addr_b32 v[12:13], v10 offset0:4 offset1:5
	;; [unrolled: 1-line block ×3, first 2 shown]
	s_cmp_eq_u32 s5, s8
	s_wait_dscnt 0x3
	v_cmp_gt_i32_e32 vcc_lo, v1, v6
	v_cndmask_b32_e64 v10, 0, 1, vcc_lo
	v_cmp_gt_i32_e32 vcc_lo, v1, v7
	v_mov_b32_e32 v7, s23
	s_delay_alu instid0(VALU_DEP_3) | instskip(SKIP_4) | instid1(VALU_DEP_3)
	v_add_nc_u64_e32 v[4:5], v[4:5], v[10:11]
	v_cndmask_b32_e64 v16, 0, 1, vcc_lo
	s_wait_dscnt 0x2
	v_cmp_gt_i32_e32 vcc_lo, v1, v8
	v_cndmask_b32_e64 v6, 0, 1, vcc_lo
	v_add_nc_u64_e32 v[4:5], v[4:5], v[16:17]
	v_cmp_gt_i32_e32 vcc_lo, v1, v9
	v_mov_b32_e32 v9, s23
	v_cndmask_b32_e64 v10, 0, 1, vcc_lo
	s_delay_alu instid0(VALU_DEP_4) | instskip(SKIP_3) | instid1(VALU_DEP_3)
	v_add_nc_u64_e32 v[4:5], v[4:5], v[6:7]
	s_wait_dscnt 0x1
	v_cmp_gt_i32_e32 vcc_lo, v1, v12
	v_cndmask_b32_e64 v6, 0, 1, vcc_lo
	v_add_nc_u64_e32 v[4:5], v[4:5], v[10:11]
	v_cmp_gt_i32_e32 vcc_lo, v1, v13
	v_cndmask_b32_e64 v8, 0, 1, vcc_lo
	s_delay_alu instid0(VALU_DEP_3) | instskip(SKIP_3) | instid1(VALU_DEP_3)
	v_add_nc_u64_e32 v[4:5], v[4:5], v[6:7]
	s_wait_dscnt 0x0
	v_cmp_gt_i32_e32 vcc_lo, v1, v14
	v_cndmask_b32_e64 v6, 0, 1, vcc_lo
	v_add_nc_u64_e32 v[4:5], v[4:5], v[8:9]
	v_cmp_gt_i32_e32 vcc_lo, v1, v15
	v_cndmask_b32_e64 v8, 0, 1, vcc_lo
	s_delay_alu instid0(VALU_DEP_3) | instskip(NEXT) | instid1(VALU_DEP_1)
	v_add_nc_u64_e32 v[4:5], v[4:5], v[6:7]
	v_add_nc_u64_e32 v[4:5], v[4:5], v[8:9]
	s_cbranch_scc0 .LBB213_84
; %bb.85:                               ;   in Loop: Header=BB213_82 Depth=1
	s_mov_b32 s8, s5
.LBB213_86:                             ;   in Loop: Header=BB213_82 Depth=1
	s_and_not1_b32 vcc_lo, exec_lo, s6
	s_cbranch_vccnz .LBB213_81
; %bb.87:                               ;   in Loop: Header=BB213_82 Depth=1
	s_lshl_b32 s8, s8, 2
	s_mov_b32 s9, s2
	s_add_co_i32 s8, s8, 0
.LBB213_88:                             ;   Parent Loop BB213_82 Depth=1
                                        ; =>  This Inner Loop Header: Depth=2
	s_delay_alu instid0(SALU_CYCLE_1)
	v_dual_mov_b32 v6, s8 :: v_dual_mov_b32 v7, s23
	s_add_co_i32 s9, s9, -1
	s_add_co_i32 s8, s8, 4
	s_cmp_lg_u32 s9, 0
	ds_load_b32 v6, v6
	s_wait_dscnt 0x0
	v_cmp_gt_i32_e32 vcc_lo, v1, v6
	v_cndmask_b32_e64 v6, 0, 1, vcc_lo
	s_delay_alu instid0(VALU_DEP_1)
	v_add_nc_u64_e32 v[4:5], v[4:5], v[6:7]
	s_cbranch_scc1 .LBB213_88
	s_branch .LBB213_81
.LBB213_89:
	s_endpgm
	.section	.rodata,"a",@progbits
	.p2align	6, 0x0
	.amdhsa_kernel _ZN9rocsparseL41csrgemm_numeric_fill_block_per_row_kernelILj1024ELj64ELj8192ELj137ELj64Eli21rocsparse_complex_numIfEEEvT5_PKS3_S5_NS_24const_host_device_scalarIT6_EEPKT4_S5_PKS7_SB_S5_SD_S8_SB_S5_SD_SB_S5_PS7_21rocsparse_index_base_SF_SF_SF_bbb
		.amdhsa_group_segment_fixed_size 0
		.amdhsa_private_segment_fixed_size 0
		.amdhsa_kernarg_size 156
		.amdhsa_user_sgpr_count 2
		.amdhsa_user_sgpr_dispatch_ptr 0
		.amdhsa_user_sgpr_queue_ptr 0
		.amdhsa_user_sgpr_kernarg_segment_ptr 1
		.amdhsa_user_sgpr_dispatch_id 0
		.amdhsa_user_sgpr_kernarg_preload_length 0
		.amdhsa_user_sgpr_kernarg_preload_offset 0
		.amdhsa_user_sgpr_private_segment_size 0
		.amdhsa_wavefront_size32 1
		.amdhsa_uses_dynamic_stack 0
		.amdhsa_enable_private_segment 0
		.amdhsa_system_sgpr_workgroup_id_x 1
		.amdhsa_system_sgpr_workgroup_id_y 0
		.amdhsa_system_sgpr_workgroup_id_z 0
		.amdhsa_system_sgpr_workgroup_info 0
		.amdhsa_system_vgpr_workitem_id 0
		.amdhsa_next_free_vgpr 20
		.amdhsa_next_free_sgpr 48
		.amdhsa_named_barrier_count 0
		.amdhsa_reserve_vcc 1
		.amdhsa_float_round_mode_32 0
		.amdhsa_float_round_mode_16_64 0
		.amdhsa_float_denorm_mode_32 3
		.amdhsa_float_denorm_mode_16_64 3
		.amdhsa_fp16_overflow 0
		.amdhsa_memory_ordered 1
		.amdhsa_forward_progress 1
		.amdhsa_inst_pref_size 30
		.amdhsa_round_robin_scheduling 0
		.amdhsa_exception_fp_ieee_invalid_op 0
		.amdhsa_exception_fp_denorm_src 0
		.amdhsa_exception_fp_ieee_div_zero 0
		.amdhsa_exception_fp_ieee_overflow 0
		.amdhsa_exception_fp_ieee_underflow 0
		.amdhsa_exception_fp_ieee_inexact 0
		.amdhsa_exception_int_div_zero 0
	.end_amdhsa_kernel
	.section	.text._ZN9rocsparseL41csrgemm_numeric_fill_block_per_row_kernelILj1024ELj64ELj8192ELj137ELj64Eli21rocsparse_complex_numIfEEEvT5_PKS3_S5_NS_24const_host_device_scalarIT6_EEPKT4_S5_PKS7_SB_S5_SD_S8_SB_S5_SD_SB_S5_PS7_21rocsparse_index_base_SF_SF_SF_bbb,"axG",@progbits,_ZN9rocsparseL41csrgemm_numeric_fill_block_per_row_kernelILj1024ELj64ELj8192ELj137ELj64Eli21rocsparse_complex_numIfEEEvT5_PKS3_S5_NS_24const_host_device_scalarIT6_EEPKT4_S5_PKS7_SB_S5_SD_S8_SB_S5_SD_SB_S5_PS7_21rocsparse_index_base_SF_SF_SF_bbb,comdat
.Lfunc_end213:
	.size	_ZN9rocsparseL41csrgemm_numeric_fill_block_per_row_kernelILj1024ELj64ELj8192ELj137ELj64Eli21rocsparse_complex_numIfEEEvT5_PKS3_S5_NS_24const_host_device_scalarIT6_EEPKT4_S5_PKS7_SB_S5_SD_S8_SB_S5_SD_SB_S5_PS7_21rocsparse_index_base_SF_SF_SF_bbb, .Lfunc_end213-_ZN9rocsparseL41csrgemm_numeric_fill_block_per_row_kernelILj1024ELj64ELj8192ELj137ELj64Eli21rocsparse_complex_numIfEEEvT5_PKS3_S5_NS_24const_host_device_scalarIT6_EEPKT4_S5_PKS7_SB_S5_SD_S8_SB_S5_SD_SB_S5_PS7_21rocsparse_index_base_SF_SF_SF_bbb
                                        ; -- End function
	.set _ZN9rocsparseL41csrgemm_numeric_fill_block_per_row_kernelILj1024ELj64ELj8192ELj137ELj64Eli21rocsparse_complex_numIfEEEvT5_PKS3_S5_NS_24const_host_device_scalarIT6_EEPKT4_S5_PKS7_SB_S5_SD_S8_SB_S5_SD_SB_S5_PS7_21rocsparse_index_base_SF_SF_SF_bbb.num_vgpr, 20
	.set _ZN9rocsparseL41csrgemm_numeric_fill_block_per_row_kernelILj1024ELj64ELj8192ELj137ELj64Eli21rocsparse_complex_numIfEEEvT5_PKS3_S5_NS_24const_host_device_scalarIT6_EEPKT4_S5_PKS7_SB_S5_SD_S8_SB_S5_SD_SB_S5_PS7_21rocsparse_index_base_SF_SF_SF_bbb.num_agpr, 0
	.set _ZN9rocsparseL41csrgemm_numeric_fill_block_per_row_kernelILj1024ELj64ELj8192ELj137ELj64Eli21rocsparse_complex_numIfEEEvT5_PKS3_S5_NS_24const_host_device_scalarIT6_EEPKT4_S5_PKS7_SB_S5_SD_S8_SB_S5_SD_SB_S5_PS7_21rocsparse_index_base_SF_SF_SF_bbb.numbered_sgpr, 48
	.set _ZN9rocsparseL41csrgemm_numeric_fill_block_per_row_kernelILj1024ELj64ELj8192ELj137ELj64Eli21rocsparse_complex_numIfEEEvT5_PKS3_S5_NS_24const_host_device_scalarIT6_EEPKT4_S5_PKS7_SB_S5_SD_S8_SB_S5_SD_SB_S5_PS7_21rocsparse_index_base_SF_SF_SF_bbb.num_named_barrier, 0
	.set _ZN9rocsparseL41csrgemm_numeric_fill_block_per_row_kernelILj1024ELj64ELj8192ELj137ELj64Eli21rocsparse_complex_numIfEEEvT5_PKS3_S5_NS_24const_host_device_scalarIT6_EEPKT4_S5_PKS7_SB_S5_SD_S8_SB_S5_SD_SB_S5_PS7_21rocsparse_index_base_SF_SF_SF_bbb.private_seg_size, 0
	.set _ZN9rocsparseL41csrgemm_numeric_fill_block_per_row_kernelILj1024ELj64ELj8192ELj137ELj64Eli21rocsparse_complex_numIfEEEvT5_PKS3_S5_NS_24const_host_device_scalarIT6_EEPKT4_S5_PKS7_SB_S5_SD_S8_SB_S5_SD_SB_S5_PS7_21rocsparse_index_base_SF_SF_SF_bbb.uses_vcc, 1
	.set _ZN9rocsparseL41csrgemm_numeric_fill_block_per_row_kernelILj1024ELj64ELj8192ELj137ELj64Eli21rocsparse_complex_numIfEEEvT5_PKS3_S5_NS_24const_host_device_scalarIT6_EEPKT4_S5_PKS7_SB_S5_SD_S8_SB_S5_SD_SB_S5_PS7_21rocsparse_index_base_SF_SF_SF_bbb.uses_flat_scratch, 0
	.set _ZN9rocsparseL41csrgemm_numeric_fill_block_per_row_kernelILj1024ELj64ELj8192ELj137ELj64Eli21rocsparse_complex_numIfEEEvT5_PKS3_S5_NS_24const_host_device_scalarIT6_EEPKT4_S5_PKS7_SB_S5_SD_S8_SB_S5_SD_SB_S5_PS7_21rocsparse_index_base_SF_SF_SF_bbb.has_dyn_sized_stack, 0
	.set _ZN9rocsparseL41csrgemm_numeric_fill_block_per_row_kernelILj1024ELj64ELj8192ELj137ELj64Eli21rocsparse_complex_numIfEEEvT5_PKS3_S5_NS_24const_host_device_scalarIT6_EEPKT4_S5_PKS7_SB_S5_SD_S8_SB_S5_SD_SB_S5_PS7_21rocsparse_index_base_SF_SF_SF_bbb.has_recursion, 0
	.set _ZN9rocsparseL41csrgemm_numeric_fill_block_per_row_kernelILj1024ELj64ELj8192ELj137ELj64Eli21rocsparse_complex_numIfEEEvT5_PKS3_S5_NS_24const_host_device_scalarIT6_EEPKT4_S5_PKS7_SB_S5_SD_S8_SB_S5_SD_SB_S5_PS7_21rocsparse_index_base_SF_SF_SF_bbb.has_indirect_call, 0
	.section	.AMDGPU.csdata,"",@progbits
; Kernel info:
; codeLenInByte = 3720
; TotalNumSgprs: 50
; NumVgprs: 20
; ScratchSize: 0
; MemoryBound: 0
; FloatMode: 240
; IeeeMode: 1
; LDSByteSize: 0 bytes/workgroup (compile time only)
; SGPRBlocks: 0
; VGPRBlocks: 1
; NumSGPRsForWavesPerEU: 50
; NumVGPRsForWavesPerEU: 20
; NamedBarCnt: 0
; Occupancy: 16
; WaveLimiterHint : 1
; COMPUTE_PGM_RSRC2:SCRATCH_EN: 0
; COMPUTE_PGM_RSRC2:USER_SGPR: 2
; COMPUTE_PGM_RSRC2:TRAP_HANDLER: 0
; COMPUTE_PGM_RSRC2:TGID_X_EN: 1
; COMPUTE_PGM_RSRC2:TGID_Y_EN: 0
; COMPUTE_PGM_RSRC2:TGID_Z_EN: 0
; COMPUTE_PGM_RSRC2:TIDIG_COMP_CNT: 0
	.section	.text._ZN9rocsparseL41csrgemm_numeric_fill_block_per_row_kernelILj1024ELj64ELj16384ELj137ELj32Eli21rocsparse_complex_numIfEEEvT5_PKS3_S5_NS_24const_host_device_scalarIT6_EEPKT4_S5_PKS7_SB_S5_SD_S8_SB_S5_SD_SB_S5_PS7_21rocsparse_index_base_SF_SF_SF_bbb,"axG",@progbits,_ZN9rocsparseL41csrgemm_numeric_fill_block_per_row_kernelILj1024ELj64ELj16384ELj137ELj32Eli21rocsparse_complex_numIfEEEvT5_PKS3_S5_NS_24const_host_device_scalarIT6_EEPKT4_S5_PKS7_SB_S5_SD_S8_SB_S5_SD_SB_S5_PS7_21rocsparse_index_base_SF_SF_SF_bbb,comdat
	.globl	_ZN9rocsparseL41csrgemm_numeric_fill_block_per_row_kernelILj1024ELj64ELj16384ELj137ELj32Eli21rocsparse_complex_numIfEEEvT5_PKS3_S5_NS_24const_host_device_scalarIT6_EEPKT4_S5_PKS7_SB_S5_SD_S8_SB_S5_SD_SB_S5_PS7_21rocsparse_index_base_SF_SF_SF_bbb ; -- Begin function _ZN9rocsparseL41csrgemm_numeric_fill_block_per_row_kernelILj1024ELj64ELj16384ELj137ELj32Eli21rocsparse_complex_numIfEEEvT5_PKS3_S5_NS_24const_host_device_scalarIT6_EEPKT4_S5_PKS7_SB_S5_SD_S8_SB_S5_SD_SB_S5_PS7_21rocsparse_index_base_SF_SF_SF_bbb
	.p2align	8
	.type	_ZN9rocsparseL41csrgemm_numeric_fill_block_per_row_kernelILj1024ELj64ELj16384ELj137ELj32Eli21rocsparse_complex_numIfEEEvT5_PKS3_S5_NS_24const_host_device_scalarIT6_EEPKT4_S5_PKS7_SB_S5_SD_S8_SB_S5_SD_SB_S5_PS7_21rocsparse_index_base_SF_SF_SF_bbb,@function
_ZN9rocsparseL41csrgemm_numeric_fill_block_per_row_kernelILj1024ELj64ELj16384ELj137ELj32Eli21rocsparse_complex_numIfEEEvT5_PKS3_S5_NS_24const_host_device_scalarIT6_EEPKT4_S5_PKS7_SB_S5_SD_S8_SB_S5_SD_SB_S5_PS7_21rocsparse_index_base_SF_SF_SF_bbb: ; @_ZN9rocsparseL41csrgemm_numeric_fill_block_per_row_kernelILj1024ELj64ELj16384ELj137ELj32Eli21rocsparse_complex_numIfEEEvT5_PKS3_S5_NS_24const_host_device_scalarIT6_EEPKT4_S5_PKS7_SB_S5_SD_S8_SB_S5_SD_SB_S5_PS7_21rocsparse_index_base_SF_SF_SF_bbb
; %bb.0:
	s_clause 0x3
	s_load_b32 s22, s[0:1], 0x98
	s_load_b128 s[44:47], s[0:1], 0x88
	s_load_b128 s[16:19], s[0:1], 0x8
	s_load_b64 s[20:21], s[0:1], 0x50
	s_mov_b32 s3, 0
	s_mov_b32 s24, 0
	s_wait_kmcnt 0x0
	s_bitcmp1_b32 s22, 0
	s_cselect_b32 s25, -1, 0
	s_bitcmp1_b32 s22, 16
	s_cselect_b32 s2, -1, 0
	s_delay_alu instid0(SALU_CYCLE_1) | instskip(SKIP_2) | instid1(VALU_DEP_1)
	s_xor_b32 s4, s2, -1
	s_bitcmp0_b32 s22, 0
	v_cndmask_b32_e64 v1, 0, 1, s4
	v_cmp_ne_u32_e32 vcc_lo, 1, v1
	s_cbranch_scc1 .LBB214_5
; %bb.1:
	s_load_b64 s[2:3], s[0:1], 0x18
	s_and_b32 vcc_lo, exec_lo, vcc_lo
	s_wait_kmcnt 0x0
	s_mov_b32 s24, s2
	s_cbranch_vccnz .LBB214_3
; %bb.2:
	s_load_b32 s24, s[2:3], 0x0
.LBB214_3:
	s_and_not1_b32 vcc_lo, exec_lo, s4
	s_cbranch_vccnz .LBB214_5
; %bb.4:
	s_wait_xcnt 0x0
	s_load_b32 s3, s[2:3], 0x4
.LBB214_5:
	s_clause 0x3
	s_load_b64 s[34:35], s[0:1], 0x80
	s_load_b256 s[36:43], s[0:1], 0x58
	s_load_b128 s[12:15], s[0:1], 0x40
	s_load_b256 s[4:11], s[0:1], 0x20
	s_bitcmp1_b32 s22, 8
	s_wait_xcnt 0x0
	s_cselect_b32 s2, -1, 0
	s_bfe_u32 s23, s22, 0x10008
	s_mov_b32 s22, 0
	s_cmp_eq_u32 s23, 0
	s_mov_b32 s23, 0
	s_cbranch_scc1 .LBB214_11
; %bb.6:
	v_cmp_ne_u32_e32 vcc_lo, 1, v1
	s_mov_b32 s22, s20
	s_cbranch_vccnz .LBB214_8
; %bb.7:
	s_load_b32 s22, s[20:21], 0x0
.LBB214_8:
	v_cmp_ne_u32_e32 vcc_lo, 1, v1
	s_cbranch_vccnz .LBB214_10
; %bb.9:
	s_wait_xcnt 0x0
	s_load_b32 s21, s[20:21], 0x4
.LBB214_10:
	s_wait_kmcnt 0x0
	s_mov_b32 s23, s21
.LBB214_11:
	s_load_b32 s33, s[0:1], 0x0
	v_lshl_add_u32 v12, v0, 2, 0
	v_lshlrev_b32_e32 v1, 3, v0
	v_or_b32_e32 v14, 0xfffffc00, v0
	s_wait_xcnt 0x0
	s_mov_b32 s0, 0
	v_mov_b32_e32 v2, v12
	v_add3_u32 v13, v1, 0, 0x10000
	v_dual_mov_b32 v1, 0 :: v_dual_mov_b32 v5, v14
	s_wait_kmcnt 0x0
	s_delay_alu instid0(VALU_DEP_2)
	v_dual_mov_b32 v3, v13 :: v_dual_mov_b32 v4, s33
.LBB214_12:                             ; =>This Inner Loop Header: Depth=1
	s_delay_alu instid0(VALU_DEP_2)
	v_add_nc_u32_e32 v5, 0x400, v5
	ds_store_b32 v2, v4
	ds_store_2addr_b32 v3, v1, v1 offset1:1
	v_add_nc_u32_e32 v3, 0x2000, v3
	v_add_nc_u32_e32 v2, 0x1000, v2
	v_cmp_lt_u32_e32 vcc_lo, 0x3bff, v5
	s_or_b32 s0, vcc_lo, s0
	s_delay_alu instid0(SALU_CYCLE_1)
	s_and_not1_b32 exec_lo, exec_lo, s0
	s_cbranch_execnz .LBB214_12
; %bb.13:
	s_or_b32 exec_lo, exec_lo, s0
	s_wait_dscnt 0x0
	s_barrier_signal -1
	s_barrier_wait -1
	s_load_b32 s0, s[16:17], 0x0
	s_bfe_u32 s1, ttmp6, 0x4000c
	s_wait_xcnt 0x0
	s_and_b32 s16, ttmp6, 15
	s_add_co_i32 s1, s1, 1
	s_getreg_b32 s17, hwreg(HW_REG_IB_STS2, 6, 4)
	s_mul_i32 s1, ttmp9, s1
	s_delay_alu instid0(SALU_CYCLE_1)
	s_add_co_i32 s16, s16, s1
	s_cmp_eq_u32 s17, 0
	s_cselect_b32 s1, ttmp9, s16
	s_and_b32 vcc_lo, exec_lo, s25
	s_wait_kmcnt 0x0
	s_add_co_i32 s0, s0, s1
	s_mov_b32 s1, 0
	s_load_b32 s48, s[18:19], s0 offset:0x0 scale_offset
	s_cbranch_vccz .LBB214_31
; %bb.14:
	s_wait_kmcnt 0x0
	s_ashr_i32 s49, s48, 31
	v_dual_mov_b32 v5, 0 :: v_dual_lshrrev_b32 v4, 6, v0
	s_lshl_b64 s[16:17], s[48:49], 3
	s_mov_b32 s0, s44
	s_add_nc_u64 s[4:5], s[4:5], s[16:17]
	s_load_b128 s[16:19], s[4:5], 0x0
	v_sub_nc_u64_e64 v[2:3], v[4:5], s[0:1]
	s_wait_kmcnt 0x0
	s_delay_alu instid0(VALU_DEP_1) | instskip(SKIP_2) | instid1(VALU_DEP_1)
	v_add_nc_u64_e32 v[2:3], s[16:17], v[2:3]
	s_sub_nc_u64 s[0:1], s[18:19], s[0:1]
	s_mov_b32 s16, exec_lo
	v_cmpx_gt_i64_e64 s[0:1], v[2:3]
	s_cbranch_execz .LBB214_30
; %bb.15:
	v_and_b32_e32 v4, 63, v0
	s_mov_b32 s5, 0
	s_mov_b32 s4, s45
	;; [unrolled: 1-line block ×3, first 2 shown]
	s_delay_alu instid0(VALU_DEP_1)
	v_sub_nc_u64_e64 v[4:5], v[4:5], s[4:5]
	s_branch .LBB214_17
.LBB214_16:                             ;   in Loop: Header=BB214_17 Depth=1
	s_or_b32 exec_lo, exec_lo, s18
	v_add_nc_u64_e32 v[2:3], 16, v[2:3]
	s_delay_alu instid0(VALU_DEP_1) | instskip(SKIP_1) | instid1(SALU_CYCLE_1)
	v_cmp_le_i64_e32 vcc_lo, s[0:1], v[2:3]
	s_or_b32 s17, vcc_lo, s17
	s_and_not1_b32 exec_lo, exec_lo, s17
	s_cbranch_execz .LBB214_30
.LBB214_17:                             ; =>This Loop Header: Depth=1
                                        ;     Child Loop BB214_21 Depth 2
                                        ;       Child Loop BB214_24 Depth 3
	v_lshl_add_u64 v[6:7], v[2:3], 2, s[6:7]
	s_mov_b32 s18, exec_lo
	global_load_b32 v1, v[6:7], off
	s_wait_loadcnt 0x0
	s_wait_xcnt 0x0
	v_subrev_nc_u32_e32 v6, s44, v1
	s_delay_alu instid0(VALU_DEP_1) | instskip(NEXT) | instid1(VALU_DEP_1)
	v_ashrrev_i32_e32 v7, 31, v6
	v_lshl_add_u64 v[6:7], v[6:7], 3, s[10:11]
	global_load_b128 v[8:11], v[6:7], off
	s_wait_loadcnt 0x0
	s_wait_xcnt 0x0
	v_sub_nc_u64_e64 v[6:7], v[10:11], s[4:5]
	v_add_nc_u64_e32 v[8:9], v[8:9], v[4:5]
	s_delay_alu instid0(VALU_DEP_1)
	v_cmpx_lt_i64_e64 v[8:9], v[6:7]
	s_cbranch_execz .LBB214_16
; %bb.18:                               ;   in Loop: Header=BB214_17 Depth=1
	v_lshl_add_u64 v[10:11], v[2:3], 3, s[8:9]
	s_mov_b32 s19, 0
	global_load_b64 v[10:11], v[10:11], off
	s_wait_loadcnt 0x0
	v_mul_f32_e64 v1, v11, -s3
	s_delay_alu instid0(VALU_DEP_1) | instskip(NEXT) | instid1(VALU_DEP_1)
	v_dual_mul_f32 v15, s24, v11 :: v_dual_fmac_f32 v1, s24, v10
	v_fmac_f32_e32 v15, s3, v10
	s_branch .LBB214_21
.LBB214_19:                             ;   in Loop: Header=BB214_21 Depth=2
	s_or_b32 exec_lo, exec_lo, s21
.LBB214_20:                             ;   in Loop: Header=BB214_21 Depth=2
	s_delay_alu instid0(SALU_CYCLE_1) | instskip(SKIP_4) | instid1(VALU_DEP_3)
	s_or_b32 exec_lo, exec_lo, s20
	s_wait_loadcnt 0x0
	v_dual_mul_f32 v17, v11, -v15 :: v_dual_lshlrev_b32 v16, 3, v16
	v_mul_f32_e32 v11, v1, v11
	v_add_nc_u64_e32 v[8:9], 64, v[8:9]
	v_fmac_f32_e32 v17, v1, v10
	s_delay_alu instid0(VALU_DEP_4) | instskip(NEXT) | instid1(VALU_DEP_4)
	v_add3_u32 v16, 0, v16, 0x10000
	v_fmac_f32_e32 v11, v15, v10
	ds_add_f32 v16, v17
	ds_add_f32 v16, v11 offset:4
	v_cmp_ge_i64_e32 vcc_lo, v[8:9], v[6:7]
	s_or_b32 s19, vcc_lo, s19
	s_delay_alu instid0(SALU_CYCLE_1)
	s_and_not1_b32 exec_lo, exec_lo, s19
	s_cbranch_execz .LBB214_16
.LBB214_21:                             ;   Parent Loop BB214_17 Depth=1
                                        ; =>  This Loop Header: Depth=2
                                        ;       Child Loop BB214_24 Depth 3
	s_wait_xcnt 0x0
	v_lshl_add_u64 v[10:11], v[8:9], 2, s[12:13]
	s_mov_b32 s20, exec_lo
	global_load_b32 v16, v[10:11], off
	s_wait_xcnt 0x0
	v_lshl_add_u64 v[10:11], v[8:9], 3, s[14:15]
	global_load_b64 v[10:11], v[10:11], off
	s_wait_loadcnt 0x1
	v_subrev_nc_u32_e32 v17, s45, v16
	s_delay_alu instid0(VALU_DEP_1) | instskip(NEXT) | instid1(VALU_DEP_1)
	v_mul_lo_u32 v16, 0x89, v17
	v_and_b32_e32 v16, 0x3fff, v16
	s_delay_alu instid0(VALU_DEP_1)
	v_lshl_add_u32 v18, v16, 2, 0
	ds_load_b32 v19, v18
	s_wait_dscnt 0x0
	s_wait_xcnt 0x0
	v_cmpx_ne_u32_e64 v19, v17
	s_cbranch_execz .LBB214_20
; %bb.22:                               ;   in Loop: Header=BB214_21 Depth=2
	s_mov_b32 s21, 0
	s_branch .LBB214_24
.LBB214_23:                             ;   in Loop: Header=BB214_24 Depth=3
	s_or_b32 exec_lo, exec_lo, s27
	s_delay_alu instid0(SALU_CYCLE_1) | instskip(NEXT) | instid1(SALU_CYCLE_1)
	s_and_b32 s25, exec_lo, s26
	s_or_b32 s21, s25, s21
	s_delay_alu instid0(SALU_CYCLE_1)
	s_and_not1_b32 exec_lo, exec_lo, s21
	s_cbranch_execz .LBB214_19
.LBB214_24:                             ;   Parent Loop BB214_17 Depth=1
                                        ;     Parent Loop BB214_21 Depth=2
                                        ; =>    This Inner Loop Header: Depth=3
	s_mov_b32 s25, 0
	s_mov_b32 s26, exec_lo
	v_cmpx_ne_u32_e64 s33, v19
	s_xor_b32 s26, exec_lo, s26
	s_cbranch_execz .LBB214_26
; %bb.25:                               ;   in Loop: Header=BB214_24 Depth=3
	v_add_nc_u32_e32 v16, 1, v16
	s_mov_b32 s25, exec_lo
                                        ; implicit-def: $vgpr18
	s_delay_alu instid0(VALU_DEP_1)
	v_and_b32_e32 v16, 0x3fff, v16
	s_and_not1_saveexec_b32 s26, s26
	s_cbranch_execz .LBB214_28
	s_branch .LBB214_27
.LBB214_26:                             ;   in Loop: Header=BB214_24 Depth=3
	s_and_not1_saveexec_b32 s26, s26
	s_cbranch_execz .LBB214_28
.LBB214_27:                             ;   in Loop: Header=BB214_24 Depth=3
	v_mov_b32_e32 v19, s33
	s_and_not1_b32 s25, s25, exec_lo
	ds_cmpstore_rtn_b32 v18, v18, v17, v19
	s_wait_dscnt 0x0
	v_cmp_ne_u32_e32 vcc_lo, s33, v18
	s_and_b32 s27, vcc_lo, exec_lo
	s_delay_alu instid0(SALU_CYCLE_1)
	s_or_b32 s25, s25, s27
.LBB214_28:                             ;   in Loop: Header=BB214_24 Depth=3
	s_or_b32 exec_lo, exec_lo, s26
	s_mov_b32 s26, -1
                                        ; implicit-def: $vgpr18
                                        ; implicit-def: $vgpr19
	s_and_saveexec_b32 s27, s25
	s_cbranch_execz .LBB214_23
; %bb.29:                               ;   in Loop: Header=BB214_24 Depth=3
	v_lshl_add_u32 v18, v16, 2, 0
	ds_load_b32 v19, v18
	s_wait_dscnt 0x0
	v_cmp_eq_u32_e32 vcc_lo, v19, v17
	s_or_not1_b32 s26, vcc_lo, exec_lo
	s_branch .LBB214_23
.LBB214_30:
	s_or_b32 exec_lo, exec_lo, s16
.LBB214_31:
	s_delay_alu instid0(SALU_CYCLE_1)
	s_and_not1_b32 vcc_lo, exec_lo, s2
	s_cbranch_vccnz .LBB214_34
; %bb.32:
	s_wait_kmcnt 0x0
	s_ashr_i32 s49, s48, 31
	v_mov_b32_e32 v1, 0
	s_lshl_b64 s[0:1], s[48:49], 3
	s_delay_alu instid0(SALU_CYCLE_1) | instskip(SKIP_4) | instid1(SALU_CYCLE_1)
	s_add_nc_u64 s[0:1], s[36:37], s[0:1]
	s_load_b128 s[4:7], s[0:1], 0x0
	s_wait_xcnt 0x0
	s_mov_b32 s1, 0
	s_mov_b32 s0, s47
	v_sub_nc_u64_e64 v[2:3], v[0:1], s[0:1]
	s_wait_kmcnt 0x0
	s_delay_alu instid0(VALU_DEP_1) | instskip(SKIP_2) | instid1(VALU_DEP_1)
	v_add_nc_u64_e32 v[2:3], s[4:5], v[2:3]
	s_sub_nc_u64 s[2:3], s[6:7], s[0:1]
	s_mov_b32 s0, exec_lo
	v_cmpx_gt_i64_e64 s[2:3], v[2:3]
	s_cbranch_execnz .LBB214_104
.LBB214_33:
	s_or_b32 exec_lo, exec_lo, s0
.LBB214_34:
	v_mbcnt_lo_u32_b32 v1, -1, 0
	v_lshrrev_b32_e32 v2, 3, v0
	s_wait_xcnt 0x0
	v_cmp_lt_u32_e64 s0, 31, v0
	v_cmp_lt_u32_e64 s1, 63, v0
	;; [unrolled: 1-line block ×3, first 2 shown]
	v_xor_b32_e32 v3, 31, v1
	v_and_b32_e32 v4, 0x7c, v2
	v_mov_b32_e32 v1, 0
	v_cmp_lt_u32_e64 s3, 0x7f, v0
	v_cmp_lt_u32_e64 s4, 0x9f, v0
	v_lshrrev_b32_e64 v2, v3, -1
	v_add3_u32 v3, 0x30000, 0, v4
	v_cmp_lt_u32_e64 s5, 0xbf, v0
	v_cmp_lt_u32_e64 s6, 0xdf, v0
	;; [unrolled: 1-line block ×26, first 2 shown]
	s_mov_b32 s36, 0
	s_add_co_i32 s37, 0, 0x30000
	s_add_co_i32 s38, 0, 0x30004
	;; [unrolled: 1-line block ×32, first 2 shown]
	s_wait_dscnt 0x0
	s_barrier_signal -1
	s_barrier_wait -1
	v_cmp_eq_u32_e32 vcc_lo, 0x3ff, v0
	s_branch .LBB214_36
.LBB214_35:                             ;   in Loop: Header=BB214_36 Depth=1
	s_or_b32 exec_lo, exec_lo, s31
	v_dual_mov_b32 v4, s72 :: v_dual_add_nc_u32 v13, 0x2000, v13
	s_wait_dscnt 0x0
	s_barrier_signal -1
	s_barrier_wait -1
	ds_load_b32 v4, v4
	v_add_nc_u32_e32 v14, 0x400, v14
	v_add_nc_u32_e32 v12, 0x1000, v12
	s_delay_alu instid0(VALU_DEP_2)
	v_cmp_lt_u32_e64 s31, 0x3bff, v14
	s_or_b32 s36, s31, s36
	s_wait_dscnt 0x0
	v_add_nc_u32_e32 v1, v4, v1
	s_and_not1_b32 exec_lo, exec_lo, s36
	s_cbranch_execz .LBB214_113
.LBB214_36:                             ; =>This Inner Loop Header: Depth=1
	ds_load_b32 v6, v12
	ds_load_2addr_b32 v[4:5], v13 offset1:1
	s_wait_dscnt 0x0
	s_barrier_signal -1
	s_barrier_wait -1
	v_cmp_gt_i32_e64 s31, s33, v6
	s_bcnt1_i32_b32 s73, s31
	s_delay_alu instid0(SALU_CYCLE_1) | instskip(NEXT) | instid1(VALU_DEP_1)
	v_dual_mov_b32 v8, s73 :: v_dual_bitop2_b32 v7, s31, v2 bitop3:0x40
	v_bcnt_u32_b32 v7, v7, 0
	ds_store_b32 v3, v8
	s_wait_dscnt 0x0
	s_barrier_signal -1
	s_barrier_wait -1
	s_and_saveexec_b32 s73, s0
	s_cbranch_execz .LBB214_69
; %bb.37:                               ;   in Loop: Header=BB214_36 Depth=1
	v_mov_b32_e32 v8, s37
	ds_load_b32 v8, v8
	s_wait_dscnt 0x0
	v_add_nc_u32_e32 v7, v8, v7
	s_or_b32 exec_lo, exec_lo, s73
	s_and_saveexec_b32 s73, s1
	s_cbranch_execnz .LBB214_70
.LBB214_38:                             ;   in Loop: Header=BB214_36 Depth=1
	s_or_b32 exec_lo, exec_lo, s73
	s_and_saveexec_b32 s73, s2
	s_cbranch_execz .LBB214_71
.LBB214_39:                             ;   in Loop: Header=BB214_36 Depth=1
	v_mov_b32_e32 v8, s39
	ds_load_b32 v8, v8
	s_wait_dscnt 0x0
	v_add_nc_u32_e32 v7, v8, v7
	s_or_b32 exec_lo, exec_lo, s73
	s_and_saveexec_b32 s73, s3
	s_cbranch_execnz .LBB214_72
.LBB214_40:                             ;   in Loop: Header=BB214_36 Depth=1
	s_or_b32 exec_lo, exec_lo, s73
	s_and_saveexec_b32 s73, s4
	s_cbranch_execz .LBB214_73
.LBB214_41:                             ;   in Loop: Header=BB214_36 Depth=1
	v_mov_b32_e32 v8, s41
	ds_load_b32 v8, v8
	s_wait_dscnt 0x0
	v_add_nc_u32_e32 v7, v8, v7
	s_or_b32 exec_lo, exec_lo, s73
	s_and_saveexec_b32 s73, s5
	s_cbranch_execnz .LBB214_74
.LBB214_42:                             ;   in Loop: Header=BB214_36 Depth=1
	s_or_b32 exec_lo, exec_lo, s73
	s_and_saveexec_b32 s73, s6
	s_cbranch_execz .LBB214_75
.LBB214_43:                             ;   in Loop: Header=BB214_36 Depth=1
	v_mov_b32_e32 v8, s45
	ds_load_b32 v8, v8
	s_wait_dscnt 0x0
	v_add_nc_u32_e32 v7, v8, v7
	s_or_b32 exec_lo, exec_lo, s73
	s_and_saveexec_b32 s73, s7
	s_cbranch_execnz .LBB214_76
.LBB214_44:                             ;   in Loop: Header=BB214_36 Depth=1
	s_or_b32 exec_lo, exec_lo, s73
	s_and_saveexec_b32 s73, s8
	s_cbranch_execz .LBB214_77
.LBB214_45:                             ;   in Loop: Header=BB214_36 Depth=1
	v_mov_b32_e32 v8, s49
	ds_load_b32 v8, v8
	s_wait_dscnt 0x0
	v_add_nc_u32_e32 v7, v8, v7
	s_or_b32 exec_lo, exec_lo, s73
	s_and_saveexec_b32 s73, s9
	s_cbranch_execnz .LBB214_78
.LBB214_46:                             ;   in Loop: Header=BB214_36 Depth=1
	s_or_b32 exec_lo, exec_lo, s73
	s_and_saveexec_b32 s73, s10
	s_cbranch_execz .LBB214_79
.LBB214_47:                             ;   in Loop: Header=BB214_36 Depth=1
	v_mov_b32_e32 v8, s51
	ds_load_b32 v8, v8
	s_wait_dscnt 0x0
	v_add_nc_u32_e32 v7, v8, v7
	s_or_b32 exec_lo, exec_lo, s73
	s_and_saveexec_b32 s73, s11
	s_cbranch_execnz .LBB214_80
.LBB214_48:                             ;   in Loop: Header=BB214_36 Depth=1
	s_or_b32 exec_lo, exec_lo, s73
	s_and_saveexec_b32 s73, s12
	s_cbranch_execz .LBB214_81
.LBB214_49:                             ;   in Loop: Header=BB214_36 Depth=1
	v_mov_b32_e32 v8, s53
	ds_load_b32 v8, v8
	s_wait_dscnt 0x0
	v_add_nc_u32_e32 v7, v8, v7
	s_or_b32 exec_lo, exec_lo, s73
	s_and_saveexec_b32 s73, s13
	s_cbranch_execnz .LBB214_82
.LBB214_50:                             ;   in Loop: Header=BB214_36 Depth=1
	s_or_b32 exec_lo, exec_lo, s73
	s_and_saveexec_b32 s73, s14
	s_cbranch_execz .LBB214_83
.LBB214_51:                             ;   in Loop: Header=BB214_36 Depth=1
	v_mov_b32_e32 v8, s55
	ds_load_b32 v8, v8
	s_wait_dscnt 0x0
	v_add_nc_u32_e32 v7, v8, v7
	s_or_b32 exec_lo, exec_lo, s73
	s_and_saveexec_b32 s73, s15
	s_cbranch_execnz .LBB214_84
.LBB214_52:                             ;   in Loop: Header=BB214_36 Depth=1
	s_or_b32 exec_lo, exec_lo, s73
	s_and_saveexec_b32 s73, s16
	s_cbranch_execz .LBB214_85
.LBB214_53:                             ;   in Loop: Header=BB214_36 Depth=1
	v_mov_b32_e32 v8, s57
	ds_load_b32 v8, v8
	s_wait_dscnt 0x0
	v_add_nc_u32_e32 v7, v8, v7
	s_or_b32 exec_lo, exec_lo, s73
	s_and_saveexec_b32 s73, s17
	s_cbranch_execnz .LBB214_86
.LBB214_54:                             ;   in Loop: Header=BB214_36 Depth=1
	s_or_b32 exec_lo, exec_lo, s73
	s_and_saveexec_b32 s73, s18
	s_cbranch_execz .LBB214_87
.LBB214_55:                             ;   in Loop: Header=BB214_36 Depth=1
	v_mov_b32_e32 v8, s59
	ds_load_b32 v8, v8
	s_wait_dscnt 0x0
	v_add_nc_u32_e32 v7, v8, v7
	s_or_b32 exec_lo, exec_lo, s73
	s_and_saveexec_b32 s73, s19
	s_cbranch_execnz .LBB214_88
.LBB214_56:                             ;   in Loop: Header=BB214_36 Depth=1
	s_or_b32 exec_lo, exec_lo, s73
	s_and_saveexec_b32 s73, s20
	s_cbranch_execz .LBB214_89
.LBB214_57:                             ;   in Loop: Header=BB214_36 Depth=1
	v_mov_b32_e32 v8, s61
	ds_load_b32 v8, v8
	s_wait_dscnt 0x0
	v_add_nc_u32_e32 v7, v8, v7
	s_or_b32 exec_lo, exec_lo, s73
	s_and_saveexec_b32 s73, s21
	s_cbranch_execnz .LBB214_90
.LBB214_58:                             ;   in Loop: Header=BB214_36 Depth=1
	s_or_b32 exec_lo, exec_lo, s73
	s_and_saveexec_b32 s73, s22
	s_cbranch_execz .LBB214_91
.LBB214_59:                             ;   in Loop: Header=BB214_36 Depth=1
	v_mov_b32_e32 v8, s63
	ds_load_b32 v8, v8
	s_wait_dscnt 0x0
	v_add_nc_u32_e32 v7, v8, v7
	s_or_b32 exec_lo, exec_lo, s73
	s_and_saveexec_b32 s73, s23
	s_cbranch_execnz .LBB214_92
.LBB214_60:                             ;   in Loop: Header=BB214_36 Depth=1
	s_or_b32 exec_lo, exec_lo, s73
	s_and_saveexec_b32 s73, s24
	s_cbranch_execz .LBB214_93
.LBB214_61:                             ;   in Loop: Header=BB214_36 Depth=1
	v_mov_b32_e32 v8, s65
	ds_load_b32 v8, v8
	s_wait_dscnt 0x0
	v_add_nc_u32_e32 v7, v8, v7
	s_or_b32 exec_lo, exec_lo, s73
	s_and_saveexec_b32 s73, s25
	s_cbranch_execnz .LBB214_94
.LBB214_62:                             ;   in Loop: Header=BB214_36 Depth=1
	s_or_b32 exec_lo, exec_lo, s73
	s_and_saveexec_b32 s73, s26
	s_cbranch_execz .LBB214_95
.LBB214_63:                             ;   in Loop: Header=BB214_36 Depth=1
	v_mov_b32_e32 v8, s67
	ds_load_b32 v8, v8
	s_wait_dscnt 0x0
	v_add_nc_u32_e32 v7, v8, v7
	s_or_b32 exec_lo, exec_lo, s73
	s_and_saveexec_b32 s73, s27
	s_cbranch_execnz .LBB214_96
.LBB214_64:                             ;   in Loop: Header=BB214_36 Depth=1
	s_or_b32 exec_lo, exec_lo, s73
	s_and_saveexec_b32 s73, s28
	s_cbranch_execz .LBB214_97
.LBB214_65:                             ;   in Loop: Header=BB214_36 Depth=1
	v_mov_b32_e32 v8, s69
	ds_load_b32 v8, v8
	s_wait_dscnt 0x0
	v_add_nc_u32_e32 v7, v8, v7
	s_or_b32 exec_lo, exec_lo, s73
	s_and_saveexec_b32 s73, s29
	s_cbranch_execnz .LBB214_98
.LBB214_66:                             ;   in Loop: Header=BB214_36 Depth=1
	s_or_b32 exec_lo, exec_lo, s73
	s_and_saveexec_b32 s73, s30
	s_cbranch_execz .LBB214_99
.LBB214_67:                             ;   in Loop: Header=BB214_36 Depth=1
	v_mov_b32_e32 v8, s71
	ds_load_b32 v8, v8
	s_wait_dscnt 0x0
	v_add_nc_u32_e32 v7, v8, v7
	s_or_b32 exec_lo, exec_lo, s73
	s_and_saveexec_b32 s73, s31
	s_cbranch_execnz .LBB214_100
.LBB214_68:                             ;   in Loop: Header=BB214_36 Depth=1
	s_or_b32 exec_lo, exec_lo, s73
	s_and_saveexec_b32 s31, vcc_lo
	s_cbranch_execz .LBB214_35
	s_branch .LBB214_101
.LBB214_69:                             ;   in Loop: Header=BB214_36 Depth=1
	s_or_b32 exec_lo, exec_lo, s73
	s_and_saveexec_b32 s73, s1
	s_cbranch_execz .LBB214_38
.LBB214_70:                             ;   in Loop: Header=BB214_36 Depth=1
	v_mov_b32_e32 v8, s38
	ds_load_b32 v8, v8
	s_wait_dscnt 0x0
	v_add_nc_u32_e32 v7, v8, v7
	s_or_b32 exec_lo, exec_lo, s73
	s_and_saveexec_b32 s73, s2
	s_cbranch_execnz .LBB214_39
.LBB214_71:                             ;   in Loop: Header=BB214_36 Depth=1
	s_or_b32 exec_lo, exec_lo, s73
	s_and_saveexec_b32 s73, s3
	s_cbranch_execz .LBB214_40
.LBB214_72:                             ;   in Loop: Header=BB214_36 Depth=1
	v_mov_b32_e32 v8, s40
	ds_load_b32 v8, v8
	s_wait_dscnt 0x0
	v_add_nc_u32_e32 v7, v8, v7
	s_or_b32 exec_lo, exec_lo, s73
	s_and_saveexec_b32 s73, s4
	s_cbranch_execnz .LBB214_41
.LBB214_73:                             ;   in Loop: Header=BB214_36 Depth=1
	s_or_b32 exec_lo, exec_lo, s73
	s_and_saveexec_b32 s73, s5
	s_cbranch_execz .LBB214_42
.LBB214_74:                             ;   in Loop: Header=BB214_36 Depth=1
	v_mov_b32_e32 v8, s44
	ds_load_b32 v8, v8
	s_wait_dscnt 0x0
	v_add_nc_u32_e32 v7, v8, v7
	s_or_b32 exec_lo, exec_lo, s73
	s_and_saveexec_b32 s73, s6
	s_cbranch_execnz .LBB214_43
.LBB214_75:                             ;   in Loop: Header=BB214_36 Depth=1
	s_or_b32 exec_lo, exec_lo, s73
	s_and_saveexec_b32 s73, s7
	s_cbranch_execz .LBB214_44
.LBB214_76:                             ;   in Loop: Header=BB214_36 Depth=1
	v_mov_b32_e32 v8, s47
	ds_load_b32 v8, v8
	s_wait_dscnt 0x0
	v_add_nc_u32_e32 v7, v8, v7
	s_or_b32 exec_lo, exec_lo, s73
	s_and_saveexec_b32 s73, s8
	s_cbranch_execnz .LBB214_45
.LBB214_77:                             ;   in Loop: Header=BB214_36 Depth=1
	s_or_b32 exec_lo, exec_lo, s73
	s_and_saveexec_b32 s73, s9
	s_cbranch_execz .LBB214_46
.LBB214_78:                             ;   in Loop: Header=BB214_36 Depth=1
	v_mov_b32_e32 v8, s50
	ds_load_b32 v8, v8
	s_wait_dscnt 0x0
	v_add_nc_u32_e32 v7, v8, v7
	s_or_b32 exec_lo, exec_lo, s73
	s_and_saveexec_b32 s73, s10
	s_cbranch_execnz .LBB214_47
.LBB214_79:                             ;   in Loop: Header=BB214_36 Depth=1
	s_or_b32 exec_lo, exec_lo, s73
	s_and_saveexec_b32 s73, s11
	s_cbranch_execz .LBB214_48
.LBB214_80:                             ;   in Loop: Header=BB214_36 Depth=1
	v_mov_b32_e32 v8, s52
	ds_load_b32 v8, v8
	s_wait_dscnt 0x0
	v_add_nc_u32_e32 v7, v8, v7
	s_or_b32 exec_lo, exec_lo, s73
	s_and_saveexec_b32 s73, s12
	s_cbranch_execnz .LBB214_49
.LBB214_81:                             ;   in Loop: Header=BB214_36 Depth=1
	s_or_b32 exec_lo, exec_lo, s73
	s_and_saveexec_b32 s73, s13
	s_cbranch_execz .LBB214_50
.LBB214_82:                             ;   in Loop: Header=BB214_36 Depth=1
	v_mov_b32_e32 v8, s54
	ds_load_b32 v8, v8
	s_wait_dscnt 0x0
	v_add_nc_u32_e32 v7, v8, v7
	s_or_b32 exec_lo, exec_lo, s73
	s_and_saveexec_b32 s73, s14
	s_cbranch_execnz .LBB214_51
.LBB214_83:                             ;   in Loop: Header=BB214_36 Depth=1
	s_or_b32 exec_lo, exec_lo, s73
	s_and_saveexec_b32 s73, s15
	s_cbranch_execz .LBB214_52
.LBB214_84:                             ;   in Loop: Header=BB214_36 Depth=1
	v_mov_b32_e32 v8, s56
	ds_load_b32 v8, v8
	s_wait_dscnt 0x0
	v_add_nc_u32_e32 v7, v8, v7
	s_or_b32 exec_lo, exec_lo, s73
	s_and_saveexec_b32 s73, s16
	s_cbranch_execnz .LBB214_53
.LBB214_85:                             ;   in Loop: Header=BB214_36 Depth=1
	s_or_b32 exec_lo, exec_lo, s73
	s_and_saveexec_b32 s73, s17
	s_cbranch_execz .LBB214_54
.LBB214_86:                             ;   in Loop: Header=BB214_36 Depth=1
	v_mov_b32_e32 v8, s58
	ds_load_b32 v8, v8
	s_wait_dscnt 0x0
	v_add_nc_u32_e32 v7, v8, v7
	s_or_b32 exec_lo, exec_lo, s73
	s_and_saveexec_b32 s73, s18
	s_cbranch_execnz .LBB214_55
.LBB214_87:                             ;   in Loop: Header=BB214_36 Depth=1
	s_or_b32 exec_lo, exec_lo, s73
	s_and_saveexec_b32 s73, s19
	s_cbranch_execz .LBB214_56
.LBB214_88:                             ;   in Loop: Header=BB214_36 Depth=1
	v_mov_b32_e32 v8, s60
	ds_load_b32 v8, v8
	s_wait_dscnt 0x0
	v_add_nc_u32_e32 v7, v8, v7
	s_or_b32 exec_lo, exec_lo, s73
	s_and_saveexec_b32 s73, s20
	s_cbranch_execnz .LBB214_57
.LBB214_89:                             ;   in Loop: Header=BB214_36 Depth=1
	s_or_b32 exec_lo, exec_lo, s73
	s_and_saveexec_b32 s73, s21
	s_cbranch_execz .LBB214_58
.LBB214_90:                             ;   in Loop: Header=BB214_36 Depth=1
	v_mov_b32_e32 v8, s62
	ds_load_b32 v8, v8
	s_wait_dscnt 0x0
	v_add_nc_u32_e32 v7, v8, v7
	s_or_b32 exec_lo, exec_lo, s73
	s_and_saveexec_b32 s73, s22
	s_cbranch_execnz .LBB214_59
.LBB214_91:                             ;   in Loop: Header=BB214_36 Depth=1
	s_or_b32 exec_lo, exec_lo, s73
	s_and_saveexec_b32 s73, s23
	s_cbranch_execz .LBB214_60
.LBB214_92:                             ;   in Loop: Header=BB214_36 Depth=1
	v_mov_b32_e32 v8, s64
	ds_load_b32 v8, v8
	s_wait_dscnt 0x0
	v_add_nc_u32_e32 v7, v8, v7
	s_or_b32 exec_lo, exec_lo, s73
	s_and_saveexec_b32 s73, s24
	s_cbranch_execnz .LBB214_61
.LBB214_93:                             ;   in Loop: Header=BB214_36 Depth=1
	s_or_b32 exec_lo, exec_lo, s73
	s_and_saveexec_b32 s73, s25
	s_cbranch_execz .LBB214_62
.LBB214_94:                             ;   in Loop: Header=BB214_36 Depth=1
	v_mov_b32_e32 v8, s66
	ds_load_b32 v8, v8
	s_wait_dscnt 0x0
	v_add_nc_u32_e32 v7, v8, v7
	s_or_b32 exec_lo, exec_lo, s73
	s_and_saveexec_b32 s73, s26
	s_cbranch_execnz .LBB214_63
.LBB214_95:                             ;   in Loop: Header=BB214_36 Depth=1
	s_or_b32 exec_lo, exec_lo, s73
	s_and_saveexec_b32 s73, s27
	s_cbranch_execz .LBB214_64
.LBB214_96:                             ;   in Loop: Header=BB214_36 Depth=1
	v_mov_b32_e32 v8, s68
	ds_load_b32 v8, v8
	s_wait_dscnt 0x0
	v_add_nc_u32_e32 v7, v8, v7
	s_or_b32 exec_lo, exec_lo, s73
	s_and_saveexec_b32 s73, s28
	s_cbranch_execnz .LBB214_65
.LBB214_97:                             ;   in Loop: Header=BB214_36 Depth=1
	s_or_b32 exec_lo, exec_lo, s73
	s_and_saveexec_b32 s73, s29
	s_cbranch_execz .LBB214_66
.LBB214_98:                             ;   in Loop: Header=BB214_36 Depth=1
	v_mov_b32_e32 v8, s70
	ds_load_b32 v8, v8
	s_wait_dscnt 0x0
	v_add_nc_u32_e32 v7, v8, v7
	s_or_b32 exec_lo, exec_lo, s73
	s_and_saveexec_b32 s73, s30
	s_cbranch_execnz .LBB214_67
.LBB214_99:                             ;   in Loop: Header=BB214_36 Depth=1
	s_or_b32 exec_lo, exec_lo, s73
	s_and_saveexec_b32 s73, s31
	s_cbranch_execz .LBB214_68
.LBB214_100:                            ;   in Loop: Header=BB214_36 Depth=1
	s_delay_alu instid0(VALU_DEP_1) | instskip(SKIP_1) | instid1(VALU_DEP_2)
	v_add3_u32 v8, v1, -1, v7
	v_add_lshl_u32 v9, v1, v7, 3
	v_lshl_add_u32 v8, v8, 2, 0
	s_delay_alu instid0(VALU_DEP_2)
	v_add3_u32 v9, 0, v9, 0xfff8
	ds_store_b32 v8, v6
	ds_store_2addr_b32 v9, v4, v5 offset1:1
	s_or_b32 exec_lo, exec_lo, s73
	s_and_saveexec_b32 s31, vcc_lo
	s_cbranch_execz .LBB214_35
.LBB214_101:                            ;   in Loop: Header=BB214_36 Depth=1
	v_mov_b32_e32 v4, s72
	ds_store_b32 v4, v7
	s_branch .LBB214_35
.LBB214_102:                            ;   in Loop: Header=BB214_104 Depth=1
	s_or_b32 exec_lo, exec_lo, s5
.LBB214_103:                            ;   in Loop: Header=BB214_104 Depth=1
	s_delay_alu instid0(SALU_CYCLE_1)
	s_or_b32 exec_lo, exec_lo, s4
	s_wait_loadcnt 0x0
	v_mul_f32_e64 v6, v5, -s23
	v_lshlrev_b32_e32 v1, 3, v1
	v_mul_f32_e32 v5, s22, v5
	v_add_nc_u64_e32 v[2:3], 0x400, v[2:3]
	s_delay_alu instid0(VALU_DEP_4) | instskip(NEXT) | instid1(VALU_DEP_4)
	v_fmac_f32_e32 v6, s22, v4
	v_add3_u32 v1, 0, v1, 0x10000
	s_delay_alu instid0(VALU_DEP_4) | instskip(SKIP_4) | instid1(SALU_CYCLE_1)
	v_fmac_f32_e32 v5, s23, v4
	ds_add_f32 v1, v6
	ds_add_f32 v1, v5 offset:4
	v_cmp_le_i64_e32 vcc_lo, s[2:3], v[2:3]
	s_or_b32 s1, vcc_lo, s1
	s_and_not1_b32 exec_lo, exec_lo, s1
	s_cbranch_execz .LBB214_33
.LBB214_104:                            ; =>This Loop Header: Depth=1
                                        ;     Child Loop BB214_107 Depth 2
	v_lshl_add_u64 v[4:5], v[2:3], 2, s[38:39]
	s_mov_b32 s4, exec_lo
	global_load_b32 v1, v[4:5], off
	s_wait_xcnt 0x0
	v_lshl_add_u64 v[4:5], v[2:3], 3, s[40:41]
	global_load_b64 v[4:5], v[4:5], off
	s_wait_loadcnt 0x1
	v_subrev_nc_u32_e32 v6, s47, v1
	s_delay_alu instid0(VALU_DEP_1) | instskip(NEXT) | instid1(VALU_DEP_1)
	v_mul_lo_u32 v1, 0x89, v6
	v_and_b32_e32 v1, 0x3fff, v1
	s_delay_alu instid0(VALU_DEP_1)
	v_lshl_add_u32 v7, v1, 2, 0
	ds_load_b32 v8, v7
	s_wait_dscnt 0x0
	s_wait_xcnt 0x0
	v_cmpx_ne_u32_e64 v8, v6
	s_cbranch_execz .LBB214_103
; %bb.105:                              ;   in Loop: Header=BB214_104 Depth=1
	s_mov_b32 s5, 0
	s_branch .LBB214_107
.LBB214_106:                            ;   in Loop: Header=BB214_107 Depth=2
	s_or_b32 exec_lo, exec_lo, s8
	s_delay_alu instid0(SALU_CYCLE_1) | instskip(NEXT) | instid1(SALU_CYCLE_1)
	s_and_b32 s6, exec_lo, s7
	s_or_b32 s5, s6, s5
	s_delay_alu instid0(SALU_CYCLE_1)
	s_and_not1_b32 exec_lo, exec_lo, s5
	s_cbranch_execz .LBB214_102
.LBB214_107:                            ;   Parent Loop BB214_104 Depth=1
                                        ; =>  This Inner Loop Header: Depth=2
	s_mov_b32 s6, 0
	s_mov_b32 s7, exec_lo
	v_cmpx_ne_u32_e64 s33, v8
	s_xor_b32 s7, exec_lo, s7
	s_cbranch_execz .LBB214_109
; %bb.108:                              ;   in Loop: Header=BB214_107 Depth=2
	v_add_nc_u32_e32 v1, 1, v1
	s_mov_b32 s6, exec_lo
                                        ; implicit-def: $vgpr7
	s_delay_alu instid0(VALU_DEP_1)
	v_and_b32_e32 v1, 0x3fff, v1
	s_and_not1_saveexec_b32 s7, s7
	s_cbranch_execz .LBB214_111
	s_branch .LBB214_110
.LBB214_109:                            ;   in Loop: Header=BB214_107 Depth=2
	s_and_not1_saveexec_b32 s7, s7
	s_cbranch_execz .LBB214_111
.LBB214_110:                            ;   in Loop: Header=BB214_107 Depth=2
	v_mov_b32_e32 v8, s33
	s_and_not1_b32 s6, s6, exec_lo
	ds_cmpstore_rtn_b32 v7, v7, v6, v8
	s_wait_dscnt 0x0
	v_cmp_ne_u32_e32 vcc_lo, s33, v7
	s_and_b32 s8, vcc_lo, exec_lo
	s_delay_alu instid0(SALU_CYCLE_1)
	s_or_b32 s6, s6, s8
.LBB214_111:                            ;   in Loop: Header=BB214_107 Depth=2
	s_or_b32 exec_lo, exec_lo, s7
	s_mov_b32 s7, -1
                                        ; implicit-def: $vgpr7
                                        ; implicit-def: $vgpr8
	s_and_saveexec_b32 s8, s6
	s_cbranch_execz .LBB214_106
; %bb.112:                              ;   in Loop: Header=BB214_107 Depth=2
	v_lshl_add_u32 v7, v1, 2, 0
	ds_load_b32 v8, v7
	s_wait_dscnt 0x0
	v_cmp_eq_u32_e32 vcc_lo, v8, v6
	s_or_not1_b32 s7, vcc_lo, exec_lo
	s_branch .LBB214_106
.LBB214_113:
	s_or_b32 exec_lo, exec_lo, s36
	s_wait_kmcnt 0x0
	s_ashr_i32 s49, s48, 31
	s_delay_alu instid0(SALU_CYCLE_1) | instskip(NEXT) | instid1(SALU_CYCLE_1)
	s_lshl_b64 s[0:1], s[48:49], 3
	s_add_nc_u64 s[4:5], s[42:43], s[0:1]
	s_load_b128 s[0:3], s[4:5], 0x0
	s_wait_xcnt 0x0
	s_mov_b32 s4, exec_lo
	s_wait_kmcnt 0x0
	s_sub_co_i32 s3, s2, s0
	s_delay_alu instid0(SALU_CYCLE_1)
	v_cmpx_gt_i32_e64 s3, v0
	s_cbranch_execz .LBB214_123
; %bb.114:
	s_sub_co_i32 s4, s0, s2
	s_and_b32 s2, s3, 7
	s_cmp_lt_u32 s4, -7
	s_mov_b32 s47, 0
	s_cselect_b32 s4, -1, 0
	s_and_b32 s5, s3, -8
	s_cmp_lg_u32 s2, 0
	s_sub_nc_u64 s[0:1], s[0:1], s[46:47]
	s_cselect_b32 s6, -1, 0
	s_mov_b32 s7, 0
	s_branch .LBB214_116
.LBB214_115:                            ;   in Loop: Header=BB214_116 Depth=1
	v_add_nc_u32_e32 v0, 0x400, v0
	s_delay_alu instid0(VALU_DEP_2) | instskip(NEXT) | instid1(VALU_DEP_2)
	v_lshl_add_u64 v[4:5], v[4:5], 3, s[34:35]
	v_cmp_le_i32_e32 vcc_lo, s3, v0
	s_wait_dscnt 0x0
	global_store_b64 v[4:5], v[2:3], off
	s_or_b32 s7, vcc_lo, s7
	s_wait_xcnt 0x0
	s_and_not1_b32 exec_lo, exec_lo, s7
	s_cbranch_execz .LBB214_123
.LBB214_116:                            ; =>This Loop Header: Depth=1
                                        ;     Child Loop BB214_118 Depth 2
                                        ;     Child Loop BB214_122 Depth 2
	v_lshlrev_b32_e32 v1, 3, v0
	v_lshl_add_u32 v2, v0, 2, 0
	v_mov_b64_e32 v[4:5], s[0:1]
	s_and_not1_b32 vcc_lo, exec_lo, s4
	s_mov_b32 s8, 0
	v_add3_u32 v3, 0, v1, 0x10000
	ds_load_b32 v1, v2
	ds_load_2addr_b32 v[2:3], v3 offset1:1
	s_cbranch_vccnz .LBB214_120
; %bb.117:                              ;   in Loop: Header=BB214_116 Depth=1
	v_mov_b64_e32 v[4:5], s[0:1]
	s_mov_b32 s9, 0
.LBB214_118:                            ;   Parent Loop BB214_116 Depth=1
                                        ; =>  This Inner Loop Header: Depth=2
	s_delay_alu instid0(SALU_CYCLE_1)
	v_dual_mov_b32 v10, s9 :: v_dual_mov_b32 v11, s47
	v_mov_b32_e32 v17, s47
	s_add_co_i32 s8, s8, 8
	s_add_co_i32 s9, s9, 32
	ds_load_2addr_b32 v[6:7], v10 offset1:1
	ds_load_2addr_b32 v[8:9], v10 offset0:2 offset1:3
	ds_load_2addr_b32 v[12:13], v10 offset0:4 offset1:5
	;; [unrolled: 1-line block ×3, first 2 shown]
	s_cmp_eq_u32 s5, s8
	s_wait_dscnt 0x3
	v_cmp_gt_i32_e32 vcc_lo, v1, v6
	v_cndmask_b32_e64 v10, 0, 1, vcc_lo
	v_cmp_gt_i32_e32 vcc_lo, v1, v7
	v_mov_b32_e32 v7, s47
	s_delay_alu instid0(VALU_DEP_3) | instskip(SKIP_4) | instid1(VALU_DEP_3)
	v_add_nc_u64_e32 v[4:5], v[4:5], v[10:11]
	v_cndmask_b32_e64 v16, 0, 1, vcc_lo
	s_wait_dscnt 0x2
	v_cmp_gt_i32_e32 vcc_lo, v1, v8
	v_cndmask_b32_e64 v6, 0, 1, vcc_lo
	v_add_nc_u64_e32 v[4:5], v[4:5], v[16:17]
	v_cmp_gt_i32_e32 vcc_lo, v1, v9
	v_mov_b32_e32 v9, s47
	v_cndmask_b32_e64 v10, 0, 1, vcc_lo
	s_delay_alu instid0(VALU_DEP_4) | instskip(SKIP_3) | instid1(VALU_DEP_3)
	v_add_nc_u64_e32 v[4:5], v[4:5], v[6:7]
	s_wait_dscnt 0x1
	v_cmp_gt_i32_e32 vcc_lo, v1, v12
	v_cndmask_b32_e64 v6, 0, 1, vcc_lo
	v_add_nc_u64_e32 v[4:5], v[4:5], v[10:11]
	v_cmp_gt_i32_e32 vcc_lo, v1, v13
	v_cndmask_b32_e64 v8, 0, 1, vcc_lo
	s_delay_alu instid0(VALU_DEP_3) | instskip(SKIP_3) | instid1(VALU_DEP_3)
	v_add_nc_u64_e32 v[4:5], v[4:5], v[6:7]
	s_wait_dscnt 0x0
	v_cmp_gt_i32_e32 vcc_lo, v1, v14
	v_cndmask_b32_e64 v6, 0, 1, vcc_lo
	v_add_nc_u64_e32 v[4:5], v[4:5], v[8:9]
	v_cmp_gt_i32_e32 vcc_lo, v1, v15
	v_cndmask_b32_e64 v8, 0, 1, vcc_lo
	s_delay_alu instid0(VALU_DEP_3) | instskip(NEXT) | instid1(VALU_DEP_1)
	v_add_nc_u64_e32 v[4:5], v[4:5], v[6:7]
	v_add_nc_u64_e32 v[4:5], v[4:5], v[8:9]
	s_cbranch_scc0 .LBB214_118
; %bb.119:                              ;   in Loop: Header=BB214_116 Depth=1
	s_mov_b32 s8, s5
.LBB214_120:                            ;   in Loop: Header=BB214_116 Depth=1
	s_and_not1_b32 vcc_lo, exec_lo, s6
	s_cbranch_vccnz .LBB214_115
; %bb.121:                              ;   in Loop: Header=BB214_116 Depth=1
	s_lshl_b32 s8, s8, 2
	s_mov_b32 s9, s2
	s_add_co_i32 s8, s8, 0
.LBB214_122:                            ;   Parent Loop BB214_116 Depth=1
                                        ; =>  This Inner Loop Header: Depth=2
	s_delay_alu instid0(SALU_CYCLE_1)
	v_dual_mov_b32 v6, s8 :: v_dual_mov_b32 v7, s47
	s_add_co_i32 s9, s9, -1
	s_add_co_i32 s8, s8, 4
	s_cmp_lg_u32 s9, 0
	ds_load_b32 v6, v6
	s_wait_dscnt 0x0
	v_cmp_gt_i32_e32 vcc_lo, v1, v6
	v_cndmask_b32_e64 v6, 0, 1, vcc_lo
	s_delay_alu instid0(VALU_DEP_1)
	v_add_nc_u64_e32 v[4:5], v[4:5], v[6:7]
	s_cbranch_scc1 .LBB214_122
	s_branch .LBB214_115
.LBB214_123:
	s_endpgm
	.section	.rodata,"a",@progbits
	.p2align	6, 0x0
	.amdhsa_kernel _ZN9rocsparseL41csrgemm_numeric_fill_block_per_row_kernelILj1024ELj64ELj16384ELj137ELj32Eli21rocsparse_complex_numIfEEEvT5_PKS3_S5_NS_24const_host_device_scalarIT6_EEPKT4_S5_PKS7_SB_S5_SD_S8_SB_S5_SD_SB_S5_PS7_21rocsparse_index_base_SF_SF_SF_bbb
		.amdhsa_group_segment_fixed_size 0
		.amdhsa_private_segment_fixed_size 0
		.amdhsa_kernarg_size 156
		.amdhsa_user_sgpr_count 2
		.amdhsa_user_sgpr_dispatch_ptr 0
		.amdhsa_user_sgpr_queue_ptr 0
		.amdhsa_user_sgpr_kernarg_segment_ptr 1
		.amdhsa_user_sgpr_dispatch_id 0
		.amdhsa_user_sgpr_kernarg_preload_length 0
		.amdhsa_user_sgpr_kernarg_preload_offset 0
		.amdhsa_user_sgpr_private_segment_size 0
		.amdhsa_wavefront_size32 1
		.amdhsa_uses_dynamic_stack 0
		.amdhsa_enable_private_segment 0
		.amdhsa_system_sgpr_workgroup_id_x 1
		.amdhsa_system_sgpr_workgroup_id_y 0
		.amdhsa_system_sgpr_workgroup_id_z 0
		.amdhsa_system_sgpr_workgroup_info 0
		.amdhsa_system_vgpr_workitem_id 0
		.amdhsa_next_free_vgpr 20
		.amdhsa_next_free_sgpr 74
		.amdhsa_named_barrier_count 0
		.amdhsa_reserve_vcc 1
		.amdhsa_float_round_mode_32 0
		.amdhsa_float_round_mode_16_64 0
		.amdhsa_float_denorm_mode_32 3
		.amdhsa_float_denorm_mode_16_64 3
		.amdhsa_fp16_overflow 0
		.amdhsa_memory_ordered 1
		.amdhsa_forward_progress 1
		.amdhsa_inst_pref_size 37
		.amdhsa_round_robin_scheduling 0
		.amdhsa_exception_fp_ieee_invalid_op 0
		.amdhsa_exception_fp_denorm_src 0
		.amdhsa_exception_fp_ieee_div_zero 0
		.amdhsa_exception_fp_ieee_overflow 0
		.amdhsa_exception_fp_ieee_underflow 0
		.amdhsa_exception_fp_ieee_inexact 0
		.amdhsa_exception_int_div_zero 0
	.end_amdhsa_kernel
	.section	.text._ZN9rocsparseL41csrgemm_numeric_fill_block_per_row_kernelILj1024ELj64ELj16384ELj137ELj32Eli21rocsparse_complex_numIfEEEvT5_PKS3_S5_NS_24const_host_device_scalarIT6_EEPKT4_S5_PKS7_SB_S5_SD_S8_SB_S5_SD_SB_S5_PS7_21rocsparse_index_base_SF_SF_SF_bbb,"axG",@progbits,_ZN9rocsparseL41csrgemm_numeric_fill_block_per_row_kernelILj1024ELj64ELj16384ELj137ELj32Eli21rocsparse_complex_numIfEEEvT5_PKS3_S5_NS_24const_host_device_scalarIT6_EEPKT4_S5_PKS7_SB_S5_SD_S8_SB_S5_SD_SB_S5_PS7_21rocsparse_index_base_SF_SF_SF_bbb,comdat
.Lfunc_end214:
	.size	_ZN9rocsparseL41csrgemm_numeric_fill_block_per_row_kernelILj1024ELj64ELj16384ELj137ELj32Eli21rocsparse_complex_numIfEEEvT5_PKS3_S5_NS_24const_host_device_scalarIT6_EEPKT4_S5_PKS7_SB_S5_SD_S8_SB_S5_SD_SB_S5_PS7_21rocsparse_index_base_SF_SF_SF_bbb, .Lfunc_end214-_ZN9rocsparseL41csrgemm_numeric_fill_block_per_row_kernelILj1024ELj64ELj16384ELj137ELj32Eli21rocsparse_complex_numIfEEEvT5_PKS3_S5_NS_24const_host_device_scalarIT6_EEPKT4_S5_PKS7_SB_S5_SD_S8_SB_S5_SD_SB_S5_PS7_21rocsparse_index_base_SF_SF_SF_bbb
                                        ; -- End function
	.set _ZN9rocsparseL41csrgemm_numeric_fill_block_per_row_kernelILj1024ELj64ELj16384ELj137ELj32Eli21rocsparse_complex_numIfEEEvT5_PKS3_S5_NS_24const_host_device_scalarIT6_EEPKT4_S5_PKS7_SB_S5_SD_S8_SB_S5_SD_SB_S5_PS7_21rocsparse_index_base_SF_SF_SF_bbb.num_vgpr, 20
	.set _ZN9rocsparseL41csrgemm_numeric_fill_block_per_row_kernelILj1024ELj64ELj16384ELj137ELj32Eli21rocsparse_complex_numIfEEEvT5_PKS3_S5_NS_24const_host_device_scalarIT6_EEPKT4_S5_PKS7_SB_S5_SD_S8_SB_S5_SD_SB_S5_PS7_21rocsparse_index_base_SF_SF_SF_bbb.num_agpr, 0
	.set _ZN9rocsparseL41csrgemm_numeric_fill_block_per_row_kernelILj1024ELj64ELj16384ELj137ELj32Eli21rocsparse_complex_numIfEEEvT5_PKS3_S5_NS_24const_host_device_scalarIT6_EEPKT4_S5_PKS7_SB_S5_SD_S8_SB_S5_SD_SB_S5_PS7_21rocsparse_index_base_SF_SF_SF_bbb.numbered_sgpr, 74
	.set _ZN9rocsparseL41csrgemm_numeric_fill_block_per_row_kernelILj1024ELj64ELj16384ELj137ELj32Eli21rocsparse_complex_numIfEEEvT5_PKS3_S5_NS_24const_host_device_scalarIT6_EEPKT4_S5_PKS7_SB_S5_SD_S8_SB_S5_SD_SB_S5_PS7_21rocsparse_index_base_SF_SF_SF_bbb.num_named_barrier, 0
	.set _ZN9rocsparseL41csrgemm_numeric_fill_block_per_row_kernelILj1024ELj64ELj16384ELj137ELj32Eli21rocsparse_complex_numIfEEEvT5_PKS3_S5_NS_24const_host_device_scalarIT6_EEPKT4_S5_PKS7_SB_S5_SD_S8_SB_S5_SD_SB_S5_PS7_21rocsparse_index_base_SF_SF_SF_bbb.private_seg_size, 0
	.set _ZN9rocsparseL41csrgemm_numeric_fill_block_per_row_kernelILj1024ELj64ELj16384ELj137ELj32Eli21rocsparse_complex_numIfEEEvT5_PKS3_S5_NS_24const_host_device_scalarIT6_EEPKT4_S5_PKS7_SB_S5_SD_S8_SB_S5_SD_SB_S5_PS7_21rocsparse_index_base_SF_SF_SF_bbb.uses_vcc, 1
	.set _ZN9rocsparseL41csrgemm_numeric_fill_block_per_row_kernelILj1024ELj64ELj16384ELj137ELj32Eli21rocsparse_complex_numIfEEEvT5_PKS3_S5_NS_24const_host_device_scalarIT6_EEPKT4_S5_PKS7_SB_S5_SD_S8_SB_S5_SD_SB_S5_PS7_21rocsparse_index_base_SF_SF_SF_bbb.uses_flat_scratch, 0
	.set _ZN9rocsparseL41csrgemm_numeric_fill_block_per_row_kernelILj1024ELj64ELj16384ELj137ELj32Eli21rocsparse_complex_numIfEEEvT5_PKS3_S5_NS_24const_host_device_scalarIT6_EEPKT4_S5_PKS7_SB_S5_SD_S8_SB_S5_SD_SB_S5_PS7_21rocsparse_index_base_SF_SF_SF_bbb.has_dyn_sized_stack, 0
	.set _ZN9rocsparseL41csrgemm_numeric_fill_block_per_row_kernelILj1024ELj64ELj16384ELj137ELj32Eli21rocsparse_complex_numIfEEEvT5_PKS3_S5_NS_24const_host_device_scalarIT6_EEPKT4_S5_PKS7_SB_S5_SD_S8_SB_S5_SD_SB_S5_PS7_21rocsparse_index_base_SF_SF_SF_bbb.has_recursion, 0
	.set _ZN9rocsparseL41csrgemm_numeric_fill_block_per_row_kernelILj1024ELj64ELj16384ELj137ELj32Eli21rocsparse_complex_numIfEEEvT5_PKS3_S5_NS_24const_host_device_scalarIT6_EEPKT4_S5_PKS7_SB_S5_SD_S8_SB_S5_SD_SB_S5_PS7_21rocsparse_index_base_SF_SF_SF_bbb.has_indirect_call, 0
	.section	.AMDGPU.csdata,"",@progbits
; Kernel info:
; codeLenInByte = 4616
; TotalNumSgprs: 76
; NumVgprs: 20
; ScratchSize: 0
; MemoryBound: 0
; FloatMode: 240
; IeeeMode: 1
; LDSByteSize: 0 bytes/workgroup (compile time only)
; SGPRBlocks: 0
; VGPRBlocks: 1
; NumSGPRsForWavesPerEU: 76
; NumVGPRsForWavesPerEU: 20
; NamedBarCnt: 0
; Occupancy: 16
; WaveLimiterHint : 1
; COMPUTE_PGM_RSRC2:SCRATCH_EN: 0
; COMPUTE_PGM_RSRC2:USER_SGPR: 2
; COMPUTE_PGM_RSRC2:TRAP_HANDLER: 0
; COMPUTE_PGM_RSRC2:TGID_X_EN: 1
; COMPUTE_PGM_RSRC2:TGID_Y_EN: 0
; COMPUTE_PGM_RSRC2:TGID_Z_EN: 0
; COMPUTE_PGM_RSRC2:TIDIG_COMP_CNT: 0
	.section	.text._ZN9rocsparseL41csrgemm_numeric_fill_block_per_row_kernelILj1024ELj64ELj16384ELj137ELj64Eli21rocsparse_complex_numIfEEEvT5_PKS3_S5_NS_24const_host_device_scalarIT6_EEPKT4_S5_PKS7_SB_S5_SD_S8_SB_S5_SD_SB_S5_PS7_21rocsparse_index_base_SF_SF_SF_bbb,"axG",@progbits,_ZN9rocsparseL41csrgemm_numeric_fill_block_per_row_kernelILj1024ELj64ELj16384ELj137ELj64Eli21rocsparse_complex_numIfEEEvT5_PKS3_S5_NS_24const_host_device_scalarIT6_EEPKT4_S5_PKS7_SB_S5_SD_S8_SB_S5_SD_SB_S5_PS7_21rocsparse_index_base_SF_SF_SF_bbb,comdat
	.globl	_ZN9rocsparseL41csrgemm_numeric_fill_block_per_row_kernelILj1024ELj64ELj16384ELj137ELj64Eli21rocsparse_complex_numIfEEEvT5_PKS3_S5_NS_24const_host_device_scalarIT6_EEPKT4_S5_PKS7_SB_S5_SD_S8_SB_S5_SD_SB_S5_PS7_21rocsparse_index_base_SF_SF_SF_bbb ; -- Begin function _ZN9rocsparseL41csrgemm_numeric_fill_block_per_row_kernelILj1024ELj64ELj16384ELj137ELj64Eli21rocsparse_complex_numIfEEEvT5_PKS3_S5_NS_24const_host_device_scalarIT6_EEPKT4_S5_PKS7_SB_S5_SD_S8_SB_S5_SD_SB_S5_PS7_21rocsparse_index_base_SF_SF_SF_bbb
	.p2align	8
	.type	_ZN9rocsparseL41csrgemm_numeric_fill_block_per_row_kernelILj1024ELj64ELj16384ELj137ELj64Eli21rocsparse_complex_numIfEEEvT5_PKS3_S5_NS_24const_host_device_scalarIT6_EEPKT4_S5_PKS7_SB_S5_SD_S8_SB_S5_SD_SB_S5_PS7_21rocsparse_index_base_SF_SF_SF_bbb,@function
_ZN9rocsparseL41csrgemm_numeric_fill_block_per_row_kernelILj1024ELj64ELj16384ELj137ELj64Eli21rocsparse_complex_numIfEEEvT5_PKS3_S5_NS_24const_host_device_scalarIT6_EEPKT4_S5_PKS7_SB_S5_SD_S8_SB_S5_SD_SB_S5_PS7_21rocsparse_index_base_SF_SF_SF_bbb: ; @_ZN9rocsparseL41csrgemm_numeric_fill_block_per_row_kernelILj1024ELj64ELj16384ELj137ELj64Eli21rocsparse_complex_numIfEEEvT5_PKS3_S5_NS_24const_host_device_scalarIT6_EEPKT4_S5_PKS7_SB_S5_SD_S8_SB_S5_SD_SB_S5_PS7_21rocsparse_index_base_SF_SF_SF_bbb
; %bb.0:
	s_clause 0x3
	s_load_b32 s33, s[0:1], 0x98
	s_load_b128 s[20:23], s[0:1], 0x88
	s_load_b128 s[28:31], s[0:1], 0x8
	s_load_b64 s[36:37], s[0:1], 0x50
	s_mov_b32 s3, 0
	s_mov_b32 s40, 0
	s_wait_kmcnt 0x0
	s_bitcmp1_b32 s33, 0
	s_cselect_b32 s41, -1, 0
	s_bitcmp1_b32 s33, 16
	s_cselect_b32 s2, -1, 0
	s_delay_alu instid0(SALU_CYCLE_1) | instskip(SKIP_2) | instid1(VALU_DEP_1)
	s_xor_b32 s4, s2, -1
	s_bitcmp0_b32 s33, 0
	v_cndmask_b32_e64 v1, 0, 1, s4
	v_cmp_ne_u32_e32 vcc_lo, 1, v1
	s_cbranch_scc1 .LBB215_5
; %bb.1:
	s_load_b64 s[2:3], s[0:1], 0x18
	s_and_b32 vcc_lo, exec_lo, vcc_lo
	s_wait_kmcnt 0x0
	s_mov_b32 s40, s2
	s_cbranch_vccnz .LBB215_3
; %bb.2:
	s_load_b32 s40, s[2:3], 0x0
.LBB215_3:
	s_and_not1_b32 vcc_lo, exec_lo, s4
	s_cbranch_vccnz .LBB215_5
; %bb.4:
	s_wait_xcnt 0x0
	s_load_b32 s3, s[2:3], 0x4
.LBB215_5:
	s_clause 0x3
	s_load_b64 s[34:35], s[0:1], 0x80
	s_load_b256 s[12:19], s[0:1], 0x58
	s_load_b128 s[24:27], s[0:1], 0x40
	s_load_b256 s[4:11], s[0:1], 0x20
	s_bitcmp1_b32 s33, 8
	s_mov_b32 s38, 0
	s_wait_xcnt 0x0
	s_cselect_b32 s2, -1, 0
	s_bfe_u32 s33, s33, 0x10008
	s_mov_b32 s39, 0
	s_cmp_eq_u32 s33, 0
	s_cbranch_scc1 .LBB215_11
; %bb.6:
	v_cmp_ne_u32_e32 vcc_lo, 1, v1
	s_mov_b32 s38, s36
	s_cbranch_vccnz .LBB215_8
; %bb.7:
	s_load_b32 s38, s[36:37], 0x0
.LBB215_8:
	v_cmp_ne_u32_e32 vcc_lo, 1, v1
	s_cbranch_vccnz .LBB215_10
; %bb.9:
	s_wait_xcnt 0x0
	s_load_b32 s37, s[36:37], 0x4
.LBB215_10:
	s_wait_kmcnt 0x0
	s_mov_b32 s39, s37
.LBB215_11:
	s_load_b32 s33, s[0:1], 0x0
	v_lshl_add_u32 v14, v0, 2, 0
	v_lshlrev_b32_e32 v1, 3, v0
	v_or_b32_e32 v16, 0xfffffc00, v0
	s_wait_xcnt 0x0
	s_mov_b32 s0, 0
	v_mov_b32_e32 v2, v14
	v_add3_u32 v15, v1, 0, 0x10000
	v_dual_mov_b32 v1, 0 :: v_dual_mov_b32 v5, v16
	s_wait_kmcnt 0x0
	s_delay_alu instid0(VALU_DEP_2)
	v_dual_mov_b32 v3, v15 :: v_dual_mov_b32 v4, s33
.LBB215_12:                             ; =>This Inner Loop Header: Depth=1
	s_delay_alu instid0(VALU_DEP_2)
	v_add_nc_u32_e32 v5, 0x400, v5
	ds_store_b32 v2, v4
	ds_store_2addr_b32 v3, v1, v1 offset1:1
	v_add_nc_u32_e32 v3, 0x2000, v3
	v_add_nc_u32_e32 v2, 0x1000, v2
	v_cmp_lt_u32_e32 vcc_lo, 0x3bff, v5
	s_or_b32 s0, vcc_lo, s0
	s_delay_alu instid0(SALU_CYCLE_1)
	s_and_not1_b32 exec_lo, exec_lo, s0
	s_cbranch_execnz .LBB215_12
; %bb.13:
	s_or_b32 exec_lo, exec_lo, s0
	s_wait_dscnt 0x0
	s_barrier_signal -1
	s_barrier_wait -1
	s_load_b32 s0, s[28:29], 0x0
	s_bfe_u32 s1, ttmp6, 0x4000c
	s_wait_xcnt 0x0
	s_and_b32 s28, ttmp6, 15
	s_add_co_i32 s1, s1, 1
	s_getreg_b32 s29, hwreg(HW_REG_IB_STS2, 6, 4)
	s_mul_i32 s1, ttmp9, s1
	v_lshrrev_b32_e32 v2, 6, v0
	s_add_co_i32 s28, s28, s1
	s_cmp_eq_u32 s29, 0
	s_cselect_b32 s1, ttmp9, s28
	s_and_b32 vcc_lo, exec_lo, s41
	s_wait_kmcnt 0x0
	s_add_co_i32 s0, s0, s1
	s_mov_b32 s1, 0
	s_load_b32 s28, s[30:31], s0 offset:0x0 scale_offset
	s_cbranch_vccz .LBB215_31
; %bb.14:
	s_wait_kmcnt 0x0
	s_ashr_i32 s29, s28, 31
	v_mov_b32_e32 v3, 0
	s_lshl_b64 s[30:31], s[28:29], 3
	s_mov_b32 s0, s20
	s_add_nc_u64 s[4:5], s[4:5], s[30:31]
	s_mov_b32 s29, exec_lo
	s_load_b128 s[44:47], s[4:5], 0x0
	v_sub_nc_u64_e64 v[4:5], v[2:3], s[0:1]
	s_wait_kmcnt 0x0
	s_delay_alu instid0(VALU_DEP_1)
	v_add_nc_u64_e32 v[4:5], s[44:45], v[4:5]
	s_sub_nc_u64 s[0:1], s[46:47], s[0:1]
	s_delay_alu instid0(VALU_DEP_1) | instid1(SALU_CYCLE_1)
	v_cmpx_gt_i64_e64 s[0:1], v[4:5]
	s_cbranch_execz .LBB215_30
; %bb.15:
	v_dual_mov_b32 v7, v3 :: v_dual_bitop2_b32 v6, 63, v0 bitop3:0x40
	s_mov_b32 s5, 0
	s_mov_b32 s4, s21
	;; [unrolled: 1-line block ×3, first 2 shown]
	s_delay_alu instid0(VALU_DEP_1)
	v_sub_nc_u64_e64 v[6:7], v[6:7], s[4:5]
	s_branch .LBB215_17
.LBB215_16:                             ;   in Loop: Header=BB215_17 Depth=1
	s_or_b32 exec_lo, exec_lo, s31
	v_add_nc_u64_e32 v[4:5], 16, v[4:5]
	s_delay_alu instid0(VALU_DEP_1) | instskip(SKIP_1) | instid1(SALU_CYCLE_1)
	v_cmp_le_i64_e32 vcc_lo, s[0:1], v[4:5]
	s_or_b32 s30, vcc_lo, s30
	s_and_not1_b32 exec_lo, exec_lo, s30
	s_cbranch_execz .LBB215_30
.LBB215_17:                             ; =>This Loop Header: Depth=1
                                        ;     Child Loop BB215_21 Depth 2
                                        ;       Child Loop BB215_24 Depth 3
	v_lshl_add_u64 v[8:9], v[4:5], 2, s[6:7]
	s_mov_b32 s31, exec_lo
	global_load_b32 v1, v[8:9], off
	s_wait_loadcnt 0x0
	s_wait_xcnt 0x0
	v_subrev_nc_u32_e32 v8, s20, v1
	s_delay_alu instid0(VALU_DEP_1) | instskip(NEXT) | instid1(VALU_DEP_1)
	v_ashrrev_i32_e32 v9, 31, v8
	v_lshl_add_u64 v[8:9], v[8:9], 3, s[10:11]
	global_load_b128 v[10:13], v[8:9], off
	s_wait_loadcnt 0x0
	s_wait_xcnt 0x0
	v_sub_nc_u64_e64 v[8:9], v[12:13], s[4:5]
	v_add_nc_u64_e32 v[10:11], v[10:11], v[6:7]
	s_delay_alu instid0(VALU_DEP_1)
	v_cmpx_lt_i64_e64 v[10:11], v[8:9]
	s_cbranch_execz .LBB215_16
; %bb.18:                               ;   in Loop: Header=BB215_17 Depth=1
	v_lshl_add_u64 v[12:13], v[4:5], 3, s[8:9]
	s_mov_b32 s36, 0
	global_load_b64 v[12:13], v[12:13], off
	s_wait_loadcnt 0x0
	v_mul_f32_e64 v1, v13, -s3
	s_delay_alu instid0(VALU_DEP_1) | instskip(NEXT) | instid1(VALU_DEP_1)
	v_dual_mul_f32 v3, s40, v13 :: v_dual_fmac_f32 v1, s40, v12
	v_fmac_f32_e32 v3, s3, v12
	s_branch .LBB215_21
.LBB215_19:                             ;   in Loop: Header=BB215_21 Depth=2
	s_or_b32 exec_lo, exec_lo, s41
.LBB215_20:                             ;   in Loop: Header=BB215_21 Depth=2
	s_delay_alu instid0(SALU_CYCLE_1) | instskip(SKIP_4) | instid1(VALU_DEP_3)
	s_or_b32 exec_lo, exec_lo, s37
	s_wait_loadcnt 0x0
	v_dual_mul_f32 v18, v13, -v3 :: v_dual_lshlrev_b32 v17, 3, v17
	v_mul_f32_e32 v13, v1, v13
	v_add_nc_u64_e32 v[10:11], 64, v[10:11]
	v_fmac_f32_e32 v18, v1, v12
	s_delay_alu instid0(VALU_DEP_4) | instskip(NEXT) | instid1(VALU_DEP_4)
	v_add3_u32 v17, 0, v17, 0x10000
	v_fmac_f32_e32 v13, v3, v12
	ds_add_f32 v17, v18
	ds_add_f32 v17, v13 offset:4
	v_cmp_ge_i64_e32 vcc_lo, v[10:11], v[8:9]
	s_or_b32 s36, vcc_lo, s36
	s_delay_alu instid0(SALU_CYCLE_1)
	s_and_not1_b32 exec_lo, exec_lo, s36
	s_cbranch_execz .LBB215_16
.LBB215_21:                             ;   Parent Loop BB215_17 Depth=1
                                        ; =>  This Loop Header: Depth=2
                                        ;       Child Loop BB215_24 Depth 3
	s_wait_xcnt 0x0
	v_lshl_add_u64 v[12:13], v[10:11], 2, s[24:25]
	s_mov_b32 s37, exec_lo
	global_load_b32 v17, v[12:13], off
	s_wait_xcnt 0x0
	v_lshl_add_u64 v[12:13], v[10:11], 3, s[26:27]
	global_load_b64 v[12:13], v[12:13], off
	s_wait_loadcnt 0x1
	v_subrev_nc_u32_e32 v18, s21, v17
	s_delay_alu instid0(VALU_DEP_1) | instskip(NEXT) | instid1(VALU_DEP_1)
	v_mul_lo_u32 v17, 0x89, v18
	v_and_b32_e32 v17, 0x3fff, v17
	s_delay_alu instid0(VALU_DEP_1)
	v_lshl_add_u32 v19, v17, 2, 0
	ds_load_b32 v20, v19
	s_wait_dscnt 0x0
	s_wait_xcnt 0x0
	v_cmpx_ne_u32_e64 v20, v18
	s_cbranch_execz .LBB215_20
; %bb.22:                               ;   in Loop: Header=BB215_21 Depth=2
	s_mov_b32 s41, 0
	s_branch .LBB215_24
.LBB215_23:                             ;   in Loop: Header=BB215_24 Depth=3
	s_or_b32 exec_lo, exec_lo, s44
	s_delay_alu instid0(SALU_CYCLE_1) | instskip(NEXT) | instid1(SALU_CYCLE_1)
	s_and_b32 s42, exec_lo, s43
	s_or_b32 s41, s42, s41
	s_delay_alu instid0(SALU_CYCLE_1)
	s_and_not1_b32 exec_lo, exec_lo, s41
	s_cbranch_execz .LBB215_19
.LBB215_24:                             ;   Parent Loop BB215_17 Depth=1
                                        ;     Parent Loop BB215_21 Depth=2
                                        ; =>    This Inner Loop Header: Depth=3
	s_mov_b32 s42, 0
	s_mov_b32 s43, exec_lo
	v_cmpx_ne_u32_e64 s33, v20
	s_xor_b32 s43, exec_lo, s43
	s_cbranch_execz .LBB215_26
; %bb.25:                               ;   in Loop: Header=BB215_24 Depth=3
	v_add_nc_u32_e32 v17, 1, v17
	s_mov_b32 s42, exec_lo
                                        ; implicit-def: $vgpr19
	s_delay_alu instid0(VALU_DEP_1)
	v_and_b32_e32 v17, 0x3fff, v17
	s_and_not1_saveexec_b32 s43, s43
	s_cbranch_execz .LBB215_28
	s_branch .LBB215_27
.LBB215_26:                             ;   in Loop: Header=BB215_24 Depth=3
	s_and_not1_saveexec_b32 s43, s43
	s_cbranch_execz .LBB215_28
.LBB215_27:                             ;   in Loop: Header=BB215_24 Depth=3
	v_mov_b32_e32 v20, s33
	s_and_not1_b32 s42, s42, exec_lo
	ds_cmpstore_rtn_b32 v19, v19, v18, v20
	s_wait_dscnt 0x0
	v_cmp_ne_u32_e32 vcc_lo, s33, v19
	s_and_b32 s44, vcc_lo, exec_lo
	s_delay_alu instid0(SALU_CYCLE_1)
	s_or_b32 s42, s42, s44
.LBB215_28:                             ;   in Loop: Header=BB215_24 Depth=3
	s_or_b32 exec_lo, exec_lo, s43
	s_mov_b32 s43, -1
                                        ; implicit-def: $vgpr19
                                        ; implicit-def: $vgpr20
	s_and_saveexec_b32 s44, s42
	s_cbranch_execz .LBB215_23
; %bb.29:                               ;   in Loop: Header=BB215_24 Depth=3
	v_lshl_add_u32 v19, v17, 2, 0
	ds_load_b32 v20, v19
	s_wait_dscnt 0x0
	v_cmp_eq_u32_e32 vcc_lo, v20, v18
	s_or_not1_b32 s43, vcc_lo, exec_lo
	s_branch .LBB215_23
.LBB215_30:
	s_or_b32 exec_lo, exec_lo, s29
.LBB215_31:
	s_delay_alu instid0(SALU_CYCLE_1)
	s_and_not1_b32 vcc_lo, exec_lo, s2
	s_cbranch_vccnz .LBB215_34
; %bb.32:
	s_wait_kmcnt 0x0
	s_ashr_i32 s29, s28, 31
	v_mov_b32_e32 v1, 0
	s_lshl_b64 s[0:1], s[28:29], 3
	s_delay_alu instid0(SALU_CYCLE_1) | instskip(SKIP_4) | instid1(SALU_CYCLE_1)
	s_add_nc_u64 s[0:1], s[12:13], s[0:1]
	s_load_b128 s[4:7], s[0:1], 0x0
	s_wait_xcnt 0x0
	s_mov_b32 s1, 0
	s_mov_b32 s0, s23
	v_sub_nc_u64_e64 v[4:5], v[0:1], s[0:1]
	s_wait_kmcnt 0x0
	s_delay_alu instid0(VALU_DEP_1) | instskip(SKIP_2) | instid1(VALU_DEP_1)
	v_add_nc_u64_e32 v[4:5], s[4:5], v[4:5]
	s_sub_nc_u64 s[2:3], s[6:7], s[0:1]
	s_mov_b32 s0, exec_lo
	v_cmpx_gt_i64_e64 s[2:3], v[4:5]
	s_cbranch_execnz .LBB215_72
.LBB215_33:
	s_or_b32 exec_lo, exec_lo, s0
.LBB215_34:
	v_mbcnt_lo_u32_b32 v1, -1, 0
	v_lshlrev_b32_e32 v2, 2, v2
	s_add_co_i32 s36, 0, 0x3003c
	s_wait_xcnt 0x0
	v_cmp_lt_u32_e64 s0, 63, v0
	v_cmp_lt_u32_e64 s1, 0x7f, v0
	v_dual_mov_b32 v1, 0 :: v_dual_bitop2_b32 v4, 31, v1 bitop3:0x14
	v_mov_b32_e32 v6, s36
	v_add3_u32 v3, 0x30000, 0, v2
	v_cmp_lt_u32_e64 s2, 0xbf, v0
	s_delay_alu instid0(VALU_DEP_4)
	v_lshrrev_b32_e64 v2, v4, -1
	v_cmp_lt_u32_e64 s3, 0xff, v0
	v_cmp_lt_u32_e64 s4, 0x13f, v0
	;; [unrolled: 1-line block ×12, first 2 shown]
	s_mov_b32 s16, 0
	s_add_co_i32 s17, 0, 0x30000
	s_add_co_i32 s20, 0, 0x30004
	;; [unrolled: 1-line block ×15, first 2 shown]
	s_wait_dscnt 0x0
	s_barrier_signal -1
	s_barrier_wait -1
	v_cmp_eq_u32_e32 vcc_lo, 0x3ff, v0
	s_branch .LBB215_36
.LBB215_35:                             ;   in Loop: Header=BB215_36 Depth=1
	s_or_b32 exec_lo, exec_lo, s15
	s_wait_dscnt 0x0
	s_barrier_signal -1
	s_barrier_wait -1
	ds_load_b32 v4, v6
	v_add_nc_u32_e32 v16, 0x400, v16
	v_add_nc_u32_e32 v15, 0x2000, v15
	;; [unrolled: 1-line block ×3, first 2 shown]
	s_delay_alu instid0(VALU_DEP_3)
	v_cmp_lt_u32_e64 s15, 0x3bff, v16
	s_or_b32 s16, s15, s16
	s_wait_dscnt 0x0
	v_add_nc_u32_e32 v1, v4, v1
	s_and_not1_b32 exec_lo, exec_lo, s16
	s_cbranch_execz .LBB215_81
.LBB215_36:                             ; =>This Inner Loop Header: Depth=1
	ds_load_b32 v7, v14
	ds_load_2addr_b32 v[4:5], v15 offset1:1
	s_wait_dscnt 0x0
	s_barrier_signal -1
	s_barrier_wait -1
	v_cmp_gt_i32_e64 s15, s33, v7
	s_bcnt1_i32_b32 s41, s15
	s_delay_alu instid0(SALU_CYCLE_1) | instskip(NEXT) | instid1(VALU_DEP_1)
	v_dual_mov_b32 v9, s41 :: v_dual_bitop2_b32 v8, s15, v2 bitop3:0x40
	v_bcnt_u32_b32 v8, v8, 0
	ds_store_b32 v3, v9
	s_wait_dscnt 0x0
	s_barrier_signal -1
	s_barrier_wait -1
	s_and_saveexec_b32 s41, s0
	s_cbranch_execz .LBB215_53
; %bb.37:                               ;   in Loop: Header=BB215_36 Depth=1
	v_mov_b32_e32 v9, s17
	ds_load_b32 v9, v9
	s_wait_dscnt 0x0
	v_add_nc_u32_e32 v8, v9, v8
	s_or_b32 exec_lo, exec_lo, s41
	s_and_saveexec_b32 s41, s1
	s_cbranch_execnz .LBB215_54
.LBB215_38:                             ;   in Loop: Header=BB215_36 Depth=1
	s_or_b32 exec_lo, exec_lo, s41
	s_and_saveexec_b32 s41, s2
	s_cbranch_execz .LBB215_55
.LBB215_39:                             ;   in Loop: Header=BB215_36 Depth=1
	v_mov_b32_e32 v9, s21
	ds_load_b32 v9, v9
	s_wait_dscnt 0x0
	v_add_nc_u32_e32 v8, v9, v8
	s_or_b32 exec_lo, exec_lo, s41
	s_and_saveexec_b32 s41, s3
	s_cbranch_execnz .LBB215_56
.LBB215_40:                             ;   in Loop: Header=BB215_36 Depth=1
	s_or_b32 exec_lo, exec_lo, s41
	s_and_saveexec_b32 s41, s4
	s_cbranch_execz .LBB215_57
.LBB215_41:                             ;   in Loop: Header=BB215_36 Depth=1
	v_mov_b32_e32 v9, s24
	ds_load_b32 v9, v9
	s_wait_dscnt 0x0
	v_add_nc_u32_e32 v8, v9, v8
	s_or_b32 exec_lo, exec_lo, s41
	s_and_saveexec_b32 s41, s5
	s_cbranch_execnz .LBB215_58
.LBB215_42:                             ;   in Loop: Header=BB215_36 Depth=1
	s_or_b32 exec_lo, exec_lo, s41
	s_and_saveexec_b32 s41, s6
	s_cbranch_execz .LBB215_59
.LBB215_43:                             ;   in Loop: Header=BB215_36 Depth=1
	v_mov_b32_e32 v9, s26
	ds_load_b32 v9, v9
	s_wait_dscnt 0x0
	v_add_nc_u32_e32 v8, v9, v8
	s_or_b32 exec_lo, exec_lo, s41
	s_and_saveexec_b32 s41, s7
	s_cbranch_execnz .LBB215_60
.LBB215_44:                             ;   in Loop: Header=BB215_36 Depth=1
	s_or_b32 exec_lo, exec_lo, s41
	s_and_saveexec_b32 s41, s8
	s_cbranch_execz .LBB215_61
.LBB215_45:                             ;   in Loop: Header=BB215_36 Depth=1
	v_mov_b32_e32 v9, s29
	ds_load_b32 v9, v9
	s_wait_dscnt 0x0
	v_add_nc_u32_e32 v8, v9, v8
	s_or_b32 exec_lo, exec_lo, s41
	s_and_saveexec_b32 s41, s9
	s_cbranch_execnz .LBB215_62
.LBB215_46:                             ;   in Loop: Header=BB215_36 Depth=1
	s_or_b32 exec_lo, exec_lo, s41
	s_and_saveexec_b32 s41, s10
	s_cbranch_execz .LBB215_63
.LBB215_47:                             ;   in Loop: Header=BB215_36 Depth=1
	v_mov_b32_e32 v9, s31
	ds_load_b32 v9, v9
	s_wait_dscnt 0x0
	v_add_nc_u32_e32 v8, v9, v8
	s_or_b32 exec_lo, exec_lo, s41
	s_and_saveexec_b32 s41, s11
	s_cbranch_execnz .LBB215_64
.LBB215_48:                             ;   in Loop: Header=BB215_36 Depth=1
	s_or_b32 exec_lo, exec_lo, s41
	s_and_saveexec_b32 s41, s12
	s_cbranch_execz .LBB215_65
.LBB215_49:                             ;   in Loop: Header=BB215_36 Depth=1
	v_mov_b32_e32 v9, s38
	ds_load_b32 v9, v9
	s_wait_dscnt 0x0
	v_add_nc_u32_e32 v8, v9, v8
	s_or_b32 exec_lo, exec_lo, s41
	s_and_saveexec_b32 s41, s13
	s_cbranch_execnz .LBB215_66
.LBB215_50:                             ;   in Loop: Header=BB215_36 Depth=1
	s_or_b32 exec_lo, exec_lo, s41
	s_and_saveexec_b32 s41, s14
	s_cbranch_execz .LBB215_67
.LBB215_51:                             ;   in Loop: Header=BB215_36 Depth=1
	v_mov_b32_e32 v9, s40
	ds_load_b32 v9, v9
	s_wait_dscnt 0x0
	v_add_nc_u32_e32 v8, v9, v8
	s_or_b32 exec_lo, exec_lo, s41
	s_and_saveexec_b32 s41, s15
	s_cbranch_execnz .LBB215_68
.LBB215_52:                             ;   in Loop: Header=BB215_36 Depth=1
	s_or_b32 exec_lo, exec_lo, s41
	s_and_saveexec_b32 s15, vcc_lo
	s_cbranch_execz .LBB215_35
	s_branch .LBB215_69
.LBB215_53:                             ;   in Loop: Header=BB215_36 Depth=1
	s_or_b32 exec_lo, exec_lo, s41
	s_and_saveexec_b32 s41, s1
	s_cbranch_execz .LBB215_38
.LBB215_54:                             ;   in Loop: Header=BB215_36 Depth=1
	v_mov_b32_e32 v9, s20
	ds_load_b32 v9, v9
	s_wait_dscnt 0x0
	v_add_nc_u32_e32 v8, v9, v8
	s_or_b32 exec_lo, exec_lo, s41
	s_and_saveexec_b32 s41, s2
	s_cbranch_execnz .LBB215_39
.LBB215_55:                             ;   in Loop: Header=BB215_36 Depth=1
	s_or_b32 exec_lo, exec_lo, s41
	s_and_saveexec_b32 s41, s3
	s_cbranch_execz .LBB215_40
.LBB215_56:                             ;   in Loop: Header=BB215_36 Depth=1
	v_mov_b32_e32 v9, s23
	ds_load_b32 v9, v9
	s_wait_dscnt 0x0
	v_add_nc_u32_e32 v8, v9, v8
	s_or_b32 exec_lo, exec_lo, s41
	s_and_saveexec_b32 s41, s4
	s_cbranch_execnz .LBB215_41
.LBB215_57:                             ;   in Loop: Header=BB215_36 Depth=1
	s_or_b32 exec_lo, exec_lo, s41
	s_and_saveexec_b32 s41, s5
	s_cbranch_execz .LBB215_42
.LBB215_58:                             ;   in Loop: Header=BB215_36 Depth=1
	v_mov_b32_e32 v9, s25
	ds_load_b32 v9, v9
	s_wait_dscnt 0x0
	v_add_nc_u32_e32 v8, v9, v8
	s_or_b32 exec_lo, exec_lo, s41
	s_and_saveexec_b32 s41, s6
	s_cbranch_execnz .LBB215_43
.LBB215_59:                             ;   in Loop: Header=BB215_36 Depth=1
	s_or_b32 exec_lo, exec_lo, s41
	s_and_saveexec_b32 s41, s7
	s_cbranch_execz .LBB215_44
.LBB215_60:                             ;   in Loop: Header=BB215_36 Depth=1
	v_mov_b32_e32 v9, s27
	ds_load_b32 v9, v9
	s_wait_dscnt 0x0
	v_add_nc_u32_e32 v8, v9, v8
	s_or_b32 exec_lo, exec_lo, s41
	s_and_saveexec_b32 s41, s8
	s_cbranch_execnz .LBB215_45
.LBB215_61:                             ;   in Loop: Header=BB215_36 Depth=1
	s_or_b32 exec_lo, exec_lo, s41
	s_and_saveexec_b32 s41, s9
	s_cbranch_execz .LBB215_46
.LBB215_62:                             ;   in Loop: Header=BB215_36 Depth=1
	v_mov_b32_e32 v9, s30
	ds_load_b32 v9, v9
	s_wait_dscnt 0x0
	v_add_nc_u32_e32 v8, v9, v8
	s_or_b32 exec_lo, exec_lo, s41
	s_and_saveexec_b32 s41, s10
	s_cbranch_execnz .LBB215_47
.LBB215_63:                             ;   in Loop: Header=BB215_36 Depth=1
	s_or_b32 exec_lo, exec_lo, s41
	s_and_saveexec_b32 s41, s11
	s_cbranch_execz .LBB215_48
.LBB215_64:                             ;   in Loop: Header=BB215_36 Depth=1
	v_mov_b32_e32 v9, s37
	ds_load_b32 v9, v9
	s_wait_dscnt 0x0
	v_add_nc_u32_e32 v8, v9, v8
	s_or_b32 exec_lo, exec_lo, s41
	s_and_saveexec_b32 s41, s12
	s_cbranch_execnz .LBB215_49
.LBB215_65:                             ;   in Loop: Header=BB215_36 Depth=1
	s_or_b32 exec_lo, exec_lo, s41
	s_and_saveexec_b32 s41, s13
	s_cbranch_execz .LBB215_50
.LBB215_66:                             ;   in Loop: Header=BB215_36 Depth=1
	v_mov_b32_e32 v9, s39
	ds_load_b32 v9, v9
	s_wait_dscnt 0x0
	v_add_nc_u32_e32 v8, v9, v8
	s_or_b32 exec_lo, exec_lo, s41
	s_and_saveexec_b32 s41, s14
	s_cbranch_execnz .LBB215_51
.LBB215_67:                             ;   in Loop: Header=BB215_36 Depth=1
	s_or_b32 exec_lo, exec_lo, s41
	s_and_saveexec_b32 s41, s15
	s_cbranch_execz .LBB215_52
.LBB215_68:                             ;   in Loop: Header=BB215_36 Depth=1
	s_delay_alu instid0(VALU_DEP_1) | instskip(SKIP_1) | instid1(VALU_DEP_2)
	v_add3_u32 v9, v1, -1, v8
	v_add_lshl_u32 v10, v1, v8, 3
	v_lshl_add_u32 v9, v9, 2, 0
	s_delay_alu instid0(VALU_DEP_2)
	v_add3_u32 v10, 0, v10, 0xfff8
	ds_store_b32 v9, v7
	ds_store_2addr_b32 v10, v4, v5 offset1:1
	s_or_b32 exec_lo, exec_lo, s41
	s_and_saveexec_b32 s15, vcc_lo
	s_cbranch_execz .LBB215_35
.LBB215_69:                             ;   in Loop: Header=BB215_36 Depth=1
	v_mov_b32_e32 v4, s36
	ds_store_b32 v4, v8
	s_branch .LBB215_35
.LBB215_70:                             ;   in Loop: Header=BB215_72 Depth=1
	s_or_b32 exec_lo, exec_lo, s5
.LBB215_71:                             ;   in Loop: Header=BB215_72 Depth=1
	s_delay_alu instid0(SALU_CYCLE_1) | instskip(SKIP_4) | instid1(VALU_DEP_3)
	s_or_b32 exec_lo, exec_lo, s4
	s_wait_loadcnt 0x0
	v_mul_f32_e64 v3, v7, -s39
	v_dual_lshlrev_b32 v1, 3, v1 :: v_dual_mul_f32 v7, s38, v7
	v_add_nc_u64_e32 v[4:5], 0x400, v[4:5]
	v_fmac_f32_e32 v3, s38, v6
	s_delay_alu instid0(VALU_DEP_3) | instskip(NEXT) | instid1(VALU_DEP_4)
	v_add3_u32 v1, 0, v1, 0x10000
	v_fmac_f32_e32 v7, s39, v6
	ds_add_f32 v1, v3
	ds_add_f32 v1, v7 offset:4
	v_cmp_le_i64_e32 vcc_lo, s[2:3], v[4:5]
	s_or_b32 s1, vcc_lo, s1
	s_delay_alu instid0(SALU_CYCLE_1)
	s_and_not1_b32 exec_lo, exec_lo, s1
	s_cbranch_execz .LBB215_33
.LBB215_72:                             ; =>This Loop Header: Depth=1
                                        ;     Child Loop BB215_75 Depth 2
	v_lshl_add_u64 v[6:7], v[4:5], 2, s[14:15]
	s_mov_b32 s4, exec_lo
	global_load_b32 v1, v[6:7], off
	s_wait_xcnt 0x0
	v_lshl_add_u64 v[6:7], v[4:5], 3, s[16:17]
	global_load_b64 v[6:7], v[6:7], off
	s_wait_loadcnt 0x1
	v_subrev_nc_u32_e32 v3, s23, v1
	s_delay_alu instid0(VALU_DEP_1) | instskip(NEXT) | instid1(VALU_DEP_1)
	v_mul_lo_u32 v1, 0x89, v3
	v_and_b32_e32 v1, 0x3fff, v1
	s_delay_alu instid0(VALU_DEP_1)
	v_lshl_add_u32 v8, v1, 2, 0
	ds_load_b32 v9, v8
	s_wait_dscnt 0x0
	s_wait_xcnt 0x0
	v_cmpx_ne_u32_e64 v9, v3
	s_cbranch_execz .LBB215_71
; %bb.73:                               ;   in Loop: Header=BB215_72 Depth=1
	s_mov_b32 s5, 0
	s_branch .LBB215_75
.LBB215_74:                             ;   in Loop: Header=BB215_75 Depth=2
	s_or_b32 exec_lo, exec_lo, s8
	s_delay_alu instid0(SALU_CYCLE_1) | instskip(NEXT) | instid1(SALU_CYCLE_1)
	s_and_b32 s6, exec_lo, s7
	s_or_b32 s5, s6, s5
	s_delay_alu instid0(SALU_CYCLE_1)
	s_and_not1_b32 exec_lo, exec_lo, s5
	s_cbranch_execz .LBB215_70
.LBB215_75:                             ;   Parent Loop BB215_72 Depth=1
                                        ; =>  This Inner Loop Header: Depth=2
	s_mov_b32 s6, 0
	s_mov_b32 s7, exec_lo
	v_cmpx_ne_u32_e64 s33, v9
	s_xor_b32 s7, exec_lo, s7
	s_cbranch_execz .LBB215_77
; %bb.76:                               ;   in Loop: Header=BB215_75 Depth=2
	v_add_nc_u32_e32 v1, 1, v1
	s_mov_b32 s6, exec_lo
                                        ; implicit-def: $vgpr8
	s_delay_alu instid0(VALU_DEP_1)
	v_and_b32_e32 v1, 0x3fff, v1
	s_and_not1_saveexec_b32 s7, s7
	s_cbranch_execz .LBB215_79
	s_branch .LBB215_78
.LBB215_77:                             ;   in Loop: Header=BB215_75 Depth=2
	s_and_not1_saveexec_b32 s7, s7
	s_cbranch_execz .LBB215_79
.LBB215_78:                             ;   in Loop: Header=BB215_75 Depth=2
	v_mov_b32_e32 v9, s33
	s_and_not1_b32 s6, s6, exec_lo
	ds_cmpstore_rtn_b32 v8, v8, v3, v9
	s_wait_dscnt 0x0
	v_cmp_ne_u32_e32 vcc_lo, s33, v8
	s_and_b32 s8, vcc_lo, exec_lo
	s_delay_alu instid0(SALU_CYCLE_1)
	s_or_b32 s6, s6, s8
.LBB215_79:                             ;   in Loop: Header=BB215_75 Depth=2
	s_or_b32 exec_lo, exec_lo, s7
	s_mov_b32 s7, -1
                                        ; implicit-def: $vgpr8
                                        ; implicit-def: $vgpr9
	s_and_saveexec_b32 s8, s6
	s_cbranch_execz .LBB215_74
; %bb.80:                               ;   in Loop: Header=BB215_75 Depth=2
	v_lshl_add_u32 v8, v1, 2, 0
	ds_load_b32 v9, v8
	s_wait_dscnt 0x0
	v_cmp_eq_u32_e32 vcc_lo, v9, v3
	s_or_not1_b32 s7, vcc_lo, exec_lo
	s_branch .LBB215_74
.LBB215_81:
	s_or_b32 exec_lo, exec_lo, s16
	s_wait_kmcnt 0x0
	s_ashr_i32 s29, s28, 31
	s_delay_alu instid0(SALU_CYCLE_1) | instskip(NEXT) | instid1(SALU_CYCLE_1)
	s_lshl_b64 s[0:1], s[28:29], 3
	s_add_nc_u64 s[4:5], s[18:19], s[0:1]
	s_load_b128 s[0:3], s[4:5], 0x0
	s_wait_xcnt 0x0
	s_mov_b32 s4, exec_lo
	s_wait_kmcnt 0x0
	s_sub_co_i32 s3, s2, s0
	s_delay_alu instid0(SALU_CYCLE_1)
	v_cmpx_gt_i32_e64 s3, v0
	s_cbranch_execz .LBB215_91
; %bb.82:
	s_sub_co_i32 s4, s0, s2
	s_and_b32 s2, s3, 7
	s_cmp_lt_u32 s4, -7
	s_mov_b32 s23, 0
	s_cselect_b32 s4, -1, 0
	s_and_b32 s5, s3, -8
	s_cmp_lg_u32 s2, 0
	s_sub_nc_u64 s[0:1], s[0:1], s[22:23]
	s_cselect_b32 s6, -1, 0
	s_mov_b32 s7, 0
	s_branch .LBB215_84
.LBB215_83:                             ;   in Loop: Header=BB215_84 Depth=1
	v_add_nc_u32_e32 v0, 0x400, v0
	s_delay_alu instid0(VALU_DEP_2) | instskip(NEXT) | instid1(VALU_DEP_2)
	v_lshl_add_u64 v[4:5], v[4:5], 3, s[34:35]
	v_cmp_le_i32_e32 vcc_lo, s3, v0
	s_wait_dscnt 0x0
	global_store_b64 v[4:5], v[2:3], off
	s_or_b32 s7, vcc_lo, s7
	s_wait_xcnt 0x0
	s_and_not1_b32 exec_lo, exec_lo, s7
	s_cbranch_execz .LBB215_91
.LBB215_84:                             ; =>This Loop Header: Depth=1
                                        ;     Child Loop BB215_86 Depth 2
                                        ;     Child Loop BB215_90 Depth 2
	v_lshlrev_b32_e32 v1, 3, v0
	v_lshl_add_u32 v2, v0, 2, 0
	v_mov_b64_e32 v[4:5], s[0:1]
	s_and_not1_b32 vcc_lo, exec_lo, s4
	s_mov_b32 s8, 0
	v_add3_u32 v3, 0, v1, 0x10000
	ds_load_b32 v1, v2
	ds_load_2addr_b32 v[2:3], v3 offset1:1
	s_cbranch_vccnz .LBB215_88
; %bb.85:                               ;   in Loop: Header=BB215_84 Depth=1
	v_mov_b64_e32 v[4:5], s[0:1]
	s_mov_b32 s9, 0
.LBB215_86:                             ;   Parent Loop BB215_84 Depth=1
                                        ; =>  This Inner Loop Header: Depth=2
	s_delay_alu instid0(SALU_CYCLE_1)
	v_dual_mov_b32 v10, s9 :: v_dual_mov_b32 v11, s23
	v_mov_b32_e32 v17, s23
	s_add_co_i32 s8, s8, 8
	s_add_co_i32 s9, s9, 32
	ds_load_2addr_b32 v[6:7], v10 offset1:1
	ds_load_2addr_b32 v[8:9], v10 offset0:2 offset1:3
	ds_load_2addr_b32 v[12:13], v10 offset0:4 offset1:5
	ds_load_2addr_b32 v[14:15], v10 offset0:6 offset1:7
	s_cmp_eq_u32 s5, s8
	s_wait_dscnt 0x3
	v_cmp_gt_i32_e32 vcc_lo, v1, v6
	v_cndmask_b32_e64 v10, 0, 1, vcc_lo
	v_cmp_gt_i32_e32 vcc_lo, v1, v7
	v_mov_b32_e32 v7, s23
	s_delay_alu instid0(VALU_DEP_3) | instskip(SKIP_4) | instid1(VALU_DEP_3)
	v_add_nc_u64_e32 v[4:5], v[4:5], v[10:11]
	v_cndmask_b32_e64 v16, 0, 1, vcc_lo
	s_wait_dscnt 0x2
	v_cmp_gt_i32_e32 vcc_lo, v1, v8
	v_cndmask_b32_e64 v6, 0, 1, vcc_lo
	v_add_nc_u64_e32 v[4:5], v[4:5], v[16:17]
	v_cmp_gt_i32_e32 vcc_lo, v1, v9
	v_mov_b32_e32 v9, s23
	v_cndmask_b32_e64 v10, 0, 1, vcc_lo
	s_delay_alu instid0(VALU_DEP_4) | instskip(SKIP_3) | instid1(VALU_DEP_3)
	v_add_nc_u64_e32 v[4:5], v[4:5], v[6:7]
	s_wait_dscnt 0x1
	v_cmp_gt_i32_e32 vcc_lo, v1, v12
	v_cndmask_b32_e64 v6, 0, 1, vcc_lo
	v_add_nc_u64_e32 v[4:5], v[4:5], v[10:11]
	v_cmp_gt_i32_e32 vcc_lo, v1, v13
	v_cndmask_b32_e64 v8, 0, 1, vcc_lo
	s_delay_alu instid0(VALU_DEP_3) | instskip(SKIP_3) | instid1(VALU_DEP_3)
	v_add_nc_u64_e32 v[4:5], v[4:5], v[6:7]
	s_wait_dscnt 0x0
	v_cmp_gt_i32_e32 vcc_lo, v1, v14
	v_cndmask_b32_e64 v6, 0, 1, vcc_lo
	v_add_nc_u64_e32 v[4:5], v[4:5], v[8:9]
	v_cmp_gt_i32_e32 vcc_lo, v1, v15
	v_cndmask_b32_e64 v8, 0, 1, vcc_lo
	s_delay_alu instid0(VALU_DEP_3) | instskip(NEXT) | instid1(VALU_DEP_1)
	v_add_nc_u64_e32 v[4:5], v[4:5], v[6:7]
	v_add_nc_u64_e32 v[4:5], v[4:5], v[8:9]
	s_cbranch_scc0 .LBB215_86
; %bb.87:                               ;   in Loop: Header=BB215_84 Depth=1
	s_mov_b32 s8, s5
.LBB215_88:                             ;   in Loop: Header=BB215_84 Depth=1
	s_and_not1_b32 vcc_lo, exec_lo, s6
	s_cbranch_vccnz .LBB215_83
; %bb.89:                               ;   in Loop: Header=BB215_84 Depth=1
	s_lshl_b32 s8, s8, 2
	s_mov_b32 s9, s2
	s_add_co_i32 s8, s8, 0
.LBB215_90:                             ;   Parent Loop BB215_84 Depth=1
                                        ; =>  This Inner Loop Header: Depth=2
	s_delay_alu instid0(SALU_CYCLE_1)
	v_dual_mov_b32 v6, s8 :: v_dual_mov_b32 v7, s23
	s_add_co_i32 s9, s9, -1
	s_add_co_i32 s8, s8, 4
	s_cmp_lg_u32 s9, 0
	ds_load_b32 v6, v6
	s_wait_dscnt 0x0
	v_cmp_gt_i32_e32 vcc_lo, v1, v6
	v_cndmask_b32_e64 v6, 0, 1, vcc_lo
	s_delay_alu instid0(VALU_DEP_1)
	v_add_nc_u64_e32 v[4:5], v[4:5], v[6:7]
	s_cbranch_scc1 .LBB215_90
	s_branch .LBB215_83
.LBB215_91:
	s_endpgm
	.section	.rodata,"a",@progbits
	.p2align	6, 0x0
	.amdhsa_kernel _ZN9rocsparseL41csrgemm_numeric_fill_block_per_row_kernelILj1024ELj64ELj16384ELj137ELj64Eli21rocsparse_complex_numIfEEEvT5_PKS3_S5_NS_24const_host_device_scalarIT6_EEPKT4_S5_PKS7_SB_S5_SD_S8_SB_S5_SD_SB_S5_PS7_21rocsparse_index_base_SF_SF_SF_bbb
		.amdhsa_group_segment_fixed_size 0
		.amdhsa_private_segment_fixed_size 0
		.amdhsa_kernarg_size 156
		.amdhsa_user_sgpr_count 2
		.amdhsa_user_sgpr_dispatch_ptr 0
		.amdhsa_user_sgpr_queue_ptr 0
		.amdhsa_user_sgpr_kernarg_segment_ptr 1
		.amdhsa_user_sgpr_dispatch_id 0
		.amdhsa_user_sgpr_kernarg_preload_length 0
		.amdhsa_user_sgpr_kernarg_preload_offset 0
		.amdhsa_user_sgpr_private_segment_size 0
		.amdhsa_wavefront_size32 1
		.amdhsa_uses_dynamic_stack 0
		.amdhsa_enable_private_segment 0
		.amdhsa_system_sgpr_workgroup_id_x 1
		.amdhsa_system_sgpr_workgroup_id_y 0
		.amdhsa_system_sgpr_workgroup_id_z 0
		.amdhsa_system_sgpr_workgroup_info 0
		.amdhsa_system_vgpr_workitem_id 0
		.amdhsa_next_free_vgpr 21
		.amdhsa_next_free_sgpr 48
		.amdhsa_named_barrier_count 0
		.amdhsa_reserve_vcc 1
		.amdhsa_float_round_mode_32 0
		.amdhsa_float_round_mode_16_64 0
		.amdhsa_float_denorm_mode_32 3
		.amdhsa_float_denorm_mode_16_64 3
		.amdhsa_fp16_overflow 0
		.amdhsa_memory_ordered 1
		.amdhsa_forward_progress 1
		.amdhsa_inst_pref_size 29
		.amdhsa_round_robin_scheduling 0
		.amdhsa_exception_fp_ieee_invalid_op 0
		.amdhsa_exception_fp_denorm_src 0
		.amdhsa_exception_fp_ieee_div_zero 0
		.amdhsa_exception_fp_ieee_overflow 0
		.amdhsa_exception_fp_ieee_underflow 0
		.amdhsa_exception_fp_ieee_inexact 0
		.amdhsa_exception_int_div_zero 0
	.end_amdhsa_kernel
	.section	.text._ZN9rocsparseL41csrgemm_numeric_fill_block_per_row_kernelILj1024ELj64ELj16384ELj137ELj64Eli21rocsparse_complex_numIfEEEvT5_PKS3_S5_NS_24const_host_device_scalarIT6_EEPKT4_S5_PKS7_SB_S5_SD_S8_SB_S5_SD_SB_S5_PS7_21rocsparse_index_base_SF_SF_SF_bbb,"axG",@progbits,_ZN9rocsparseL41csrgemm_numeric_fill_block_per_row_kernelILj1024ELj64ELj16384ELj137ELj64Eli21rocsparse_complex_numIfEEEvT5_PKS3_S5_NS_24const_host_device_scalarIT6_EEPKT4_S5_PKS7_SB_S5_SD_S8_SB_S5_SD_SB_S5_PS7_21rocsparse_index_base_SF_SF_SF_bbb,comdat
.Lfunc_end215:
	.size	_ZN9rocsparseL41csrgemm_numeric_fill_block_per_row_kernelILj1024ELj64ELj16384ELj137ELj64Eli21rocsparse_complex_numIfEEEvT5_PKS3_S5_NS_24const_host_device_scalarIT6_EEPKT4_S5_PKS7_SB_S5_SD_S8_SB_S5_SD_SB_S5_PS7_21rocsparse_index_base_SF_SF_SF_bbb, .Lfunc_end215-_ZN9rocsparseL41csrgemm_numeric_fill_block_per_row_kernelILj1024ELj64ELj16384ELj137ELj64Eli21rocsparse_complex_numIfEEEvT5_PKS3_S5_NS_24const_host_device_scalarIT6_EEPKT4_S5_PKS7_SB_S5_SD_S8_SB_S5_SD_SB_S5_PS7_21rocsparse_index_base_SF_SF_SF_bbb
                                        ; -- End function
	.set _ZN9rocsparseL41csrgemm_numeric_fill_block_per_row_kernelILj1024ELj64ELj16384ELj137ELj64Eli21rocsparse_complex_numIfEEEvT5_PKS3_S5_NS_24const_host_device_scalarIT6_EEPKT4_S5_PKS7_SB_S5_SD_S8_SB_S5_SD_SB_S5_PS7_21rocsparse_index_base_SF_SF_SF_bbb.num_vgpr, 21
	.set _ZN9rocsparseL41csrgemm_numeric_fill_block_per_row_kernelILj1024ELj64ELj16384ELj137ELj64Eli21rocsparse_complex_numIfEEEvT5_PKS3_S5_NS_24const_host_device_scalarIT6_EEPKT4_S5_PKS7_SB_S5_SD_S8_SB_S5_SD_SB_S5_PS7_21rocsparse_index_base_SF_SF_SF_bbb.num_agpr, 0
	.set _ZN9rocsparseL41csrgemm_numeric_fill_block_per_row_kernelILj1024ELj64ELj16384ELj137ELj64Eli21rocsparse_complex_numIfEEEvT5_PKS3_S5_NS_24const_host_device_scalarIT6_EEPKT4_S5_PKS7_SB_S5_SD_S8_SB_S5_SD_SB_S5_PS7_21rocsparse_index_base_SF_SF_SF_bbb.numbered_sgpr, 48
	.set _ZN9rocsparseL41csrgemm_numeric_fill_block_per_row_kernelILj1024ELj64ELj16384ELj137ELj64Eli21rocsparse_complex_numIfEEEvT5_PKS3_S5_NS_24const_host_device_scalarIT6_EEPKT4_S5_PKS7_SB_S5_SD_S8_SB_S5_SD_SB_S5_PS7_21rocsparse_index_base_SF_SF_SF_bbb.num_named_barrier, 0
	.set _ZN9rocsparseL41csrgemm_numeric_fill_block_per_row_kernelILj1024ELj64ELj16384ELj137ELj64Eli21rocsparse_complex_numIfEEEvT5_PKS3_S5_NS_24const_host_device_scalarIT6_EEPKT4_S5_PKS7_SB_S5_SD_S8_SB_S5_SD_SB_S5_PS7_21rocsparse_index_base_SF_SF_SF_bbb.private_seg_size, 0
	.set _ZN9rocsparseL41csrgemm_numeric_fill_block_per_row_kernelILj1024ELj64ELj16384ELj137ELj64Eli21rocsparse_complex_numIfEEEvT5_PKS3_S5_NS_24const_host_device_scalarIT6_EEPKT4_S5_PKS7_SB_S5_SD_S8_SB_S5_SD_SB_S5_PS7_21rocsparse_index_base_SF_SF_SF_bbb.uses_vcc, 1
	.set _ZN9rocsparseL41csrgemm_numeric_fill_block_per_row_kernelILj1024ELj64ELj16384ELj137ELj64Eli21rocsparse_complex_numIfEEEvT5_PKS3_S5_NS_24const_host_device_scalarIT6_EEPKT4_S5_PKS7_SB_S5_SD_S8_SB_S5_SD_SB_S5_PS7_21rocsparse_index_base_SF_SF_SF_bbb.uses_flat_scratch, 0
	.set _ZN9rocsparseL41csrgemm_numeric_fill_block_per_row_kernelILj1024ELj64ELj16384ELj137ELj64Eli21rocsparse_complex_numIfEEEvT5_PKS3_S5_NS_24const_host_device_scalarIT6_EEPKT4_S5_PKS7_SB_S5_SD_S8_SB_S5_SD_SB_S5_PS7_21rocsparse_index_base_SF_SF_SF_bbb.has_dyn_sized_stack, 0
	.set _ZN9rocsparseL41csrgemm_numeric_fill_block_per_row_kernelILj1024ELj64ELj16384ELj137ELj64Eli21rocsparse_complex_numIfEEEvT5_PKS3_S5_NS_24const_host_device_scalarIT6_EEPKT4_S5_PKS7_SB_S5_SD_S8_SB_S5_SD_SB_S5_PS7_21rocsparse_index_base_SF_SF_SF_bbb.has_recursion, 0
	.set _ZN9rocsparseL41csrgemm_numeric_fill_block_per_row_kernelILj1024ELj64ELj16384ELj137ELj64Eli21rocsparse_complex_numIfEEEvT5_PKS3_S5_NS_24const_host_device_scalarIT6_EEPKT4_S5_PKS7_SB_S5_SD_S8_SB_S5_SD_SB_S5_PS7_21rocsparse_index_base_SF_SF_SF_bbb.has_indirect_call, 0
	.section	.AMDGPU.csdata,"",@progbits
; Kernel info:
; codeLenInByte = 3608
; TotalNumSgprs: 50
; NumVgprs: 21
; ScratchSize: 0
; MemoryBound: 0
; FloatMode: 240
; IeeeMode: 1
; LDSByteSize: 0 bytes/workgroup (compile time only)
; SGPRBlocks: 0
; VGPRBlocks: 1
; NumSGPRsForWavesPerEU: 50
; NumVGPRsForWavesPerEU: 21
; NamedBarCnt: 0
; Occupancy: 16
; WaveLimiterHint : 1
; COMPUTE_PGM_RSRC2:SCRATCH_EN: 0
; COMPUTE_PGM_RSRC2:USER_SGPR: 2
; COMPUTE_PGM_RSRC2:TRAP_HANDLER: 0
; COMPUTE_PGM_RSRC2:TGID_X_EN: 1
; COMPUTE_PGM_RSRC2:TGID_Y_EN: 0
; COMPUTE_PGM_RSRC2:TGID_Z_EN: 0
; COMPUTE_PGM_RSRC2:TIDIG_COMP_CNT: 0
	.section	.text._ZN9rocsparseL41csrgemm_numeric_fill_block_per_row_kernelILj1024ELj64ELj32768ELj137ELj32Eli21rocsparse_complex_numIfEEEvT5_PKS3_S5_NS_24const_host_device_scalarIT6_EEPKT4_S5_PKS7_SB_S5_SD_S8_SB_S5_SD_SB_S5_PS7_21rocsparse_index_base_SF_SF_SF_bbb,"axG",@progbits,_ZN9rocsparseL41csrgemm_numeric_fill_block_per_row_kernelILj1024ELj64ELj32768ELj137ELj32Eli21rocsparse_complex_numIfEEEvT5_PKS3_S5_NS_24const_host_device_scalarIT6_EEPKT4_S5_PKS7_SB_S5_SD_S8_SB_S5_SD_SB_S5_PS7_21rocsparse_index_base_SF_SF_SF_bbb,comdat
	.globl	_ZN9rocsparseL41csrgemm_numeric_fill_block_per_row_kernelILj1024ELj64ELj32768ELj137ELj32Eli21rocsparse_complex_numIfEEEvT5_PKS3_S5_NS_24const_host_device_scalarIT6_EEPKT4_S5_PKS7_SB_S5_SD_S8_SB_S5_SD_SB_S5_PS7_21rocsparse_index_base_SF_SF_SF_bbb ; -- Begin function _ZN9rocsparseL41csrgemm_numeric_fill_block_per_row_kernelILj1024ELj64ELj32768ELj137ELj32Eli21rocsparse_complex_numIfEEEvT5_PKS3_S5_NS_24const_host_device_scalarIT6_EEPKT4_S5_PKS7_SB_S5_SD_S8_SB_S5_SD_SB_S5_PS7_21rocsparse_index_base_SF_SF_SF_bbb
	.p2align	8
	.type	_ZN9rocsparseL41csrgemm_numeric_fill_block_per_row_kernelILj1024ELj64ELj32768ELj137ELj32Eli21rocsparse_complex_numIfEEEvT5_PKS3_S5_NS_24const_host_device_scalarIT6_EEPKT4_S5_PKS7_SB_S5_SD_S8_SB_S5_SD_SB_S5_PS7_21rocsparse_index_base_SF_SF_SF_bbb,@function
_ZN9rocsparseL41csrgemm_numeric_fill_block_per_row_kernelILj1024ELj64ELj32768ELj137ELj32Eli21rocsparse_complex_numIfEEEvT5_PKS3_S5_NS_24const_host_device_scalarIT6_EEPKT4_S5_PKS7_SB_S5_SD_S8_SB_S5_SD_SB_S5_PS7_21rocsparse_index_base_SF_SF_SF_bbb: ; @_ZN9rocsparseL41csrgemm_numeric_fill_block_per_row_kernelILj1024ELj64ELj32768ELj137ELj32Eli21rocsparse_complex_numIfEEEvT5_PKS3_S5_NS_24const_host_device_scalarIT6_EEPKT4_S5_PKS7_SB_S5_SD_S8_SB_S5_SD_SB_S5_PS7_21rocsparse_index_base_SF_SF_SF_bbb
; %bb.0:
	s_clause 0x3
	s_load_b32 s22, s[0:1], 0x98
	s_load_b128 s[44:47], s[0:1], 0x88
	s_load_b128 s[16:19], s[0:1], 0x8
	s_load_b64 s[20:21], s[0:1], 0x50
	s_mov_b32 s3, 0
	s_mov_b32 s24, 0
	s_wait_kmcnt 0x0
	s_bitcmp1_b32 s22, 0
	s_cselect_b32 s25, -1, 0
	s_bitcmp1_b32 s22, 16
	s_cselect_b32 s2, -1, 0
	s_delay_alu instid0(SALU_CYCLE_1) | instskip(SKIP_2) | instid1(VALU_DEP_1)
	s_xor_b32 s4, s2, -1
	s_bitcmp0_b32 s22, 0
	v_cndmask_b32_e64 v1, 0, 1, s4
	v_cmp_ne_u32_e32 vcc_lo, 1, v1
	s_cbranch_scc1 .LBB216_5
; %bb.1:
	s_load_b64 s[2:3], s[0:1], 0x18
	s_and_b32 vcc_lo, exec_lo, vcc_lo
	s_wait_kmcnt 0x0
	s_mov_b32 s24, s2
	s_cbranch_vccnz .LBB216_3
; %bb.2:
	s_load_b32 s24, s[2:3], 0x0
.LBB216_3:
	s_and_not1_b32 vcc_lo, exec_lo, s4
	s_cbranch_vccnz .LBB216_5
; %bb.4:
	s_wait_xcnt 0x0
	s_load_b32 s3, s[2:3], 0x4
.LBB216_5:
	s_clause 0x3
	s_load_b64 s[34:35], s[0:1], 0x80
	s_load_b256 s[36:43], s[0:1], 0x58
	s_load_b128 s[12:15], s[0:1], 0x40
	s_load_b256 s[4:11], s[0:1], 0x20
	s_bitcmp1_b32 s22, 8
	s_wait_xcnt 0x0
	s_cselect_b32 s2, -1, 0
	s_bfe_u32 s23, s22, 0x10008
	s_mov_b32 s22, 0
	s_cmp_eq_u32 s23, 0
	s_mov_b32 s23, 0
	s_cbranch_scc1 .LBB216_11
; %bb.6:
	v_cmp_ne_u32_e32 vcc_lo, 1, v1
	s_mov_b32 s22, s20
	s_cbranch_vccnz .LBB216_8
; %bb.7:
	s_load_b32 s22, s[20:21], 0x0
.LBB216_8:
	v_cmp_ne_u32_e32 vcc_lo, 1, v1
	s_cbranch_vccnz .LBB216_10
; %bb.9:
	s_wait_xcnt 0x0
	s_load_b32 s21, s[20:21], 0x4
.LBB216_10:
	s_wait_kmcnt 0x0
	s_mov_b32 s23, s21
.LBB216_11:
	s_load_b32 s33, s[0:1], 0x0
	v_lshl_add_u32 v12, v0, 2, 0
	v_lshlrev_b32_e32 v1, 3, v0
	v_or_b32_e32 v14, 0xfffffc00, v0
	s_wait_xcnt 0x0
	s_mov_b32 s0, 0
	v_mov_b32_e32 v2, v12
	v_add3_u32 v13, v1, 0, 0x20000
	v_dual_mov_b32 v1, 0 :: v_dual_mov_b32 v5, v14
	s_wait_kmcnt 0x0
	s_delay_alu instid0(VALU_DEP_2)
	v_dual_mov_b32 v3, v13 :: v_dual_mov_b32 v4, s33
.LBB216_12:                             ; =>This Inner Loop Header: Depth=1
	s_delay_alu instid0(VALU_DEP_2)
	v_add_nc_u32_e32 v5, 0x400, v5
	ds_store_b32 v2, v4
	ds_store_2addr_b32 v3, v1, v1 offset1:1
	v_add_nc_u32_e32 v3, 0x2000, v3
	v_add_nc_u32_e32 v2, 0x1000, v2
	v_cmp_lt_u32_e32 vcc_lo, 0x7bff, v5
	s_or_b32 s0, vcc_lo, s0
	s_delay_alu instid0(SALU_CYCLE_1)
	s_and_not1_b32 exec_lo, exec_lo, s0
	s_cbranch_execnz .LBB216_12
; %bb.13:
	s_or_b32 exec_lo, exec_lo, s0
	s_wait_dscnt 0x0
	s_barrier_signal -1
	s_barrier_wait -1
	s_load_b32 s0, s[16:17], 0x0
	s_bfe_u32 s1, ttmp6, 0x4000c
	s_wait_xcnt 0x0
	s_and_b32 s16, ttmp6, 15
	s_add_co_i32 s1, s1, 1
	s_getreg_b32 s17, hwreg(HW_REG_IB_STS2, 6, 4)
	s_mul_i32 s1, ttmp9, s1
	s_delay_alu instid0(SALU_CYCLE_1)
	s_add_co_i32 s16, s16, s1
	s_cmp_eq_u32 s17, 0
	s_cselect_b32 s1, ttmp9, s16
	s_and_b32 vcc_lo, exec_lo, s25
	s_wait_kmcnt 0x0
	s_add_co_i32 s0, s0, s1
	s_mov_b32 s1, 0
	s_load_b32 s48, s[18:19], s0 offset:0x0 scale_offset
	s_cbranch_vccz .LBB216_31
; %bb.14:
	s_wait_kmcnt 0x0
	s_ashr_i32 s49, s48, 31
	v_dual_mov_b32 v5, 0 :: v_dual_lshrrev_b32 v4, 6, v0
	s_lshl_b64 s[16:17], s[48:49], 3
	s_mov_b32 s0, s44
	s_add_nc_u64 s[4:5], s[4:5], s[16:17]
	s_load_b128 s[16:19], s[4:5], 0x0
	v_sub_nc_u64_e64 v[2:3], v[4:5], s[0:1]
	s_wait_kmcnt 0x0
	s_delay_alu instid0(VALU_DEP_1) | instskip(SKIP_2) | instid1(VALU_DEP_1)
	v_add_nc_u64_e32 v[2:3], s[16:17], v[2:3]
	s_sub_nc_u64 s[0:1], s[18:19], s[0:1]
	s_mov_b32 s16, exec_lo
	v_cmpx_gt_i64_e64 s[0:1], v[2:3]
	s_cbranch_execz .LBB216_30
; %bb.15:
	v_and_b32_e32 v4, 63, v0
	s_mov_b32 s5, 0
	s_mov_b32 s4, s45
	;; [unrolled: 1-line block ×3, first 2 shown]
	s_delay_alu instid0(VALU_DEP_1)
	v_sub_nc_u64_e64 v[4:5], v[4:5], s[4:5]
	s_branch .LBB216_17
.LBB216_16:                             ;   in Loop: Header=BB216_17 Depth=1
	s_or_b32 exec_lo, exec_lo, s18
	v_add_nc_u64_e32 v[2:3], 16, v[2:3]
	s_delay_alu instid0(VALU_DEP_1) | instskip(SKIP_1) | instid1(SALU_CYCLE_1)
	v_cmp_le_i64_e32 vcc_lo, s[0:1], v[2:3]
	s_or_b32 s17, vcc_lo, s17
	s_and_not1_b32 exec_lo, exec_lo, s17
	s_cbranch_execz .LBB216_30
.LBB216_17:                             ; =>This Loop Header: Depth=1
                                        ;     Child Loop BB216_21 Depth 2
                                        ;       Child Loop BB216_24 Depth 3
	v_lshl_add_u64 v[6:7], v[2:3], 2, s[6:7]
	s_mov_b32 s18, exec_lo
	global_load_b32 v1, v[6:7], off
	s_wait_loadcnt 0x0
	s_wait_xcnt 0x0
	v_subrev_nc_u32_e32 v6, s44, v1
	s_delay_alu instid0(VALU_DEP_1) | instskip(NEXT) | instid1(VALU_DEP_1)
	v_ashrrev_i32_e32 v7, 31, v6
	v_lshl_add_u64 v[6:7], v[6:7], 3, s[10:11]
	global_load_b128 v[8:11], v[6:7], off
	s_wait_loadcnt 0x0
	s_wait_xcnt 0x0
	v_sub_nc_u64_e64 v[6:7], v[10:11], s[4:5]
	v_add_nc_u64_e32 v[8:9], v[8:9], v[4:5]
	s_delay_alu instid0(VALU_DEP_1)
	v_cmpx_lt_i64_e64 v[8:9], v[6:7]
	s_cbranch_execz .LBB216_16
; %bb.18:                               ;   in Loop: Header=BB216_17 Depth=1
	v_lshl_add_u64 v[10:11], v[2:3], 3, s[8:9]
	s_mov_b32 s19, 0
	global_load_b64 v[10:11], v[10:11], off
	s_wait_loadcnt 0x0
	v_mul_f32_e64 v1, v11, -s3
	s_delay_alu instid0(VALU_DEP_1) | instskip(NEXT) | instid1(VALU_DEP_1)
	v_dual_mul_f32 v15, s24, v11 :: v_dual_fmac_f32 v1, s24, v10
	v_fmac_f32_e32 v15, s3, v10
	s_branch .LBB216_21
.LBB216_19:                             ;   in Loop: Header=BB216_21 Depth=2
	s_or_b32 exec_lo, exec_lo, s21
.LBB216_20:                             ;   in Loop: Header=BB216_21 Depth=2
	s_delay_alu instid0(SALU_CYCLE_1) | instskip(SKIP_4) | instid1(VALU_DEP_3)
	s_or_b32 exec_lo, exec_lo, s20
	s_wait_loadcnt 0x0
	v_dual_mul_f32 v17, v11, -v15 :: v_dual_lshlrev_b32 v16, 3, v16
	v_mul_f32_e32 v11, v1, v11
	v_add_nc_u64_e32 v[8:9], 64, v[8:9]
	v_fmac_f32_e32 v17, v1, v10
	s_delay_alu instid0(VALU_DEP_4) | instskip(NEXT) | instid1(VALU_DEP_4)
	v_add3_u32 v16, 0, v16, 0x20000
	v_fmac_f32_e32 v11, v15, v10
	ds_add_f32 v16, v17
	ds_add_f32 v16, v11 offset:4
	v_cmp_ge_i64_e32 vcc_lo, v[8:9], v[6:7]
	s_or_b32 s19, vcc_lo, s19
	s_delay_alu instid0(SALU_CYCLE_1)
	s_and_not1_b32 exec_lo, exec_lo, s19
	s_cbranch_execz .LBB216_16
.LBB216_21:                             ;   Parent Loop BB216_17 Depth=1
                                        ; =>  This Loop Header: Depth=2
                                        ;       Child Loop BB216_24 Depth 3
	s_wait_xcnt 0x0
	v_lshl_add_u64 v[10:11], v[8:9], 2, s[12:13]
	s_mov_b32 s20, exec_lo
	global_load_b32 v16, v[10:11], off
	s_wait_xcnt 0x0
	v_lshl_add_u64 v[10:11], v[8:9], 3, s[14:15]
	global_load_b64 v[10:11], v[10:11], off
	s_wait_loadcnt 0x1
	v_subrev_nc_u32_e32 v17, s45, v16
	s_delay_alu instid0(VALU_DEP_1) | instskip(NEXT) | instid1(VALU_DEP_1)
	v_mul_lo_u32 v16, 0x89, v17
	v_and_b32_e32 v16, 0x7fff, v16
	s_delay_alu instid0(VALU_DEP_1)
	v_lshl_add_u32 v18, v16, 2, 0
	ds_load_b32 v19, v18
	s_wait_dscnt 0x0
	s_wait_xcnt 0x0
	v_cmpx_ne_u32_e64 v19, v17
	s_cbranch_execz .LBB216_20
; %bb.22:                               ;   in Loop: Header=BB216_21 Depth=2
	s_mov_b32 s21, 0
	s_branch .LBB216_24
.LBB216_23:                             ;   in Loop: Header=BB216_24 Depth=3
	s_or_b32 exec_lo, exec_lo, s27
	s_delay_alu instid0(SALU_CYCLE_1) | instskip(NEXT) | instid1(SALU_CYCLE_1)
	s_and_b32 s25, exec_lo, s26
	s_or_b32 s21, s25, s21
	s_delay_alu instid0(SALU_CYCLE_1)
	s_and_not1_b32 exec_lo, exec_lo, s21
	s_cbranch_execz .LBB216_19
.LBB216_24:                             ;   Parent Loop BB216_17 Depth=1
                                        ;     Parent Loop BB216_21 Depth=2
                                        ; =>    This Inner Loop Header: Depth=3
	s_mov_b32 s25, 0
	s_mov_b32 s26, exec_lo
	v_cmpx_ne_u32_e64 s33, v19
	s_xor_b32 s26, exec_lo, s26
	s_cbranch_execz .LBB216_26
; %bb.25:                               ;   in Loop: Header=BB216_24 Depth=3
	v_add_nc_u32_e32 v16, 1, v16
	s_mov_b32 s25, exec_lo
                                        ; implicit-def: $vgpr18
	s_delay_alu instid0(VALU_DEP_1)
	v_and_b32_e32 v16, 0x7fff, v16
	s_and_not1_saveexec_b32 s26, s26
	s_cbranch_execz .LBB216_28
	s_branch .LBB216_27
.LBB216_26:                             ;   in Loop: Header=BB216_24 Depth=3
	s_and_not1_saveexec_b32 s26, s26
	s_cbranch_execz .LBB216_28
.LBB216_27:                             ;   in Loop: Header=BB216_24 Depth=3
	v_mov_b32_e32 v19, s33
	s_and_not1_b32 s25, s25, exec_lo
	ds_cmpstore_rtn_b32 v18, v18, v17, v19
	s_wait_dscnt 0x0
	v_cmp_ne_u32_e32 vcc_lo, s33, v18
	s_and_b32 s27, vcc_lo, exec_lo
	s_delay_alu instid0(SALU_CYCLE_1)
	s_or_b32 s25, s25, s27
.LBB216_28:                             ;   in Loop: Header=BB216_24 Depth=3
	s_or_b32 exec_lo, exec_lo, s26
	s_mov_b32 s26, -1
                                        ; implicit-def: $vgpr18
                                        ; implicit-def: $vgpr19
	s_and_saveexec_b32 s27, s25
	s_cbranch_execz .LBB216_23
; %bb.29:                               ;   in Loop: Header=BB216_24 Depth=3
	v_lshl_add_u32 v18, v16, 2, 0
	ds_load_b32 v19, v18
	s_wait_dscnt 0x0
	v_cmp_eq_u32_e32 vcc_lo, v19, v17
	s_or_not1_b32 s26, vcc_lo, exec_lo
	s_branch .LBB216_23
.LBB216_30:
	s_or_b32 exec_lo, exec_lo, s16
.LBB216_31:
	s_delay_alu instid0(SALU_CYCLE_1)
	s_and_not1_b32 vcc_lo, exec_lo, s2
	s_cbranch_vccnz .LBB216_34
; %bb.32:
	s_wait_kmcnt 0x0
	s_ashr_i32 s49, s48, 31
	v_mov_b32_e32 v1, 0
	s_lshl_b64 s[0:1], s[48:49], 3
	s_delay_alu instid0(SALU_CYCLE_1) | instskip(SKIP_4) | instid1(SALU_CYCLE_1)
	s_add_nc_u64 s[0:1], s[36:37], s[0:1]
	s_load_b128 s[4:7], s[0:1], 0x0
	s_wait_xcnt 0x0
	s_mov_b32 s1, 0
	s_mov_b32 s0, s47
	v_sub_nc_u64_e64 v[2:3], v[0:1], s[0:1]
	s_wait_kmcnt 0x0
	s_delay_alu instid0(VALU_DEP_1) | instskip(SKIP_2) | instid1(VALU_DEP_1)
	v_add_nc_u64_e32 v[2:3], s[4:5], v[2:3]
	s_sub_nc_u64 s[2:3], s[6:7], s[0:1]
	s_mov_b32 s0, exec_lo
	v_cmpx_gt_i64_e64 s[2:3], v[2:3]
	s_cbranch_execnz .LBB216_104
.LBB216_33:
	s_or_b32 exec_lo, exec_lo, s0
.LBB216_34:
	v_mbcnt_lo_u32_b32 v1, -1, 0
	v_lshrrev_b32_e32 v2, 3, v0
	s_wait_xcnt 0x0
	v_cmp_lt_u32_e64 s0, 31, v0
	v_cmp_lt_u32_e64 s1, 63, v0
	;; [unrolled: 1-line block ×3, first 2 shown]
	v_xor_b32_e32 v3, 31, v1
	v_and_b32_e32 v4, 0x7c, v2
	v_mov_b32_e32 v1, 0
	v_cmp_lt_u32_e64 s3, 0x7f, v0
	v_cmp_lt_u32_e64 s4, 0x9f, v0
	v_lshrrev_b32_e64 v2, v3, -1
	v_add3_u32 v3, 0x60000, 0, v4
	v_cmp_lt_u32_e64 s5, 0xbf, v0
	v_cmp_lt_u32_e64 s6, 0xdf, v0
	;; [unrolled: 1-line block ×26, first 2 shown]
	s_mov_b32 s36, 0
	s_add_co_i32 s37, 0, 0x60000
	s_add_co_i32 s38, 0, 0x60004
	;; [unrolled: 1-line block ×32, first 2 shown]
	s_wait_dscnt 0x0
	s_barrier_signal -1
	s_barrier_wait -1
	v_cmp_eq_u32_e32 vcc_lo, 0x3ff, v0
	s_branch .LBB216_36
.LBB216_35:                             ;   in Loop: Header=BB216_36 Depth=1
	s_or_b32 exec_lo, exec_lo, s31
	v_dual_mov_b32 v4, s72 :: v_dual_add_nc_u32 v13, 0x2000, v13
	s_wait_dscnt 0x0
	s_barrier_signal -1
	s_barrier_wait -1
	ds_load_b32 v4, v4
	v_add_nc_u32_e32 v14, 0x400, v14
	v_add_nc_u32_e32 v12, 0x1000, v12
	s_delay_alu instid0(VALU_DEP_2)
	v_cmp_lt_u32_e64 s31, 0x7bff, v14
	s_or_b32 s36, s31, s36
	s_wait_dscnt 0x0
	v_add_nc_u32_e32 v1, v4, v1
	s_and_not1_b32 exec_lo, exec_lo, s36
	s_cbranch_execz .LBB216_113
.LBB216_36:                             ; =>This Inner Loop Header: Depth=1
	ds_load_b32 v6, v12
	ds_load_2addr_b32 v[4:5], v13 offset1:1
	s_wait_dscnt 0x0
	s_barrier_signal -1
	s_barrier_wait -1
	v_cmp_gt_i32_e64 s31, s33, v6
	s_bcnt1_i32_b32 s73, s31
	s_delay_alu instid0(SALU_CYCLE_1) | instskip(NEXT) | instid1(VALU_DEP_1)
	v_dual_mov_b32 v8, s73 :: v_dual_bitop2_b32 v7, s31, v2 bitop3:0x40
	v_bcnt_u32_b32 v7, v7, 0
	ds_store_b32 v3, v8
	s_wait_dscnt 0x0
	s_barrier_signal -1
	s_barrier_wait -1
	s_and_saveexec_b32 s73, s0
	s_cbranch_execz .LBB216_69
; %bb.37:                               ;   in Loop: Header=BB216_36 Depth=1
	v_mov_b32_e32 v8, s37
	ds_load_b32 v8, v8
	s_wait_dscnt 0x0
	v_add_nc_u32_e32 v7, v8, v7
	s_or_b32 exec_lo, exec_lo, s73
	s_and_saveexec_b32 s73, s1
	s_cbranch_execnz .LBB216_70
.LBB216_38:                             ;   in Loop: Header=BB216_36 Depth=1
	s_or_b32 exec_lo, exec_lo, s73
	s_and_saveexec_b32 s73, s2
	s_cbranch_execz .LBB216_71
.LBB216_39:                             ;   in Loop: Header=BB216_36 Depth=1
	v_mov_b32_e32 v8, s39
	ds_load_b32 v8, v8
	s_wait_dscnt 0x0
	v_add_nc_u32_e32 v7, v8, v7
	s_or_b32 exec_lo, exec_lo, s73
	s_and_saveexec_b32 s73, s3
	s_cbranch_execnz .LBB216_72
.LBB216_40:                             ;   in Loop: Header=BB216_36 Depth=1
	s_or_b32 exec_lo, exec_lo, s73
	s_and_saveexec_b32 s73, s4
	s_cbranch_execz .LBB216_73
.LBB216_41:                             ;   in Loop: Header=BB216_36 Depth=1
	v_mov_b32_e32 v8, s41
	ds_load_b32 v8, v8
	s_wait_dscnt 0x0
	v_add_nc_u32_e32 v7, v8, v7
	s_or_b32 exec_lo, exec_lo, s73
	s_and_saveexec_b32 s73, s5
	s_cbranch_execnz .LBB216_74
.LBB216_42:                             ;   in Loop: Header=BB216_36 Depth=1
	s_or_b32 exec_lo, exec_lo, s73
	s_and_saveexec_b32 s73, s6
	s_cbranch_execz .LBB216_75
.LBB216_43:                             ;   in Loop: Header=BB216_36 Depth=1
	v_mov_b32_e32 v8, s45
	ds_load_b32 v8, v8
	s_wait_dscnt 0x0
	v_add_nc_u32_e32 v7, v8, v7
	s_or_b32 exec_lo, exec_lo, s73
	s_and_saveexec_b32 s73, s7
	s_cbranch_execnz .LBB216_76
.LBB216_44:                             ;   in Loop: Header=BB216_36 Depth=1
	s_or_b32 exec_lo, exec_lo, s73
	s_and_saveexec_b32 s73, s8
	s_cbranch_execz .LBB216_77
.LBB216_45:                             ;   in Loop: Header=BB216_36 Depth=1
	v_mov_b32_e32 v8, s49
	ds_load_b32 v8, v8
	s_wait_dscnt 0x0
	v_add_nc_u32_e32 v7, v8, v7
	s_or_b32 exec_lo, exec_lo, s73
	s_and_saveexec_b32 s73, s9
	s_cbranch_execnz .LBB216_78
.LBB216_46:                             ;   in Loop: Header=BB216_36 Depth=1
	s_or_b32 exec_lo, exec_lo, s73
	s_and_saveexec_b32 s73, s10
	s_cbranch_execz .LBB216_79
.LBB216_47:                             ;   in Loop: Header=BB216_36 Depth=1
	v_mov_b32_e32 v8, s51
	ds_load_b32 v8, v8
	s_wait_dscnt 0x0
	v_add_nc_u32_e32 v7, v8, v7
	s_or_b32 exec_lo, exec_lo, s73
	s_and_saveexec_b32 s73, s11
	s_cbranch_execnz .LBB216_80
.LBB216_48:                             ;   in Loop: Header=BB216_36 Depth=1
	s_or_b32 exec_lo, exec_lo, s73
	s_and_saveexec_b32 s73, s12
	s_cbranch_execz .LBB216_81
.LBB216_49:                             ;   in Loop: Header=BB216_36 Depth=1
	v_mov_b32_e32 v8, s53
	ds_load_b32 v8, v8
	s_wait_dscnt 0x0
	v_add_nc_u32_e32 v7, v8, v7
	s_or_b32 exec_lo, exec_lo, s73
	s_and_saveexec_b32 s73, s13
	s_cbranch_execnz .LBB216_82
.LBB216_50:                             ;   in Loop: Header=BB216_36 Depth=1
	s_or_b32 exec_lo, exec_lo, s73
	s_and_saveexec_b32 s73, s14
	s_cbranch_execz .LBB216_83
.LBB216_51:                             ;   in Loop: Header=BB216_36 Depth=1
	v_mov_b32_e32 v8, s55
	ds_load_b32 v8, v8
	s_wait_dscnt 0x0
	v_add_nc_u32_e32 v7, v8, v7
	s_or_b32 exec_lo, exec_lo, s73
	s_and_saveexec_b32 s73, s15
	s_cbranch_execnz .LBB216_84
.LBB216_52:                             ;   in Loop: Header=BB216_36 Depth=1
	s_or_b32 exec_lo, exec_lo, s73
	s_and_saveexec_b32 s73, s16
	s_cbranch_execz .LBB216_85
.LBB216_53:                             ;   in Loop: Header=BB216_36 Depth=1
	v_mov_b32_e32 v8, s57
	ds_load_b32 v8, v8
	s_wait_dscnt 0x0
	v_add_nc_u32_e32 v7, v8, v7
	s_or_b32 exec_lo, exec_lo, s73
	s_and_saveexec_b32 s73, s17
	s_cbranch_execnz .LBB216_86
.LBB216_54:                             ;   in Loop: Header=BB216_36 Depth=1
	s_or_b32 exec_lo, exec_lo, s73
	s_and_saveexec_b32 s73, s18
	s_cbranch_execz .LBB216_87
.LBB216_55:                             ;   in Loop: Header=BB216_36 Depth=1
	v_mov_b32_e32 v8, s59
	ds_load_b32 v8, v8
	s_wait_dscnt 0x0
	v_add_nc_u32_e32 v7, v8, v7
	s_or_b32 exec_lo, exec_lo, s73
	s_and_saveexec_b32 s73, s19
	s_cbranch_execnz .LBB216_88
.LBB216_56:                             ;   in Loop: Header=BB216_36 Depth=1
	s_or_b32 exec_lo, exec_lo, s73
	s_and_saveexec_b32 s73, s20
	s_cbranch_execz .LBB216_89
.LBB216_57:                             ;   in Loop: Header=BB216_36 Depth=1
	v_mov_b32_e32 v8, s61
	ds_load_b32 v8, v8
	s_wait_dscnt 0x0
	v_add_nc_u32_e32 v7, v8, v7
	s_or_b32 exec_lo, exec_lo, s73
	s_and_saveexec_b32 s73, s21
	s_cbranch_execnz .LBB216_90
.LBB216_58:                             ;   in Loop: Header=BB216_36 Depth=1
	s_or_b32 exec_lo, exec_lo, s73
	s_and_saveexec_b32 s73, s22
	s_cbranch_execz .LBB216_91
.LBB216_59:                             ;   in Loop: Header=BB216_36 Depth=1
	v_mov_b32_e32 v8, s63
	ds_load_b32 v8, v8
	s_wait_dscnt 0x0
	v_add_nc_u32_e32 v7, v8, v7
	s_or_b32 exec_lo, exec_lo, s73
	s_and_saveexec_b32 s73, s23
	s_cbranch_execnz .LBB216_92
.LBB216_60:                             ;   in Loop: Header=BB216_36 Depth=1
	s_or_b32 exec_lo, exec_lo, s73
	s_and_saveexec_b32 s73, s24
	s_cbranch_execz .LBB216_93
.LBB216_61:                             ;   in Loop: Header=BB216_36 Depth=1
	v_mov_b32_e32 v8, s65
	ds_load_b32 v8, v8
	s_wait_dscnt 0x0
	v_add_nc_u32_e32 v7, v8, v7
	s_or_b32 exec_lo, exec_lo, s73
	s_and_saveexec_b32 s73, s25
	s_cbranch_execnz .LBB216_94
.LBB216_62:                             ;   in Loop: Header=BB216_36 Depth=1
	s_or_b32 exec_lo, exec_lo, s73
	s_and_saveexec_b32 s73, s26
	s_cbranch_execz .LBB216_95
.LBB216_63:                             ;   in Loop: Header=BB216_36 Depth=1
	v_mov_b32_e32 v8, s67
	ds_load_b32 v8, v8
	s_wait_dscnt 0x0
	v_add_nc_u32_e32 v7, v8, v7
	s_or_b32 exec_lo, exec_lo, s73
	s_and_saveexec_b32 s73, s27
	s_cbranch_execnz .LBB216_96
.LBB216_64:                             ;   in Loop: Header=BB216_36 Depth=1
	s_or_b32 exec_lo, exec_lo, s73
	s_and_saveexec_b32 s73, s28
	s_cbranch_execz .LBB216_97
.LBB216_65:                             ;   in Loop: Header=BB216_36 Depth=1
	v_mov_b32_e32 v8, s69
	ds_load_b32 v8, v8
	s_wait_dscnt 0x0
	v_add_nc_u32_e32 v7, v8, v7
	s_or_b32 exec_lo, exec_lo, s73
	s_and_saveexec_b32 s73, s29
	s_cbranch_execnz .LBB216_98
.LBB216_66:                             ;   in Loop: Header=BB216_36 Depth=1
	s_or_b32 exec_lo, exec_lo, s73
	s_and_saveexec_b32 s73, s30
	s_cbranch_execz .LBB216_99
.LBB216_67:                             ;   in Loop: Header=BB216_36 Depth=1
	v_mov_b32_e32 v8, s71
	ds_load_b32 v8, v8
	s_wait_dscnt 0x0
	v_add_nc_u32_e32 v7, v8, v7
	s_or_b32 exec_lo, exec_lo, s73
	s_and_saveexec_b32 s73, s31
	s_cbranch_execnz .LBB216_100
.LBB216_68:                             ;   in Loop: Header=BB216_36 Depth=1
	s_or_b32 exec_lo, exec_lo, s73
	s_and_saveexec_b32 s31, vcc_lo
	s_cbranch_execz .LBB216_35
	s_branch .LBB216_101
.LBB216_69:                             ;   in Loop: Header=BB216_36 Depth=1
	s_or_b32 exec_lo, exec_lo, s73
	s_and_saveexec_b32 s73, s1
	s_cbranch_execz .LBB216_38
.LBB216_70:                             ;   in Loop: Header=BB216_36 Depth=1
	v_mov_b32_e32 v8, s38
	ds_load_b32 v8, v8
	s_wait_dscnt 0x0
	v_add_nc_u32_e32 v7, v8, v7
	s_or_b32 exec_lo, exec_lo, s73
	s_and_saveexec_b32 s73, s2
	s_cbranch_execnz .LBB216_39
.LBB216_71:                             ;   in Loop: Header=BB216_36 Depth=1
	s_or_b32 exec_lo, exec_lo, s73
	s_and_saveexec_b32 s73, s3
	s_cbranch_execz .LBB216_40
.LBB216_72:                             ;   in Loop: Header=BB216_36 Depth=1
	v_mov_b32_e32 v8, s40
	ds_load_b32 v8, v8
	s_wait_dscnt 0x0
	v_add_nc_u32_e32 v7, v8, v7
	s_or_b32 exec_lo, exec_lo, s73
	s_and_saveexec_b32 s73, s4
	s_cbranch_execnz .LBB216_41
.LBB216_73:                             ;   in Loop: Header=BB216_36 Depth=1
	s_or_b32 exec_lo, exec_lo, s73
	s_and_saveexec_b32 s73, s5
	s_cbranch_execz .LBB216_42
.LBB216_74:                             ;   in Loop: Header=BB216_36 Depth=1
	v_mov_b32_e32 v8, s44
	ds_load_b32 v8, v8
	s_wait_dscnt 0x0
	v_add_nc_u32_e32 v7, v8, v7
	s_or_b32 exec_lo, exec_lo, s73
	s_and_saveexec_b32 s73, s6
	s_cbranch_execnz .LBB216_43
.LBB216_75:                             ;   in Loop: Header=BB216_36 Depth=1
	s_or_b32 exec_lo, exec_lo, s73
	s_and_saveexec_b32 s73, s7
	s_cbranch_execz .LBB216_44
.LBB216_76:                             ;   in Loop: Header=BB216_36 Depth=1
	v_mov_b32_e32 v8, s47
	ds_load_b32 v8, v8
	s_wait_dscnt 0x0
	v_add_nc_u32_e32 v7, v8, v7
	s_or_b32 exec_lo, exec_lo, s73
	s_and_saveexec_b32 s73, s8
	s_cbranch_execnz .LBB216_45
.LBB216_77:                             ;   in Loop: Header=BB216_36 Depth=1
	s_or_b32 exec_lo, exec_lo, s73
	s_and_saveexec_b32 s73, s9
	s_cbranch_execz .LBB216_46
.LBB216_78:                             ;   in Loop: Header=BB216_36 Depth=1
	v_mov_b32_e32 v8, s50
	ds_load_b32 v8, v8
	s_wait_dscnt 0x0
	v_add_nc_u32_e32 v7, v8, v7
	s_or_b32 exec_lo, exec_lo, s73
	s_and_saveexec_b32 s73, s10
	s_cbranch_execnz .LBB216_47
.LBB216_79:                             ;   in Loop: Header=BB216_36 Depth=1
	s_or_b32 exec_lo, exec_lo, s73
	s_and_saveexec_b32 s73, s11
	s_cbranch_execz .LBB216_48
.LBB216_80:                             ;   in Loop: Header=BB216_36 Depth=1
	v_mov_b32_e32 v8, s52
	ds_load_b32 v8, v8
	s_wait_dscnt 0x0
	v_add_nc_u32_e32 v7, v8, v7
	s_or_b32 exec_lo, exec_lo, s73
	s_and_saveexec_b32 s73, s12
	s_cbranch_execnz .LBB216_49
.LBB216_81:                             ;   in Loop: Header=BB216_36 Depth=1
	s_or_b32 exec_lo, exec_lo, s73
	s_and_saveexec_b32 s73, s13
	s_cbranch_execz .LBB216_50
.LBB216_82:                             ;   in Loop: Header=BB216_36 Depth=1
	v_mov_b32_e32 v8, s54
	ds_load_b32 v8, v8
	s_wait_dscnt 0x0
	v_add_nc_u32_e32 v7, v8, v7
	s_or_b32 exec_lo, exec_lo, s73
	s_and_saveexec_b32 s73, s14
	s_cbranch_execnz .LBB216_51
.LBB216_83:                             ;   in Loop: Header=BB216_36 Depth=1
	s_or_b32 exec_lo, exec_lo, s73
	s_and_saveexec_b32 s73, s15
	s_cbranch_execz .LBB216_52
.LBB216_84:                             ;   in Loop: Header=BB216_36 Depth=1
	v_mov_b32_e32 v8, s56
	ds_load_b32 v8, v8
	s_wait_dscnt 0x0
	v_add_nc_u32_e32 v7, v8, v7
	s_or_b32 exec_lo, exec_lo, s73
	s_and_saveexec_b32 s73, s16
	s_cbranch_execnz .LBB216_53
.LBB216_85:                             ;   in Loop: Header=BB216_36 Depth=1
	s_or_b32 exec_lo, exec_lo, s73
	s_and_saveexec_b32 s73, s17
	s_cbranch_execz .LBB216_54
.LBB216_86:                             ;   in Loop: Header=BB216_36 Depth=1
	v_mov_b32_e32 v8, s58
	ds_load_b32 v8, v8
	s_wait_dscnt 0x0
	v_add_nc_u32_e32 v7, v8, v7
	s_or_b32 exec_lo, exec_lo, s73
	s_and_saveexec_b32 s73, s18
	s_cbranch_execnz .LBB216_55
.LBB216_87:                             ;   in Loop: Header=BB216_36 Depth=1
	s_or_b32 exec_lo, exec_lo, s73
	s_and_saveexec_b32 s73, s19
	s_cbranch_execz .LBB216_56
.LBB216_88:                             ;   in Loop: Header=BB216_36 Depth=1
	v_mov_b32_e32 v8, s60
	ds_load_b32 v8, v8
	s_wait_dscnt 0x0
	v_add_nc_u32_e32 v7, v8, v7
	s_or_b32 exec_lo, exec_lo, s73
	s_and_saveexec_b32 s73, s20
	s_cbranch_execnz .LBB216_57
.LBB216_89:                             ;   in Loop: Header=BB216_36 Depth=1
	s_or_b32 exec_lo, exec_lo, s73
	s_and_saveexec_b32 s73, s21
	s_cbranch_execz .LBB216_58
.LBB216_90:                             ;   in Loop: Header=BB216_36 Depth=1
	v_mov_b32_e32 v8, s62
	ds_load_b32 v8, v8
	s_wait_dscnt 0x0
	v_add_nc_u32_e32 v7, v8, v7
	s_or_b32 exec_lo, exec_lo, s73
	s_and_saveexec_b32 s73, s22
	s_cbranch_execnz .LBB216_59
.LBB216_91:                             ;   in Loop: Header=BB216_36 Depth=1
	s_or_b32 exec_lo, exec_lo, s73
	s_and_saveexec_b32 s73, s23
	s_cbranch_execz .LBB216_60
.LBB216_92:                             ;   in Loop: Header=BB216_36 Depth=1
	v_mov_b32_e32 v8, s64
	ds_load_b32 v8, v8
	s_wait_dscnt 0x0
	v_add_nc_u32_e32 v7, v8, v7
	s_or_b32 exec_lo, exec_lo, s73
	s_and_saveexec_b32 s73, s24
	s_cbranch_execnz .LBB216_61
.LBB216_93:                             ;   in Loop: Header=BB216_36 Depth=1
	s_or_b32 exec_lo, exec_lo, s73
	s_and_saveexec_b32 s73, s25
	s_cbranch_execz .LBB216_62
.LBB216_94:                             ;   in Loop: Header=BB216_36 Depth=1
	v_mov_b32_e32 v8, s66
	ds_load_b32 v8, v8
	s_wait_dscnt 0x0
	v_add_nc_u32_e32 v7, v8, v7
	s_or_b32 exec_lo, exec_lo, s73
	s_and_saveexec_b32 s73, s26
	s_cbranch_execnz .LBB216_63
.LBB216_95:                             ;   in Loop: Header=BB216_36 Depth=1
	s_or_b32 exec_lo, exec_lo, s73
	s_and_saveexec_b32 s73, s27
	s_cbranch_execz .LBB216_64
.LBB216_96:                             ;   in Loop: Header=BB216_36 Depth=1
	v_mov_b32_e32 v8, s68
	ds_load_b32 v8, v8
	s_wait_dscnt 0x0
	v_add_nc_u32_e32 v7, v8, v7
	s_or_b32 exec_lo, exec_lo, s73
	s_and_saveexec_b32 s73, s28
	s_cbranch_execnz .LBB216_65
.LBB216_97:                             ;   in Loop: Header=BB216_36 Depth=1
	s_or_b32 exec_lo, exec_lo, s73
	s_and_saveexec_b32 s73, s29
	s_cbranch_execz .LBB216_66
.LBB216_98:                             ;   in Loop: Header=BB216_36 Depth=1
	v_mov_b32_e32 v8, s70
	ds_load_b32 v8, v8
	s_wait_dscnt 0x0
	v_add_nc_u32_e32 v7, v8, v7
	s_or_b32 exec_lo, exec_lo, s73
	s_and_saveexec_b32 s73, s30
	s_cbranch_execnz .LBB216_67
.LBB216_99:                             ;   in Loop: Header=BB216_36 Depth=1
	s_or_b32 exec_lo, exec_lo, s73
	s_and_saveexec_b32 s73, s31
	s_cbranch_execz .LBB216_68
.LBB216_100:                            ;   in Loop: Header=BB216_36 Depth=1
	s_delay_alu instid0(VALU_DEP_1) | instskip(NEXT) | instid1(VALU_DEP_1)
	v_add3_u32 v8, v1, -1, v7
	v_lshlrev_b32_e32 v9, 3, v8
	v_lshl_add_u32 v8, v8, 2, 0
	s_delay_alu instid0(VALU_DEP_2)
	v_add3_u32 v9, 0, v9, 0x20000
	ds_store_b32 v8, v6
	ds_store_2addr_b32 v9, v4, v5 offset1:1
	s_or_b32 exec_lo, exec_lo, s73
	s_and_saveexec_b32 s31, vcc_lo
	s_cbranch_execz .LBB216_35
.LBB216_101:                            ;   in Loop: Header=BB216_36 Depth=1
	v_mov_b32_e32 v4, s72
	ds_store_b32 v4, v7
	s_branch .LBB216_35
.LBB216_102:                            ;   in Loop: Header=BB216_104 Depth=1
	s_or_b32 exec_lo, exec_lo, s5
.LBB216_103:                            ;   in Loop: Header=BB216_104 Depth=1
	s_delay_alu instid0(SALU_CYCLE_1)
	s_or_b32 exec_lo, exec_lo, s4
	s_wait_loadcnt 0x0
	v_mul_f32_e64 v6, v5, -s23
	v_lshlrev_b32_e32 v1, 3, v1
	v_mul_f32_e32 v5, s22, v5
	v_add_nc_u64_e32 v[2:3], 0x400, v[2:3]
	s_delay_alu instid0(VALU_DEP_4) | instskip(NEXT) | instid1(VALU_DEP_4)
	v_fmac_f32_e32 v6, s22, v4
	v_add3_u32 v1, 0, v1, 0x20000
	s_delay_alu instid0(VALU_DEP_4) | instskip(SKIP_4) | instid1(SALU_CYCLE_1)
	v_fmac_f32_e32 v5, s23, v4
	ds_add_f32 v1, v6
	ds_add_f32 v1, v5 offset:4
	v_cmp_le_i64_e32 vcc_lo, s[2:3], v[2:3]
	s_or_b32 s1, vcc_lo, s1
	s_and_not1_b32 exec_lo, exec_lo, s1
	s_cbranch_execz .LBB216_33
.LBB216_104:                            ; =>This Loop Header: Depth=1
                                        ;     Child Loop BB216_107 Depth 2
	v_lshl_add_u64 v[4:5], v[2:3], 2, s[38:39]
	s_mov_b32 s4, exec_lo
	global_load_b32 v1, v[4:5], off
	s_wait_xcnt 0x0
	v_lshl_add_u64 v[4:5], v[2:3], 3, s[40:41]
	global_load_b64 v[4:5], v[4:5], off
	s_wait_loadcnt 0x1
	v_subrev_nc_u32_e32 v6, s47, v1
	s_delay_alu instid0(VALU_DEP_1) | instskip(NEXT) | instid1(VALU_DEP_1)
	v_mul_lo_u32 v1, 0x89, v6
	v_and_b32_e32 v1, 0x7fff, v1
	s_delay_alu instid0(VALU_DEP_1)
	v_lshl_add_u32 v7, v1, 2, 0
	ds_load_b32 v8, v7
	s_wait_dscnt 0x0
	s_wait_xcnt 0x0
	v_cmpx_ne_u32_e64 v8, v6
	s_cbranch_execz .LBB216_103
; %bb.105:                              ;   in Loop: Header=BB216_104 Depth=1
	s_mov_b32 s5, 0
	s_branch .LBB216_107
.LBB216_106:                            ;   in Loop: Header=BB216_107 Depth=2
	s_or_b32 exec_lo, exec_lo, s8
	s_delay_alu instid0(SALU_CYCLE_1) | instskip(NEXT) | instid1(SALU_CYCLE_1)
	s_and_b32 s6, exec_lo, s7
	s_or_b32 s5, s6, s5
	s_delay_alu instid0(SALU_CYCLE_1)
	s_and_not1_b32 exec_lo, exec_lo, s5
	s_cbranch_execz .LBB216_102
.LBB216_107:                            ;   Parent Loop BB216_104 Depth=1
                                        ; =>  This Inner Loop Header: Depth=2
	s_mov_b32 s6, 0
	s_mov_b32 s7, exec_lo
	v_cmpx_ne_u32_e64 s33, v8
	s_xor_b32 s7, exec_lo, s7
	s_cbranch_execz .LBB216_109
; %bb.108:                              ;   in Loop: Header=BB216_107 Depth=2
	v_add_nc_u32_e32 v1, 1, v1
	s_mov_b32 s6, exec_lo
                                        ; implicit-def: $vgpr7
	s_delay_alu instid0(VALU_DEP_1)
	v_and_b32_e32 v1, 0x7fff, v1
	s_and_not1_saveexec_b32 s7, s7
	s_cbranch_execz .LBB216_111
	s_branch .LBB216_110
.LBB216_109:                            ;   in Loop: Header=BB216_107 Depth=2
	s_and_not1_saveexec_b32 s7, s7
	s_cbranch_execz .LBB216_111
.LBB216_110:                            ;   in Loop: Header=BB216_107 Depth=2
	v_mov_b32_e32 v8, s33
	s_and_not1_b32 s6, s6, exec_lo
	ds_cmpstore_rtn_b32 v7, v7, v6, v8
	s_wait_dscnt 0x0
	v_cmp_ne_u32_e32 vcc_lo, s33, v7
	s_and_b32 s8, vcc_lo, exec_lo
	s_delay_alu instid0(SALU_CYCLE_1)
	s_or_b32 s6, s6, s8
.LBB216_111:                            ;   in Loop: Header=BB216_107 Depth=2
	s_or_b32 exec_lo, exec_lo, s7
	s_mov_b32 s7, -1
                                        ; implicit-def: $vgpr7
                                        ; implicit-def: $vgpr8
	s_and_saveexec_b32 s8, s6
	s_cbranch_execz .LBB216_106
; %bb.112:                              ;   in Loop: Header=BB216_107 Depth=2
	v_lshl_add_u32 v7, v1, 2, 0
	ds_load_b32 v8, v7
	s_wait_dscnt 0x0
	v_cmp_eq_u32_e32 vcc_lo, v8, v6
	s_or_not1_b32 s7, vcc_lo, exec_lo
	s_branch .LBB216_106
.LBB216_113:
	s_or_b32 exec_lo, exec_lo, s36
	s_wait_kmcnt 0x0
	s_ashr_i32 s49, s48, 31
	s_delay_alu instid0(SALU_CYCLE_1) | instskip(NEXT) | instid1(SALU_CYCLE_1)
	s_lshl_b64 s[0:1], s[48:49], 3
	s_add_nc_u64 s[4:5], s[42:43], s[0:1]
	s_load_b128 s[0:3], s[4:5], 0x0
	s_wait_xcnt 0x0
	s_mov_b32 s4, exec_lo
	s_wait_kmcnt 0x0
	s_sub_co_i32 s3, s2, s0
	s_delay_alu instid0(SALU_CYCLE_1)
	v_cmpx_gt_i32_e64 s3, v0
	s_cbranch_execz .LBB216_123
; %bb.114:
	s_sub_co_i32 s4, s0, s2
	s_and_b32 s2, s3, 7
	s_cmp_lt_u32 s4, -7
	s_mov_b32 s47, 0
	s_cselect_b32 s4, -1, 0
	s_and_b32 s5, s3, -8
	s_cmp_lg_u32 s2, 0
	s_sub_nc_u64 s[0:1], s[0:1], s[46:47]
	s_cselect_b32 s6, -1, 0
	s_mov_b32 s7, 0
	s_branch .LBB216_116
.LBB216_115:                            ;   in Loop: Header=BB216_116 Depth=1
	v_add_nc_u32_e32 v0, 0x400, v0
	s_delay_alu instid0(VALU_DEP_2) | instskip(NEXT) | instid1(VALU_DEP_2)
	v_lshl_add_u64 v[4:5], v[4:5], 3, s[34:35]
	v_cmp_le_i32_e32 vcc_lo, s3, v0
	s_wait_dscnt 0x0
	global_store_b64 v[4:5], v[2:3], off
	s_or_b32 s7, vcc_lo, s7
	s_wait_xcnt 0x0
	s_and_not1_b32 exec_lo, exec_lo, s7
	s_cbranch_execz .LBB216_123
.LBB216_116:                            ; =>This Loop Header: Depth=1
                                        ;     Child Loop BB216_118 Depth 2
                                        ;     Child Loop BB216_122 Depth 2
	v_lshlrev_b32_e32 v1, 3, v0
	v_lshl_add_u32 v2, v0, 2, 0
	v_mov_b64_e32 v[4:5], s[0:1]
	s_and_not1_b32 vcc_lo, exec_lo, s4
	s_mov_b32 s8, 0
	v_add3_u32 v3, 0, v1, 0x20000
	ds_load_b32 v1, v2
	ds_load_2addr_b32 v[2:3], v3 offset1:1
	s_cbranch_vccnz .LBB216_120
; %bb.117:                              ;   in Loop: Header=BB216_116 Depth=1
	v_mov_b64_e32 v[4:5], s[0:1]
	s_mov_b32 s9, 0
.LBB216_118:                            ;   Parent Loop BB216_116 Depth=1
                                        ; =>  This Inner Loop Header: Depth=2
	s_delay_alu instid0(SALU_CYCLE_1)
	v_dual_mov_b32 v10, s9 :: v_dual_mov_b32 v11, s47
	v_mov_b32_e32 v17, s47
	s_add_co_i32 s8, s8, 8
	s_add_co_i32 s9, s9, 32
	ds_load_2addr_b32 v[6:7], v10 offset1:1
	ds_load_2addr_b32 v[8:9], v10 offset0:2 offset1:3
	ds_load_2addr_b32 v[12:13], v10 offset0:4 offset1:5
	;; [unrolled: 1-line block ×3, first 2 shown]
	s_cmp_eq_u32 s5, s8
	s_wait_dscnt 0x3
	v_cmp_gt_i32_e32 vcc_lo, v1, v6
	v_cndmask_b32_e64 v10, 0, 1, vcc_lo
	v_cmp_gt_i32_e32 vcc_lo, v1, v7
	v_mov_b32_e32 v7, s47
	s_delay_alu instid0(VALU_DEP_3) | instskip(SKIP_4) | instid1(VALU_DEP_3)
	v_add_nc_u64_e32 v[4:5], v[4:5], v[10:11]
	v_cndmask_b32_e64 v16, 0, 1, vcc_lo
	s_wait_dscnt 0x2
	v_cmp_gt_i32_e32 vcc_lo, v1, v8
	v_cndmask_b32_e64 v6, 0, 1, vcc_lo
	v_add_nc_u64_e32 v[4:5], v[4:5], v[16:17]
	v_cmp_gt_i32_e32 vcc_lo, v1, v9
	v_mov_b32_e32 v9, s47
	v_cndmask_b32_e64 v10, 0, 1, vcc_lo
	s_delay_alu instid0(VALU_DEP_4) | instskip(SKIP_3) | instid1(VALU_DEP_3)
	v_add_nc_u64_e32 v[4:5], v[4:5], v[6:7]
	s_wait_dscnt 0x1
	v_cmp_gt_i32_e32 vcc_lo, v1, v12
	v_cndmask_b32_e64 v6, 0, 1, vcc_lo
	v_add_nc_u64_e32 v[4:5], v[4:5], v[10:11]
	v_cmp_gt_i32_e32 vcc_lo, v1, v13
	v_cndmask_b32_e64 v8, 0, 1, vcc_lo
	s_delay_alu instid0(VALU_DEP_3) | instskip(SKIP_3) | instid1(VALU_DEP_3)
	v_add_nc_u64_e32 v[4:5], v[4:5], v[6:7]
	s_wait_dscnt 0x0
	v_cmp_gt_i32_e32 vcc_lo, v1, v14
	v_cndmask_b32_e64 v6, 0, 1, vcc_lo
	v_add_nc_u64_e32 v[4:5], v[4:5], v[8:9]
	v_cmp_gt_i32_e32 vcc_lo, v1, v15
	v_cndmask_b32_e64 v8, 0, 1, vcc_lo
	s_delay_alu instid0(VALU_DEP_3) | instskip(NEXT) | instid1(VALU_DEP_1)
	v_add_nc_u64_e32 v[4:5], v[4:5], v[6:7]
	v_add_nc_u64_e32 v[4:5], v[4:5], v[8:9]
	s_cbranch_scc0 .LBB216_118
; %bb.119:                              ;   in Loop: Header=BB216_116 Depth=1
	s_mov_b32 s8, s5
.LBB216_120:                            ;   in Loop: Header=BB216_116 Depth=1
	s_and_not1_b32 vcc_lo, exec_lo, s6
	s_cbranch_vccnz .LBB216_115
; %bb.121:                              ;   in Loop: Header=BB216_116 Depth=1
	s_lshl_b32 s8, s8, 2
	s_mov_b32 s9, s2
	s_add_co_i32 s8, s8, 0
.LBB216_122:                            ;   Parent Loop BB216_116 Depth=1
                                        ; =>  This Inner Loop Header: Depth=2
	s_delay_alu instid0(SALU_CYCLE_1)
	v_dual_mov_b32 v6, s8 :: v_dual_mov_b32 v7, s47
	s_add_co_i32 s9, s9, -1
	s_add_co_i32 s8, s8, 4
	s_cmp_lg_u32 s9, 0
	ds_load_b32 v6, v6
	s_wait_dscnt 0x0
	v_cmp_gt_i32_e32 vcc_lo, v1, v6
	v_cndmask_b32_e64 v6, 0, 1, vcc_lo
	s_delay_alu instid0(VALU_DEP_1)
	v_add_nc_u64_e32 v[4:5], v[4:5], v[6:7]
	s_cbranch_scc1 .LBB216_122
	s_branch .LBB216_115
.LBB216_123:
	s_endpgm
	.section	.rodata,"a",@progbits
	.p2align	6, 0x0
	.amdhsa_kernel _ZN9rocsparseL41csrgemm_numeric_fill_block_per_row_kernelILj1024ELj64ELj32768ELj137ELj32Eli21rocsparse_complex_numIfEEEvT5_PKS3_S5_NS_24const_host_device_scalarIT6_EEPKT4_S5_PKS7_SB_S5_SD_S8_SB_S5_SD_SB_S5_PS7_21rocsparse_index_base_SF_SF_SF_bbb
		.amdhsa_group_segment_fixed_size 0
		.amdhsa_private_segment_fixed_size 0
		.amdhsa_kernarg_size 156
		.amdhsa_user_sgpr_count 2
		.amdhsa_user_sgpr_dispatch_ptr 0
		.amdhsa_user_sgpr_queue_ptr 0
		.amdhsa_user_sgpr_kernarg_segment_ptr 1
		.amdhsa_user_sgpr_dispatch_id 0
		.amdhsa_user_sgpr_kernarg_preload_length 0
		.amdhsa_user_sgpr_kernarg_preload_offset 0
		.amdhsa_user_sgpr_private_segment_size 0
		.amdhsa_wavefront_size32 1
		.amdhsa_uses_dynamic_stack 0
		.amdhsa_enable_private_segment 0
		.amdhsa_system_sgpr_workgroup_id_x 1
		.amdhsa_system_sgpr_workgroup_id_y 0
		.amdhsa_system_sgpr_workgroup_id_z 0
		.amdhsa_system_sgpr_workgroup_info 0
		.amdhsa_system_vgpr_workitem_id 0
		.amdhsa_next_free_vgpr 20
		.amdhsa_next_free_sgpr 74
		.amdhsa_named_barrier_count 0
		.amdhsa_reserve_vcc 1
		.amdhsa_float_round_mode_32 0
		.amdhsa_float_round_mode_16_64 0
		.amdhsa_float_denorm_mode_32 3
		.amdhsa_float_denorm_mode_16_64 3
		.amdhsa_fp16_overflow 0
		.amdhsa_memory_ordered 1
		.amdhsa_forward_progress 1
		.amdhsa_inst_pref_size 37
		.amdhsa_round_robin_scheduling 0
		.amdhsa_exception_fp_ieee_invalid_op 0
		.amdhsa_exception_fp_denorm_src 0
		.amdhsa_exception_fp_ieee_div_zero 0
		.amdhsa_exception_fp_ieee_overflow 0
		.amdhsa_exception_fp_ieee_underflow 0
		.amdhsa_exception_fp_ieee_inexact 0
		.amdhsa_exception_int_div_zero 0
	.end_amdhsa_kernel
	.section	.text._ZN9rocsparseL41csrgemm_numeric_fill_block_per_row_kernelILj1024ELj64ELj32768ELj137ELj32Eli21rocsparse_complex_numIfEEEvT5_PKS3_S5_NS_24const_host_device_scalarIT6_EEPKT4_S5_PKS7_SB_S5_SD_S8_SB_S5_SD_SB_S5_PS7_21rocsparse_index_base_SF_SF_SF_bbb,"axG",@progbits,_ZN9rocsparseL41csrgemm_numeric_fill_block_per_row_kernelILj1024ELj64ELj32768ELj137ELj32Eli21rocsparse_complex_numIfEEEvT5_PKS3_S5_NS_24const_host_device_scalarIT6_EEPKT4_S5_PKS7_SB_S5_SD_S8_SB_S5_SD_SB_S5_PS7_21rocsparse_index_base_SF_SF_SF_bbb,comdat
.Lfunc_end216:
	.size	_ZN9rocsparseL41csrgemm_numeric_fill_block_per_row_kernelILj1024ELj64ELj32768ELj137ELj32Eli21rocsparse_complex_numIfEEEvT5_PKS3_S5_NS_24const_host_device_scalarIT6_EEPKT4_S5_PKS7_SB_S5_SD_S8_SB_S5_SD_SB_S5_PS7_21rocsparse_index_base_SF_SF_SF_bbb, .Lfunc_end216-_ZN9rocsparseL41csrgemm_numeric_fill_block_per_row_kernelILj1024ELj64ELj32768ELj137ELj32Eli21rocsparse_complex_numIfEEEvT5_PKS3_S5_NS_24const_host_device_scalarIT6_EEPKT4_S5_PKS7_SB_S5_SD_S8_SB_S5_SD_SB_S5_PS7_21rocsparse_index_base_SF_SF_SF_bbb
                                        ; -- End function
	.set _ZN9rocsparseL41csrgemm_numeric_fill_block_per_row_kernelILj1024ELj64ELj32768ELj137ELj32Eli21rocsparse_complex_numIfEEEvT5_PKS3_S5_NS_24const_host_device_scalarIT6_EEPKT4_S5_PKS7_SB_S5_SD_S8_SB_S5_SD_SB_S5_PS7_21rocsparse_index_base_SF_SF_SF_bbb.num_vgpr, 20
	.set _ZN9rocsparseL41csrgemm_numeric_fill_block_per_row_kernelILj1024ELj64ELj32768ELj137ELj32Eli21rocsparse_complex_numIfEEEvT5_PKS3_S5_NS_24const_host_device_scalarIT6_EEPKT4_S5_PKS7_SB_S5_SD_S8_SB_S5_SD_SB_S5_PS7_21rocsparse_index_base_SF_SF_SF_bbb.num_agpr, 0
	.set _ZN9rocsparseL41csrgemm_numeric_fill_block_per_row_kernelILj1024ELj64ELj32768ELj137ELj32Eli21rocsparse_complex_numIfEEEvT5_PKS3_S5_NS_24const_host_device_scalarIT6_EEPKT4_S5_PKS7_SB_S5_SD_S8_SB_S5_SD_SB_S5_PS7_21rocsparse_index_base_SF_SF_SF_bbb.numbered_sgpr, 74
	.set _ZN9rocsparseL41csrgemm_numeric_fill_block_per_row_kernelILj1024ELj64ELj32768ELj137ELj32Eli21rocsparse_complex_numIfEEEvT5_PKS3_S5_NS_24const_host_device_scalarIT6_EEPKT4_S5_PKS7_SB_S5_SD_S8_SB_S5_SD_SB_S5_PS7_21rocsparse_index_base_SF_SF_SF_bbb.num_named_barrier, 0
	.set _ZN9rocsparseL41csrgemm_numeric_fill_block_per_row_kernelILj1024ELj64ELj32768ELj137ELj32Eli21rocsparse_complex_numIfEEEvT5_PKS3_S5_NS_24const_host_device_scalarIT6_EEPKT4_S5_PKS7_SB_S5_SD_S8_SB_S5_SD_SB_S5_PS7_21rocsparse_index_base_SF_SF_SF_bbb.private_seg_size, 0
	.set _ZN9rocsparseL41csrgemm_numeric_fill_block_per_row_kernelILj1024ELj64ELj32768ELj137ELj32Eli21rocsparse_complex_numIfEEEvT5_PKS3_S5_NS_24const_host_device_scalarIT6_EEPKT4_S5_PKS7_SB_S5_SD_S8_SB_S5_SD_SB_S5_PS7_21rocsparse_index_base_SF_SF_SF_bbb.uses_vcc, 1
	.set _ZN9rocsparseL41csrgemm_numeric_fill_block_per_row_kernelILj1024ELj64ELj32768ELj137ELj32Eli21rocsparse_complex_numIfEEEvT5_PKS3_S5_NS_24const_host_device_scalarIT6_EEPKT4_S5_PKS7_SB_S5_SD_S8_SB_S5_SD_SB_S5_PS7_21rocsparse_index_base_SF_SF_SF_bbb.uses_flat_scratch, 0
	.set _ZN9rocsparseL41csrgemm_numeric_fill_block_per_row_kernelILj1024ELj64ELj32768ELj137ELj32Eli21rocsparse_complex_numIfEEEvT5_PKS3_S5_NS_24const_host_device_scalarIT6_EEPKT4_S5_PKS7_SB_S5_SD_S8_SB_S5_SD_SB_S5_PS7_21rocsparse_index_base_SF_SF_SF_bbb.has_dyn_sized_stack, 0
	.set _ZN9rocsparseL41csrgemm_numeric_fill_block_per_row_kernelILj1024ELj64ELj32768ELj137ELj32Eli21rocsparse_complex_numIfEEEvT5_PKS3_S5_NS_24const_host_device_scalarIT6_EEPKT4_S5_PKS7_SB_S5_SD_S8_SB_S5_SD_SB_S5_PS7_21rocsparse_index_base_SF_SF_SF_bbb.has_recursion, 0
	.set _ZN9rocsparseL41csrgemm_numeric_fill_block_per_row_kernelILj1024ELj64ELj32768ELj137ELj32Eli21rocsparse_complex_numIfEEEvT5_PKS3_S5_NS_24const_host_device_scalarIT6_EEPKT4_S5_PKS7_SB_S5_SD_S8_SB_S5_SD_SB_S5_PS7_21rocsparse_index_base_SF_SF_SF_bbb.has_indirect_call, 0
	.section	.AMDGPU.csdata,"",@progbits
; Kernel info:
; codeLenInByte = 4612
; TotalNumSgprs: 76
; NumVgprs: 20
; ScratchSize: 0
; MemoryBound: 0
; FloatMode: 240
; IeeeMode: 1
; LDSByteSize: 0 bytes/workgroup (compile time only)
; SGPRBlocks: 0
; VGPRBlocks: 1
; NumSGPRsForWavesPerEU: 76
; NumVGPRsForWavesPerEU: 20
; NamedBarCnt: 0
; Occupancy: 16
; WaveLimiterHint : 1
; COMPUTE_PGM_RSRC2:SCRATCH_EN: 0
; COMPUTE_PGM_RSRC2:USER_SGPR: 2
; COMPUTE_PGM_RSRC2:TRAP_HANDLER: 0
; COMPUTE_PGM_RSRC2:TGID_X_EN: 1
; COMPUTE_PGM_RSRC2:TGID_Y_EN: 0
; COMPUTE_PGM_RSRC2:TGID_Z_EN: 0
; COMPUTE_PGM_RSRC2:TIDIG_COMP_CNT: 0
	.section	.text._ZN9rocsparseL41csrgemm_numeric_fill_block_per_row_kernelILj1024ELj64ELj32768ELj137ELj64Eli21rocsparse_complex_numIfEEEvT5_PKS3_S5_NS_24const_host_device_scalarIT6_EEPKT4_S5_PKS7_SB_S5_SD_S8_SB_S5_SD_SB_S5_PS7_21rocsparse_index_base_SF_SF_SF_bbb,"axG",@progbits,_ZN9rocsparseL41csrgemm_numeric_fill_block_per_row_kernelILj1024ELj64ELj32768ELj137ELj64Eli21rocsparse_complex_numIfEEEvT5_PKS3_S5_NS_24const_host_device_scalarIT6_EEPKT4_S5_PKS7_SB_S5_SD_S8_SB_S5_SD_SB_S5_PS7_21rocsparse_index_base_SF_SF_SF_bbb,comdat
	.globl	_ZN9rocsparseL41csrgemm_numeric_fill_block_per_row_kernelILj1024ELj64ELj32768ELj137ELj64Eli21rocsparse_complex_numIfEEEvT5_PKS3_S5_NS_24const_host_device_scalarIT6_EEPKT4_S5_PKS7_SB_S5_SD_S8_SB_S5_SD_SB_S5_PS7_21rocsparse_index_base_SF_SF_SF_bbb ; -- Begin function _ZN9rocsparseL41csrgemm_numeric_fill_block_per_row_kernelILj1024ELj64ELj32768ELj137ELj64Eli21rocsparse_complex_numIfEEEvT5_PKS3_S5_NS_24const_host_device_scalarIT6_EEPKT4_S5_PKS7_SB_S5_SD_S8_SB_S5_SD_SB_S5_PS7_21rocsparse_index_base_SF_SF_SF_bbb
	.p2align	8
	.type	_ZN9rocsparseL41csrgemm_numeric_fill_block_per_row_kernelILj1024ELj64ELj32768ELj137ELj64Eli21rocsparse_complex_numIfEEEvT5_PKS3_S5_NS_24const_host_device_scalarIT6_EEPKT4_S5_PKS7_SB_S5_SD_S8_SB_S5_SD_SB_S5_PS7_21rocsparse_index_base_SF_SF_SF_bbb,@function
_ZN9rocsparseL41csrgemm_numeric_fill_block_per_row_kernelILj1024ELj64ELj32768ELj137ELj64Eli21rocsparse_complex_numIfEEEvT5_PKS3_S5_NS_24const_host_device_scalarIT6_EEPKT4_S5_PKS7_SB_S5_SD_S8_SB_S5_SD_SB_S5_PS7_21rocsparse_index_base_SF_SF_SF_bbb: ; @_ZN9rocsparseL41csrgemm_numeric_fill_block_per_row_kernelILj1024ELj64ELj32768ELj137ELj64Eli21rocsparse_complex_numIfEEEvT5_PKS3_S5_NS_24const_host_device_scalarIT6_EEPKT4_S5_PKS7_SB_S5_SD_S8_SB_S5_SD_SB_S5_PS7_21rocsparse_index_base_SF_SF_SF_bbb
; %bb.0:
	s_clause 0x3
	s_load_b32 s33, s[0:1], 0x98
	s_load_b128 s[20:23], s[0:1], 0x88
	s_load_b128 s[28:31], s[0:1], 0x8
	s_load_b64 s[36:37], s[0:1], 0x50
	s_mov_b32 s3, 0
	s_mov_b32 s40, 0
	s_wait_kmcnt 0x0
	s_bitcmp1_b32 s33, 0
	s_cselect_b32 s41, -1, 0
	s_bitcmp1_b32 s33, 16
	s_cselect_b32 s2, -1, 0
	s_delay_alu instid0(SALU_CYCLE_1) | instskip(SKIP_2) | instid1(VALU_DEP_1)
	s_xor_b32 s4, s2, -1
	s_bitcmp0_b32 s33, 0
	v_cndmask_b32_e64 v1, 0, 1, s4
	v_cmp_ne_u32_e32 vcc_lo, 1, v1
	s_cbranch_scc1 .LBB217_5
; %bb.1:
	s_load_b64 s[2:3], s[0:1], 0x18
	s_and_b32 vcc_lo, exec_lo, vcc_lo
	s_wait_kmcnt 0x0
	s_mov_b32 s40, s2
	s_cbranch_vccnz .LBB217_3
; %bb.2:
	s_load_b32 s40, s[2:3], 0x0
.LBB217_3:
	s_and_not1_b32 vcc_lo, exec_lo, s4
	s_cbranch_vccnz .LBB217_5
; %bb.4:
	s_wait_xcnt 0x0
	s_load_b32 s3, s[2:3], 0x4
.LBB217_5:
	s_clause 0x3
	s_load_b64 s[34:35], s[0:1], 0x80
	s_load_b256 s[12:19], s[0:1], 0x58
	s_load_b128 s[24:27], s[0:1], 0x40
	s_load_b256 s[4:11], s[0:1], 0x20
	s_bitcmp1_b32 s33, 8
	s_mov_b32 s38, 0
	s_wait_xcnt 0x0
	s_cselect_b32 s2, -1, 0
	s_bfe_u32 s33, s33, 0x10008
	s_mov_b32 s39, 0
	s_cmp_eq_u32 s33, 0
	s_cbranch_scc1 .LBB217_11
; %bb.6:
	v_cmp_ne_u32_e32 vcc_lo, 1, v1
	s_mov_b32 s38, s36
	s_cbranch_vccnz .LBB217_8
; %bb.7:
	s_load_b32 s38, s[36:37], 0x0
.LBB217_8:
	v_cmp_ne_u32_e32 vcc_lo, 1, v1
	s_cbranch_vccnz .LBB217_10
; %bb.9:
	s_wait_xcnt 0x0
	s_load_b32 s37, s[36:37], 0x4
.LBB217_10:
	s_wait_kmcnt 0x0
	s_mov_b32 s39, s37
.LBB217_11:
	s_load_b32 s33, s[0:1], 0x0
	v_lshl_add_u32 v14, v0, 2, 0
	v_lshlrev_b32_e32 v1, 3, v0
	v_or_b32_e32 v16, 0xfffffc00, v0
	s_wait_xcnt 0x0
	s_mov_b32 s0, 0
	v_mov_b32_e32 v2, v14
	v_add3_u32 v15, v1, 0, 0x20000
	v_dual_mov_b32 v1, 0 :: v_dual_mov_b32 v5, v16
	s_wait_kmcnt 0x0
	s_delay_alu instid0(VALU_DEP_2)
	v_dual_mov_b32 v3, v15 :: v_dual_mov_b32 v4, s33
.LBB217_12:                             ; =>This Inner Loop Header: Depth=1
	s_delay_alu instid0(VALU_DEP_2)
	v_add_nc_u32_e32 v5, 0x400, v5
	ds_store_b32 v2, v4
	ds_store_2addr_b32 v3, v1, v1 offset1:1
	v_add_nc_u32_e32 v3, 0x2000, v3
	v_add_nc_u32_e32 v2, 0x1000, v2
	v_cmp_lt_u32_e32 vcc_lo, 0x7bff, v5
	s_or_b32 s0, vcc_lo, s0
	s_delay_alu instid0(SALU_CYCLE_1)
	s_and_not1_b32 exec_lo, exec_lo, s0
	s_cbranch_execnz .LBB217_12
; %bb.13:
	s_or_b32 exec_lo, exec_lo, s0
	s_wait_dscnt 0x0
	s_barrier_signal -1
	s_barrier_wait -1
	s_load_b32 s0, s[28:29], 0x0
	s_bfe_u32 s1, ttmp6, 0x4000c
	s_wait_xcnt 0x0
	s_and_b32 s28, ttmp6, 15
	s_add_co_i32 s1, s1, 1
	s_getreg_b32 s29, hwreg(HW_REG_IB_STS2, 6, 4)
	s_mul_i32 s1, ttmp9, s1
	v_lshrrev_b32_e32 v2, 6, v0
	s_add_co_i32 s28, s28, s1
	s_cmp_eq_u32 s29, 0
	s_cselect_b32 s1, ttmp9, s28
	s_and_b32 vcc_lo, exec_lo, s41
	s_wait_kmcnt 0x0
	s_add_co_i32 s0, s0, s1
	s_mov_b32 s1, 0
	s_load_b32 s28, s[30:31], s0 offset:0x0 scale_offset
	s_cbranch_vccz .LBB217_31
; %bb.14:
	s_wait_kmcnt 0x0
	s_ashr_i32 s29, s28, 31
	v_mov_b32_e32 v3, 0
	s_lshl_b64 s[30:31], s[28:29], 3
	s_mov_b32 s0, s20
	s_add_nc_u64 s[4:5], s[4:5], s[30:31]
	s_mov_b32 s29, exec_lo
	s_load_b128 s[44:47], s[4:5], 0x0
	v_sub_nc_u64_e64 v[4:5], v[2:3], s[0:1]
	s_wait_kmcnt 0x0
	s_delay_alu instid0(VALU_DEP_1)
	v_add_nc_u64_e32 v[4:5], s[44:45], v[4:5]
	s_sub_nc_u64 s[0:1], s[46:47], s[0:1]
	s_delay_alu instid0(VALU_DEP_1) | instid1(SALU_CYCLE_1)
	v_cmpx_gt_i64_e64 s[0:1], v[4:5]
	s_cbranch_execz .LBB217_30
; %bb.15:
	v_dual_mov_b32 v7, v3 :: v_dual_bitop2_b32 v6, 63, v0 bitop3:0x40
	s_mov_b32 s5, 0
	s_mov_b32 s4, s21
	;; [unrolled: 1-line block ×3, first 2 shown]
	s_delay_alu instid0(VALU_DEP_1)
	v_sub_nc_u64_e64 v[6:7], v[6:7], s[4:5]
	s_branch .LBB217_17
.LBB217_16:                             ;   in Loop: Header=BB217_17 Depth=1
	s_or_b32 exec_lo, exec_lo, s31
	v_add_nc_u64_e32 v[4:5], 16, v[4:5]
	s_delay_alu instid0(VALU_DEP_1) | instskip(SKIP_1) | instid1(SALU_CYCLE_1)
	v_cmp_le_i64_e32 vcc_lo, s[0:1], v[4:5]
	s_or_b32 s30, vcc_lo, s30
	s_and_not1_b32 exec_lo, exec_lo, s30
	s_cbranch_execz .LBB217_30
.LBB217_17:                             ; =>This Loop Header: Depth=1
                                        ;     Child Loop BB217_21 Depth 2
                                        ;       Child Loop BB217_24 Depth 3
	v_lshl_add_u64 v[8:9], v[4:5], 2, s[6:7]
	s_mov_b32 s31, exec_lo
	global_load_b32 v1, v[8:9], off
	s_wait_loadcnt 0x0
	s_wait_xcnt 0x0
	v_subrev_nc_u32_e32 v8, s20, v1
	s_delay_alu instid0(VALU_DEP_1) | instskip(NEXT) | instid1(VALU_DEP_1)
	v_ashrrev_i32_e32 v9, 31, v8
	v_lshl_add_u64 v[8:9], v[8:9], 3, s[10:11]
	global_load_b128 v[10:13], v[8:9], off
	s_wait_loadcnt 0x0
	s_wait_xcnt 0x0
	v_sub_nc_u64_e64 v[8:9], v[12:13], s[4:5]
	v_add_nc_u64_e32 v[10:11], v[10:11], v[6:7]
	s_delay_alu instid0(VALU_DEP_1)
	v_cmpx_lt_i64_e64 v[10:11], v[8:9]
	s_cbranch_execz .LBB217_16
; %bb.18:                               ;   in Loop: Header=BB217_17 Depth=1
	v_lshl_add_u64 v[12:13], v[4:5], 3, s[8:9]
	s_mov_b32 s36, 0
	global_load_b64 v[12:13], v[12:13], off
	s_wait_loadcnt 0x0
	v_mul_f32_e64 v1, v13, -s3
	s_delay_alu instid0(VALU_DEP_1) | instskip(NEXT) | instid1(VALU_DEP_1)
	v_dual_mul_f32 v3, s40, v13 :: v_dual_fmac_f32 v1, s40, v12
	v_fmac_f32_e32 v3, s3, v12
	s_branch .LBB217_21
.LBB217_19:                             ;   in Loop: Header=BB217_21 Depth=2
	s_or_b32 exec_lo, exec_lo, s41
.LBB217_20:                             ;   in Loop: Header=BB217_21 Depth=2
	s_delay_alu instid0(SALU_CYCLE_1) | instskip(SKIP_4) | instid1(VALU_DEP_3)
	s_or_b32 exec_lo, exec_lo, s37
	s_wait_loadcnt 0x0
	v_dual_mul_f32 v18, v13, -v3 :: v_dual_lshlrev_b32 v17, 3, v17
	v_mul_f32_e32 v13, v1, v13
	v_add_nc_u64_e32 v[10:11], 64, v[10:11]
	v_fmac_f32_e32 v18, v1, v12
	s_delay_alu instid0(VALU_DEP_4) | instskip(NEXT) | instid1(VALU_DEP_4)
	v_add3_u32 v17, 0, v17, 0x20000
	v_fmac_f32_e32 v13, v3, v12
	ds_add_f32 v17, v18
	ds_add_f32 v17, v13 offset:4
	v_cmp_ge_i64_e32 vcc_lo, v[10:11], v[8:9]
	s_or_b32 s36, vcc_lo, s36
	s_delay_alu instid0(SALU_CYCLE_1)
	s_and_not1_b32 exec_lo, exec_lo, s36
	s_cbranch_execz .LBB217_16
.LBB217_21:                             ;   Parent Loop BB217_17 Depth=1
                                        ; =>  This Loop Header: Depth=2
                                        ;       Child Loop BB217_24 Depth 3
	s_wait_xcnt 0x0
	v_lshl_add_u64 v[12:13], v[10:11], 2, s[24:25]
	s_mov_b32 s37, exec_lo
	global_load_b32 v17, v[12:13], off
	s_wait_xcnt 0x0
	v_lshl_add_u64 v[12:13], v[10:11], 3, s[26:27]
	global_load_b64 v[12:13], v[12:13], off
	s_wait_loadcnt 0x1
	v_subrev_nc_u32_e32 v18, s21, v17
	s_delay_alu instid0(VALU_DEP_1) | instskip(NEXT) | instid1(VALU_DEP_1)
	v_mul_lo_u32 v17, 0x89, v18
	v_and_b32_e32 v17, 0x7fff, v17
	s_delay_alu instid0(VALU_DEP_1)
	v_lshl_add_u32 v19, v17, 2, 0
	ds_load_b32 v20, v19
	s_wait_dscnt 0x0
	s_wait_xcnt 0x0
	v_cmpx_ne_u32_e64 v20, v18
	s_cbranch_execz .LBB217_20
; %bb.22:                               ;   in Loop: Header=BB217_21 Depth=2
	s_mov_b32 s41, 0
	s_branch .LBB217_24
.LBB217_23:                             ;   in Loop: Header=BB217_24 Depth=3
	s_or_b32 exec_lo, exec_lo, s44
	s_delay_alu instid0(SALU_CYCLE_1) | instskip(NEXT) | instid1(SALU_CYCLE_1)
	s_and_b32 s42, exec_lo, s43
	s_or_b32 s41, s42, s41
	s_delay_alu instid0(SALU_CYCLE_1)
	s_and_not1_b32 exec_lo, exec_lo, s41
	s_cbranch_execz .LBB217_19
.LBB217_24:                             ;   Parent Loop BB217_17 Depth=1
                                        ;     Parent Loop BB217_21 Depth=2
                                        ; =>    This Inner Loop Header: Depth=3
	s_mov_b32 s42, 0
	s_mov_b32 s43, exec_lo
	v_cmpx_ne_u32_e64 s33, v20
	s_xor_b32 s43, exec_lo, s43
	s_cbranch_execz .LBB217_26
; %bb.25:                               ;   in Loop: Header=BB217_24 Depth=3
	v_add_nc_u32_e32 v17, 1, v17
	s_mov_b32 s42, exec_lo
                                        ; implicit-def: $vgpr19
	s_delay_alu instid0(VALU_DEP_1)
	v_and_b32_e32 v17, 0x7fff, v17
	s_and_not1_saveexec_b32 s43, s43
	s_cbranch_execz .LBB217_28
	s_branch .LBB217_27
.LBB217_26:                             ;   in Loop: Header=BB217_24 Depth=3
	s_and_not1_saveexec_b32 s43, s43
	s_cbranch_execz .LBB217_28
.LBB217_27:                             ;   in Loop: Header=BB217_24 Depth=3
	v_mov_b32_e32 v20, s33
	s_and_not1_b32 s42, s42, exec_lo
	ds_cmpstore_rtn_b32 v19, v19, v18, v20
	s_wait_dscnt 0x0
	v_cmp_ne_u32_e32 vcc_lo, s33, v19
	s_and_b32 s44, vcc_lo, exec_lo
	s_delay_alu instid0(SALU_CYCLE_1)
	s_or_b32 s42, s42, s44
.LBB217_28:                             ;   in Loop: Header=BB217_24 Depth=3
	s_or_b32 exec_lo, exec_lo, s43
	s_mov_b32 s43, -1
                                        ; implicit-def: $vgpr19
                                        ; implicit-def: $vgpr20
	s_and_saveexec_b32 s44, s42
	s_cbranch_execz .LBB217_23
; %bb.29:                               ;   in Loop: Header=BB217_24 Depth=3
	v_lshl_add_u32 v19, v17, 2, 0
	ds_load_b32 v20, v19
	s_wait_dscnt 0x0
	v_cmp_eq_u32_e32 vcc_lo, v20, v18
	s_or_not1_b32 s43, vcc_lo, exec_lo
	s_branch .LBB217_23
.LBB217_30:
	s_or_b32 exec_lo, exec_lo, s29
.LBB217_31:
	s_delay_alu instid0(SALU_CYCLE_1)
	s_and_not1_b32 vcc_lo, exec_lo, s2
	s_cbranch_vccnz .LBB217_34
; %bb.32:
	s_wait_kmcnt 0x0
	s_ashr_i32 s29, s28, 31
	v_mov_b32_e32 v1, 0
	s_lshl_b64 s[0:1], s[28:29], 3
	s_delay_alu instid0(SALU_CYCLE_1) | instskip(SKIP_4) | instid1(SALU_CYCLE_1)
	s_add_nc_u64 s[0:1], s[12:13], s[0:1]
	s_load_b128 s[4:7], s[0:1], 0x0
	s_wait_xcnt 0x0
	s_mov_b32 s1, 0
	s_mov_b32 s0, s23
	v_sub_nc_u64_e64 v[4:5], v[0:1], s[0:1]
	s_wait_kmcnt 0x0
	s_delay_alu instid0(VALU_DEP_1) | instskip(SKIP_2) | instid1(VALU_DEP_1)
	v_add_nc_u64_e32 v[4:5], s[4:5], v[4:5]
	s_sub_nc_u64 s[2:3], s[6:7], s[0:1]
	s_mov_b32 s0, exec_lo
	v_cmpx_gt_i64_e64 s[2:3], v[4:5]
	s_cbranch_execnz .LBB217_72
.LBB217_33:
	s_or_b32 exec_lo, exec_lo, s0
.LBB217_34:
	v_mbcnt_lo_u32_b32 v1, -1, 0
	v_lshlrev_b32_e32 v2, 2, v2
	s_add_co_i32 s36, 0, 0x6003c
	s_wait_xcnt 0x0
	v_cmp_lt_u32_e64 s0, 63, v0
	v_cmp_lt_u32_e64 s1, 0x7f, v0
	v_dual_mov_b32 v1, 0 :: v_dual_bitop2_b32 v4, 31, v1 bitop3:0x14
	v_mov_b32_e32 v6, s36
	v_add3_u32 v3, 0x60000, 0, v2
	v_cmp_lt_u32_e64 s2, 0xbf, v0
	s_delay_alu instid0(VALU_DEP_4)
	v_lshrrev_b32_e64 v2, v4, -1
	v_cmp_lt_u32_e64 s3, 0xff, v0
	v_cmp_lt_u32_e64 s4, 0x13f, v0
	v_cmp_lt_u32_e64 s5, 0x17f, v0
	v_cmp_lt_u32_e64 s6, 0x1bf, v0
	v_cmp_lt_u32_e64 s7, 0x1ff, v0
	v_cmp_lt_u32_e64 s8, 0x23f, v0
	v_cmp_lt_u32_e64 s9, 0x27f, v0
	v_cmp_lt_u32_e64 s10, 0x2bf, v0
	v_cmp_lt_u32_e64 s11, 0x2ff, v0
	v_cmp_lt_u32_e64 s12, 0x33f, v0
	v_cmp_lt_u32_e64 s13, 0x37f, v0
	v_cmp_lt_u32_e64 s14, 0x3bf, v0
	s_mov_b32 s16, 0
	s_add_co_i32 s17, 0, 0x60000
	s_add_co_i32 s20, 0, 0x60004
	s_add_co_i32 s21, 0, 0x60008
	s_add_co_i32 s23, 0, 0x6000c
	s_add_co_i32 s24, 0, 0x60010
	s_add_co_i32 s25, 0, 0x60014
	s_add_co_i32 s26, 0, 0x60018
	s_add_co_i32 s27, 0, 0x6001c
	s_add_co_i32 s29, 0, 0x60020
	s_add_co_i32 s30, 0, 0x60024
	s_add_co_i32 s31, 0, 0x60028
	s_add_co_i32 s37, 0, 0x6002c
	s_add_co_i32 s38, 0, 0x60030
	s_add_co_i32 s39, 0, 0x60034
	s_add_co_i32 s40, 0, 0x60038
	s_wait_dscnt 0x0
	s_barrier_signal -1
	s_barrier_wait -1
	v_cmp_eq_u32_e32 vcc_lo, 0x3ff, v0
	s_branch .LBB217_36
.LBB217_35:                             ;   in Loop: Header=BB217_36 Depth=1
	s_or_b32 exec_lo, exec_lo, s15
	s_wait_dscnt 0x0
	s_barrier_signal -1
	s_barrier_wait -1
	ds_load_b32 v4, v6
	v_add_nc_u32_e32 v16, 0x400, v16
	v_add_nc_u32_e32 v15, 0x2000, v15
	;; [unrolled: 1-line block ×3, first 2 shown]
	s_delay_alu instid0(VALU_DEP_3)
	v_cmp_lt_u32_e64 s15, 0x7bff, v16
	s_or_b32 s16, s15, s16
	s_wait_dscnt 0x0
	v_add_nc_u32_e32 v1, v4, v1
	s_and_not1_b32 exec_lo, exec_lo, s16
	s_cbranch_execz .LBB217_81
.LBB217_36:                             ; =>This Inner Loop Header: Depth=1
	ds_load_b32 v7, v14
	ds_load_2addr_b32 v[4:5], v15 offset1:1
	s_wait_dscnt 0x0
	s_barrier_signal -1
	s_barrier_wait -1
	v_cmp_gt_i32_e64 s15, s33, v7
	s_bcnt1_i32_b32 s41, s15
	s_delay_alu instid0(SALU_CYCLE_1) | instskip(NEXT) | instid1(VALU_DEP_1)
	v_dual_mov_b32 v9, s41 :: v_dual_bitop2_b32 v8, s15, v2 bitop3:0x40
	v_bcnt_u32_b32 v8, v8, 0
	ds_store_b32 v3, v9
	s_wait_dscnt 0x0
	s_barrier_signal -1
	s_barrier_wait -1
	s_and_saveexec_b32 s41, s0
	s_cbranch_execz .LBB217_53
; %bb.37:                               ;   in Loop: Header=BB217_36 Depth=1
	v_mov_b32_e32 v9, s17
	ds_load_b32 v9, v9
	s_wait_dscnt 0x0
	v_add_nc_u32_e32 v8, v9, v8
	s_or_b32 exec_lo, exec_lo, s41
	s_and_saveexec_b32 s41, s1
	s_cbranch_execnz .LBB217_54
.LBB217_38:                             ;   in Loop: Header=BB217_36 Depth=1
	s_or_b32 exec_lo, exec_lo, s41
	s_and_saveexec_b32 s41, s2
	s_cbranch_execz .LBB217_55
.LBB217_39:                             ;   in Loop: Header=BB217_36 Depth=1
	v_mov_b32_e32 v9, s21
	ds_load_b32 v9, v9
	s_wait_dscnt 0x0
	v_add_nc_u32_e32 v8, v9, v8
	s_or_b32 exec_lo, exec_lo, s41
	s_and_saveexec_b32 s41, s3
	s_cbranch_execnz .LBB217_56
.LBB217_40:                             ;   in Loop: Header=BB217_36 Depth=1
	s_or_b32 exec_lo, exec_lo, s41
	s_and_saveexec_b32 s41, s4
	s_cbranch_execz .LBB217_57
.LBB217_41:                             ;   in Loop: Header=BB217_36 Depth=1
	v_mov_b32_e32 v9, s24
	ds_load_b32 v9, v9
	s_wait_dscnt 0x0
	v_add_nc_u32_e32 v8, v9, v8
	s_or_b32 exec_lo, exec_lo, s41
	s_and_saveexec_b32 s41, s5
	s_cbranch_execnz .LBB217_58
.LBB217_42:                             ;   in Loop: Header=BB217_36 Depth=1
	s_or_b32 exec_lo, exec_lo, s41
	s_and_saveexec_b32 s41, s6
	s_cbranch_execz .LBB217_59
.LBB217_43:                             ;   in Loop: Header=BB217_36 Depth=1
	v_mov_b32_e32 v9, s26
	ds_load_b32 v9, v9
	s_wait_dscnt 0x0
	v_add_nc_u32_e32 v8, v9, v8
	s_or_b32 exec_lo, exec_lo, s41
	s_and_saveexec_b32 s41, s7
	s_cbranch_execnz .LBB217_60
.LBB217_44:                             ;   in Loop: Header=BB217_36 Depth=1
	s_or_b32 exec_lo, exec_lo, s41
	s_and_saveexec_b32 s41, s8
	s_cbranch_execz .LBB217_61
.LBB217_45:                             ;   in Loop: Header=BB217_36 Depth=1
	v_mov_b32_e32 v9, s29
	ds_load_b32 v9, v9
	s_wait_dscnt 0x0
	v_add_nc_u32_e32 v8, v9, v8
	s_or_b32 exec_lo, exec_lo, s41
	s_and_saveexec_b32 s41, s9
	s_cbranch_execnz .LBB217_62
.LBB217_46:                             ;   in Loop: Header=BB217_36 Depth=1
	s_or_b32 exec_lo, exec_lo, s41
	s_and_saveexec_b32 s41, s10
	s_cbranch_execz .LBB217_63
.LBB217_47:                             ;   in Loop: Header=BB217_36 Depth=1
	v_mov_b32_e32 v9, s31
	ds_load_b32 v9, v9
	s_wait_dscnt 0x0
	v_add_nc_u32_e32 v8, v9, v8
	s_or_b32 exec_lo, exec_lo, s41
	s_and_saveexec_b32 s41, s11
	s_cbranch_execnz .LBB217_64
.LBB217_48:                             ;   in Loop: Header=BB217_36 Depth=1
	s_or_b32 exec_lo, exec_lo, s41
	s_and_saveexec_b32 s41, s12
	s_cbranch_execz .LBB217_65
.LBB217_49:                             ;   in Loop: Header=BB217_36 Depth=1
	v_mov_b32_e32 v9, s38
	ds_load_b32 v9, v9
	s_wait_dscnt 0x0
	v_add_nc_u32_e32 v8, v9, v8
	s_or_b32 exec_lo, exec_lo, s41
	s_and_saveexec_b32 s41, s13
	s_cbranch_execnz .LBB217_66
.LBB217_50:                             ;   in Loop: Header=BB217_36 Depth=1
	s_or_b32 exec_lo, exec_lo, s41
	s_and_saveexec_b32 s41, s14
	s_cbranch_execz .LBB217_67
.LBB217_51:                             ;   in Loop: Header=BB217_36 Depth=1
	v_mov_b32_e32 v9, s40
	ds_load_b32 v9, v9
	s_wait_dscnt 0x0
	v_add_nc_u32_e32 v8, v9, v8
	s_or_b32 exec_lo, exec_lo, s41
	s_and_saveexec_b32 s41, s15
	s_cbranch_execnz .LBB217_68
.LBB217_52:                             ;   in Loop: Header=BB217_36 Depth=1
	s_or_b32 exec_lo, exec_lo, s41
	s_and_saveexec_b32 s15, vcc_lo
	s_cbranch_execz .LBB217_35
	s_branch .LBB217_69
.LBB217_53:                             ;   in Loop: Header=BB217_36 Depth=1
	s_or_b32 exec_lo, exec_lo, s41
	s_and_saveexec_b32 s41, s1
	s_cbranch_execz .LBB217_38
.LBB217_54:                             ;   in Loop: Header=BB217_36 Depth=1
	v_mov_b32_e32 v9, s20
	ds_load_b32 v9, v9
	s_wait_dscnt 0x0
	v_add_nc_u32_e32 v8, v9, v8
	s_or_b32 exec_lo, exec_lo, s41
	s_and_saveexec_b32 s41, s2
	s_cbranch_execnz .LBB217_39
.LBB217_55:                             ;   in Loop: Header=BB217_36 Depth=1
	s_or_b32 exec_lo, exec_lo, s41
	s_and_saveexec_b32 s41, s3
	s_cbranch_execz .LBB217_40
.LBB217_56:                             ;   in Loop: Header=BB217_36 Depth=1
	v_mov_b32_e32 v9, s23
	ds_load_b32 v9, v9
	s_wait_dscnt 0x0
	v_add_nc_u32_e32 v8, v9, v8
	s_or_b32 exec_lo, exec_lo, s41
	s_and_saveexec_b32 s41, s4
	s_cbranch_execnz .LBB217_41
.LBB217_57:                             ;   in Loop: Header=BB217_36 Depth=1
	s_or_b32 exec_lo, exec_lo, s41
	s_and_saveexec_b32 s41, s5
	s_cbranch_execz .LBB217_42
.LBB217_58:                             ;   in Loop: Header=BB217_36 Depth=1
	v_mov_b32_e32 v9, s25
	ds_load_b32 v9, v9
	s_wait_dscnt 0x0
	v_add_nc_u32_e32 v8, v9, v8
	s_or_b32 exec_lo, exec_lo, s41
	s_and_saveexec_b32 s41, s6
	s_cbranch_execnz .LBB217_43
.LBB217_59:                             ;   in Loop: Header=BB217_36 Depth=1
	s_or_b32 exec_lo, exec_lo, s41
	s_and_saveexec_b32 s41, s7
	s_cbranch_execz .LBB217_44
.LBB217_60:                             ;   in Loop: Header=BB217_36 Depth=1
	v_mov_b32_e32 v9, s27
	ds_load_b32 v9, v9
	s_wait_dscnt 0x0
	v_add_nc_u32_e32 v8, v9, v8
	s_or_b32 exec_lo, exec_lo, s41
	s_and_saveexec_b32 s41, s8
	s_cbranch_execnz .LBB217_45
.LBB217_61:                             ;   in Loop: Header=BB217_36 Depth=1
	s_or_b32 exec_lo, exec_lo, s41
	s_and_saveexec_b32 s41, s9
	s_cbranch_execz .LBB217_46
.LBB217_62:                             ;   in Loop: Header=BB217_36 Depth=1
	v_mov_b32_e32 v9, s30
	ds_load_b32 v9, v9
	s_wait_dscnt 0x0
	v_add_nc_u32_e32 v8, v9, v8
	s_or_b32 exec_lo, exec_lo, s41
	s_and_saveexec_b32 s41, s10
	s_cbranch_execnz .LBB217_47
.LBB217_63:                             ;   in Loop: Header=BB217_36 Depth=1
	s_or_b32 exec_lo, exec_lo, s41
	s_and_saveexec_b32 s41, s11
	s_cbranch_execz .LBB217_48
.LBB217_64:                             ;   in Loop: Header=BB217_36 Depth=1
	v_mov_b32_e32 v9, s37
	ds_load_b32 v9, v9
	s_wait_dscnt 0x0
	v_add_nc_u32_e32 v8, v9, v8
	s_or_b32 exec_lo, exec_lo, s41
	s_and_saveexec_b32 s41, s12
	s_cbranch_execnz .LBB217_49
.LBB217_65:                             ;   in Loop: Header=BB217_36 Depth=1
	s_or_b32 exec_lo, exec_lo, s41
	s_and_saveexec_b32 s41, s13
	s_cbranch_execz .LBB217_50
.LBB217_66:                             ;   in Loop: Header=BB217_36 Depth=1
	v_mov_b32_e32 v9, s39
	ds_load_b32 v9, v9
	s_wait_dscnt 0x0
	v_add_nc_u32_e32 v8, v9, v8
	s_or_b32 exec_lo, exec_lo, s41
	s_and_saveexec_b32 s41, s14
	s_cbranch_execnz .LBB217_51
.LBB217_67:                             ;   in Loop: Header=BB217_36 Depth=1
	s_or_b32 exec_lo, exec_lo, s41
	s_and_saveexec_b32 s41, s15
	s_cbranch_execz .LBB217_52
.LBB217_68:                             ;   in Loop: Header=BB217_36 Depth=1
	s_delay_alu instid0(VALU_DEP_1) | instskip(NEXT) | instid1(VALU_DEP_1)
	v_add3_u32 v9, v1, -1, v8
	v_lshlrev_b32_e32 v10, 3, v9
	v_lshl_add_u32 v9, v9, 2, 0
	s_delay_alu instid0(VALU_DEP_2)
	v_add3_u32 v10, 0, v10, 0x20000
	ds_store_b32 v9, v7
	ds_store_2addr_b32 v10, v4, v5 offset1:1
	s_or_b32 exec_lo, exec_lo, s41
	s_and_saveexec_b32 s15, vcc_lo
	s_cbranch_execz .LBB217_35
.LBB217_69:                             ;   in Loop: Header=BB217_36 Depth=1
	v_mov_b32_e32 v4, s36
	ds_store_b32 v4, v8
	s_branch .LBB217_35
.LBB217_70:                             ;   in Loop: Header=BB217_72 Depth=1
	s_or_b32 exec_lo, exec_lo, s5
.LBB217_71:                             ;   in Loop: Header=BB217_72 Depth=1
	s_delay_alu instid0(SALU_CYCLE_1) | instskip(SKIP_4) | instid1(VALU_DEP_3)
	s_or_b32 exec_lo, exec_lo, s4
	s_wait_loadcnt 0x0
	v_mul_f32_e64 v3, v7, -s39
	v_dual_lshlrev_b32 v1, 3, v1 :: v_dual_mul_f32 v7, s38, v7
	v_add_nc_u64_e32 v[4:5], 0x400, v[4:5]
	v_fmac_f32_e32 v3, s38, v6
	s_delay_alu instid0(VALU_DEP_3) | instskip(NEXT) | instid1(VALU_DEP_4)
	v_add3_u32 v1, 0, v1, 0x20000
	v_fmac_f32_e32 v7, s39, v6
	ds_add_f32 v1, v3
	ds_add_f32 v1, v7 offset:4
	v_cmp_le_i64_e32 vcc_lo, s[2:3], v[4:5]
	s_or_b32 s1, vcc_lo, s1
	s_delay_alu instid0(SALU_CYCLE_1)
	s_and_not1_b32 exec_lo, exec_lo, s1
	s_cbranch_execz .LBB217_33
.LBB217_72:                             ; =>This Loop Header: Depth=1
                                        ;     Child Loop BB217_75 Depth 2
	v_lshl_add_u64 v[6:7], v[4:5], 2, s[14:15]
	s_mov_b32 s4, exec_lo
	global_load_b32 v1, v[6:7], off
	s_wait_xcnt 0x0
	v_lshl_add_u64 v[6:7], v[4:5], 3, s[16:17]
	global_load_b64 v[6:7], v[6:7], off
	s_wait_loadcnt 0x1
	v_subrev_nc_u32_e32 v3, s23, v1
	s_delay_alu instid0(VALU_DEP_1) | instskip(NEXT) | instid1(VALU_DEP_1)
	v_mul_lo_u32 v1, 0x89, v3
	v_and_b32_e32 v1, 0x7fff, v1
	s_delay_alu instid0(VALU_DEP_1)
	v_lshl_add_u32 v8, v1, 2, 0
	ds_load_b32 v9, v8
	s_wait_dscnt 0x0
	s_wait_xcnt 0x0
	v_cmpx_ne_u32_e64 v9, v3
	s_cbranch_execz .LBB217_71
; %bb.73:                               ;   in Loop: Header=BB217_72 Depth=1
	s_mov_b32 s5, 0
	s_branch .LBB217_75
.LBB217_74:                             ;   in Loop: Header=BB217_75 Depth=2
	s_or_b32 exec_lo, exec_lo, s8
	s_delay_alu instid0(SALU_CYCLE_1) | instskip(NEXT) | instid1(SALU_CYCLE_1)
	s_and_b32 s6, exec_lo, s7
	s_or_b32 s5, s6, s5
	s_delay_alu instid0(SALU_CYCLE_1)
	s_and_not1_b32 exec_lo, exec_lo, s5
	s_cbranch_execz .LBB217_70
.LBB217_75:                             ;   Parent Loop BB217_72 Depth=1
                                        ; =>  This Inner Loop Header: Depth=2
	s_mov_b32 s6, 0
	s_mov_b32 s7, exec_lo
	v_cmpx_ne_u32_e64 s33, v9
	s_xor_b32 s7, exec_lo, s7
	s_cbranch_execz .LBB217_77
; %bb.76:                               ;   in Loop: Header=BB217_75 Depth=2
	v_add_nc_u32_e32 v1, 1, v1
	s_mov_b32 s6, exec_lo
                                        ; implicit-def: $vgpr8
	s_delay_alu instid0(VALU_DEP_1)
	v_and_b32_e32 v1, 0x7fff, v1
	s_and_not1_saveexec_b32 s7, s7
	s_cbranch_execz .LBB217_79
	s_branch .LBB217_78
.LBB217_77:                             ;   in Loop: Header=BB217_75 Depth=2
	s_and_not1_saveexec_b32 s7, s7
	s_cbranch_execz .LBB217_79
.LBB217_78:                             ;   in Loop: Header=BB217_75 Depth=2
	v_mov_b32_e32 v9, s33
	s_and_not1_b32 s6, s6, exec_lo
	ds_cmpstore_rtn_b32 v8, v8, v3, v9
	s_wait_dscnt 0x0
	v_cmp_ne_u32_e32 vcc_lo, s33, v8
	s_and_b32 s8, vcc_lo, exec_lo
	s_delay_alu instid0(SALU_CYCLE_1)
	s_or_b32 s6, s6, s8
.LBB217_79:                             ;   in Loop: Header=BB217_75 Depth=2
	s_or_b32 exec_lo, exec_lo, s7
	s_mov_b32 s7, -1
                                        ; implicit-def: $vgpr8
                                        ; implicit-def: $vgpr9
	s_and_saveexec_b32 s8, s6
	s_cbranch_execz .LBB217_74
; %bb.80:                               ;   in Loop: Header=BB217_75 Depth=2
	v_lshl_add_u32 v8, v1, 2, 0
	ds_load_b32 v9, v8
	s_wait_dscnt 0x0
	v_cmp_eq_u32_e32 vcc_lo, v9, v3
	s_or_not1_b32 s7, vcc_lo, exec_lo
	s_branch .LBB217_74
.LBB217_81:
	s_or_b32 exec_lo, exec_lo, s16
	s_wait_kmcnt 0x0
	s_ashr_i32 s29, s28, 31
	s_delay_alu instid0(SALU_CYCLE_1) | instskip(NEXT) | instid1(SALU_CYCLE_1)
	s_lshl_b64 s[0:1], s[28:29], 3
	s_add_nc_u64 s[4:5], s[18:19], s[0:1]
	s_load_b128 s[0:3], s[4:5], 0x0
	s_wait_xcnt 0x0
	s_mov_b32 s4, exec_lo
	s_wait_kmcnt 0x0
	s_sub_co_i32 s3, s2, s0
	s_delay_alu instid0(SALU_CYCLE_1)
	v_cmpx_gt_i32_e64 s3, v0
	s_cbranch_execz .LBB217_91
; %bb.82:
	s_sub_co_i32 s4, s0, s2
	s_and_b32 s2, s3, 7
	s_cmp_lt_u32 s4, -7
	s_mov_b32 s23, 0
	s_cselect_b32 s4, -1, 0
	s_and_b32 s5, s3, -8
	s_cmp_lg_u32 s2, 0
	s_sub_nc_u64 s[0:1], s[0:1], s[22:23]
	s_cselect_b32 s6, -1, 0
	s_mov_b32 s7, 0
	s_branch .LBB217_84
.LBB217_83:                             ;   in Loop: Header=BB217_84 Depth=1
	v_add_nc_u32_e32 v0, 0x400, v0
	s_delay_alu instid0(VALU_DEP_2) | instskip(NEXT) | instid1(VALU_DEP_2)
	v_lshl_add_u64 v[4:5], v[4:5], 3, s[34:35]
	v_cmp_le_i32_e32 vcc_lo, s3, v0
	s_wait_dscnt 0x0
	global_store_b64 v[4:5], v[2:3], off
	s_or_b32 s7, vcc_lo, s7
	s_wait_xcnt 0x0
	s_and_not1_b32 exec_lo, exec_lo, s7
	s_cbranch_execz .LBB217_91
.LBB217_84:                             ; =>This Loop Header: Depth=1
                                        ;     Child Loop BB217_86 Depth 2
                                        ;     Child Loop BB217_90 Depth 2
	v_lshlrev_b32_e32 v1, 3, v0
	v_lshl_add_u32 v2, v0, 2, 0
	v_mov_b64_e32 v[4:5], s[0:1]
	s_and_not1_b32 vcc_lo, exec_lo, s4
	s_mov_b32 s8, 0
	v_add3_u32 v3, 0, v1, 0x20000
	ds_load_b32 v1, v2
	ds_load_2addr_b32 v[2:3], v3 offset1:1
	s_cbranch_vccnz .LBB217_88
; %bb.85:                               ;   in Loop: Header=BB217_84 Depth=1
	v_mov_b64_e32 v[4:5], s[0:1]
	s_mov_b32 s9, 0
.LBB217_86:                             ;   Parent Loop BB217_84 Depth=1
                                        ; =>  This Inner Loop Header: Depth=2
	s_delay_alu instid0(SALU_CYCLE_1)
	v_dual_mov_b32 v10, s9 :: v_dual_mov_b32 v11, s23
	v_mov_b32_e32 v17, s23
	s_add_co_i32 s8, s8, 8
	s_add_co_i32 s9, s9, 32
	ds_load_2addr_b32 v[6:7], v10 offset1:1
	ds_load_2addr_b32 v[8:9], v10 offset0:2 offset1:3
	ds_load_2addr_b32 v[12:13], v10 offset0:4 offset1:5
	;; [unrolled: 1-line block ×3, first 2 shown]
	s_cmp_eq_u32 s5, s8
	s_wait_dscnt 0x3
	v_cmp_gt_i32_e32 vcc_lo, v1, v6
	v_cndmask_b32_e64 v10, 0, 1, vcc_lo
	v_cmp_gt_i32_e32 vcc_lo, v1, v7
	v_mov_b32_e32 v7, s23
	s_delay_alu instid0(VALU_DEP_3) | instskip(SKIP_4) | instid1(VALU_DEP_3)
	v_add_nc_u64_e32 v[4:5], v[4:5], v[10:11]
	v_cndmask_b32_e64 v16, 0, 1, vcc_lo
	s_wait_dscnt 0x2
	v_cmp_gt_i32_e32 vcc_lo, v1, v8
	v_cndmask_b32_e64 v6, 0, 1, vcc_lo
	v_add_nc_u64_e32 v[4:5], v[4:5], v[16:17]
	v_cmp_gt_i32_e32 vcc_lo, v1, v9
	v_mov_b32_e32 v9, s23
	v_cndmask_b32_e64 v10, 0, 1, vcc_lo
	s_delay_alu instid0(VALU_DEP_4) | instskip(SKIP_3) | instid1(VALU_DEP_3)
	v_add_nc_u64_e32 v[4:5], v[4:5], v[6:7]
	s_wait_dscnt 0x1
	v_cmp_gt_i32_e32 vcc_lo, v1, v12
	v_cndmask_b32_e64 v6, 0, 1, vcc_lo
	v_add_nc_u64_e32 v[4:5], v[4:5], v[10:11]
	v_cmp_gt_i32_e32 vcc_lo, v1, v13
	v_cndmask_b32_e64 v8, 0, 1, vcc_lo
	s_delay_alu instid0(VALU_DEP_3) | instskip(SKIP_3) | instid1(VALU_DEP_3)
	v_add_nc_u64_e32 v[4:5], v[4:5], v[6:7]
	s_wait_dscnt 0x0
	v_cmp_gt_i32_e32 vcc_lo, v1, v14
	v_cndmask_b32_e64 v6, 0, 1, vcc_lo
	v_add_nc_u64_e32 v[4:5], v[4:5], v[8:9]
	v_cmp_gt_i32_e32 vcc_lo, v1, v15
	v_cndmask_b32_e64 v8, 0, 1, vcc_lo
	s_delay_alu instid0(VALU_DEP_3) | instskip(NEXT) | instid1(VALU_DEP_1)
	v_add_nc_u64_e32 v[4:5], v[4:5], v[6:7]
	v_add_nc_u64_e32 v[4:5], v[4:5], v[8:9]
	s_cbranch_scc0 .LBB217_86
; %bb.87:                               ;   in Loop: Header=BB217_84 Depth=1
	s_mov_b32 s8, s5
.LBB217_88:                             ;   in Loop: Header=BB217_84 Depth=1
	s_and_not1_b32 vcc_lo, exec_lo, s6
	s_cbranch_vccnz .LBB217_83
; %bb.89:                               ;   in Loop: Header=BB217_84 Depth=1
	s_lshl_b32 s8, s8, 2
	s_mov_b32 s9, s2
	s_add_co_i32 s8, s8, 0
.LBB217_90:                             ;   Parent Loop BB217_84 Depth=1
                                        ; =>  This Inner Loop Header: Depth=2
	s_delay_alu instid0(SALU_CYCLE_1)
	v_dual_mov_b32 v6, s8 :: v_dual_mov_b32 v7, s23
	s_add_co_i32 s9, s9, -1
	s_add_co_i32 s8, s8, 4
	s_cmp_lg_u32 s9, 0
	ds_load_b32 v6, v6
	s_wait_dscnt 0x0
	v_cmp_gt_i32_e32 vcc_lo, v1, v6
	v_cndmask_b32_e64 v6, 0, 1, vcc_lo
	s_delay_alu instid0(VALU_DEP_1)
	v_add_nc_u64_e32 v[4:5], v[4:5], v[6:7]
	s_cbranch_scc1 .LBB217_90
	s_branch .LBB217_83
.LBB217_91:
	s_endpgm
	.section	.rodata,"a",@progbits
	.p2align	6, 0x0
	.amdhsa_kernel _ZN9rocsparseL41csrgemm_numeric_fill_block_per_row_kernelILj1024ELj64ELj32768ELj137ELj64Eli21rocsparse_complex_numIfEEEvT5_PKS3_S5_NS_24const_host_device_scalarIT6_EEPKT4_S5_PKS7_SB_S5_SD_S8_SB_S5_SD_SB_S5_PS7_21rocsparse_index_base_SF_SF_SF_bbb
		.amdhsa_group_segment_fixed_size 0
		.amdhsa_private_segment_fixed_size 0
		.amdhsa_kernarg_size 156
		.amdhsa_user_sgpr_count 2
		.amdhsa_user_sgpr_dispatch_ptr 0
		.amdhsa_user_sgpr_queue_ptr 0
		.amdhsa_user_sgpr_kernarg_segment_ptr 1
		.amdhsa_user_sgpr_dispatch_id 0
		.amdhsa_user_sgpr_kernarg_preload_length 0
		.amdhsa_user_sgpr_kernarg_preload_offset 0
		.amdhsa_user_sgpr_private_segment_size 0
		.amdhsa_wavefront_size32 1
		.amdhsa_uses_dynamic_stack 0
		.amdhsa_enable_private_segment 0
		.amdhsa_system_sgpr_workgroup_id_x 1
		.amdhsa_system_sgpr_workgroup_id_y 0
		.amdhsa_system_sgpr_workgroup_id_z 0
		.amdhsa_system_sgpr_workgroup_info 0
		.amdhsa_system_vgpr_workitem_id 0
		.amdhsa_next_free_vgpr 21
		.amdhsa_next_free_sgpr 48
		.amdhsa_named_barrier_count 0
		.amdhsa_reserve_vcc 1
		.amdhsa_float_round_mode_32 0
		.amdhsa_float_round_mode_16_64 0
		.amdhsa_float_denorm_mode_32 3
		.amdhsa_float_denorm_mode_16_64 3
		.amdhsa_fp16_overflow 0
		.amdhsa_memory_ordered 1
		.amdhsa_forward_progress 1
		.amdhsa_inst_pref_size 29
		.amdhsa_round_robin_scheduling 0
		.amdhsa_exception_fp_ieee_invalid_op 0
		.amdhsa_exception_fp_denorm_src 0
		.amdhsa_exception_fp_ieee_div_zero 0
		.amdhsa_exception_fp_ieee_overflow 0
		.amdhsa_exception_fp_ieee_underflow 0
		.amdhsa_exception_fp_ieee_inexact 0
		.amdhsa_exception_int_div_zero 0
	.end_amdhsa_kernel
	.section	.text._ZN9rocsparseL41csrgemm_numeric_fill_block_per_row_kernelILj1024ELj64ELj32768ELj137ELj64Eli21rocsparse_complex_numIfEEEvT5_PKS3_S5_NS_24const_host_device_scalarIT6_EEPKT4_S5_PKS7_SB_S5_SD_S8_SB_S5_SD_SB_S5_PS7_21rocsparse_index_base_SF_SF_SF_bbb,"axG",@progbits,_ZN9rocsparseL41csrgemm_numeric_fill_block_per_row_kernelILj1024ELj64ELj32768ELj137ELj64Eli21rocsparse_complex_numIfEEEvT5_PKS3_S5_NS_24const_host_device_scalarIT6_EEPKT4_S5_PKS7_SB_S5_SD_S8_SB_S5_SD_SB_S5_PS7_21rocsparse_index_base_SF_SF_SF_bbb,comdat
.Lfunc_end217:
	.size	_ZN9rocsparseL41csrgemm_numeric_fill_block_per_row_kernelILj1024ELj64ELj32768ELj137ELj64Eli21rocsparse_complex_numIfEEEvT5_PKS3_S5_NS_24const_host_device_scalarIT6_EEPKT4_S5_PKS7_SB_S5_SD_S8_SB_S5_SD_SB_S5_PS7_21rocsparse_index_base_SF_SF_SF_bbb, .Lfunc_end217-_ZN9rocsparseL41csrgemm_numeric_fill_block_per_row_kernelILj1024ELj64ELj32768ELj137ELj64Eli21rocsparse_complex_numIfEEEvT5_PKS3_S5_NS_24const_host_device_scalarIT6_EEPKT4_S5_PKS7_SB_S5_SD_S8_SB_S5_SD_SB_S5_PS7_21rocsparse_index_base_SF_SF_SF_bbb
                                        ; -- End function
	.set _ZN9rocsparseL41csrgemm_numeric_fill_block_per_row_kernelILj1024ELj64ELj32768ELj137ELj64Eli21rocsparse_complex_numIfEEEvT5_PKS3_S5_NS_24const_host_device_scalarIT6_EEPKT4_S5_PKS7_SB_S5_SD_S8_SB_S5_SD_SB_S5_PS7_21rocsparse_index_base_SF_SF_SF_bbb.num_vgpr, 21
	.set _ZN9rocsparseL41csrgemm_numeric_fill_block_per_row_kernelILj1024ELj64ELj32768ELj137ELj64Eli21rocsparse_complex_numIfEEEvT5_PKS3_S5_NS_24const_host_device_scalarIT6_EEPKT4_S5_PKS7_SB_S5_SD_S8_SB_S5_SD_SB_S5_PS7_21rocsparse_index_base_SF_SF_SF_bbb.num_agpr, 0
	.set _ZN9rocsparseL41csrgemm_numeric_fill_block_per_row_kernelILj1024ELj64ELj32768ELj137ELj64Eli21rocsparse_complex_numIfEEEvT5_PKS3_S5_NS_24const_host_device_scalarIT6_EEPKT4_S5_PKS7_SB_S5_SD_S8_SB_S5_SD_SB_S5_PS7_21rocsparse_index_base_SF_SF_SF_bbb.numbered_sgpr, 48
	.set _ZN9rocsparseL41csrgemm_numeric_fill_block_per_row_kernelILj1024ELj64ELj32768ELj137ELj64Eli21rocsparse_complex_numIfEEEvT5_PKS3_S5_NS_24const_host_device_scalarIT6_EEPKT4_S5_PKS7_SB_S5_SD_S8_SB_S5_SD_SB_S5_PS7_21rocsparse_index_base_SF_SF_SF_bbb.num_named_barrier, 0
	.set _ZN9rocsparseL41csrgemm_numeric_fill_block_per_row_kernelILj1024ELj64ELj32768ELj137ELj64Eli21rocsparse_complex_numIfEEEvT5_PKS3_S5_NS_24const_host_device_scalarIT6_EEPKT4_S5_PKS7_SB_S5_SD_S8_SB_S5_SD_SB_S5_PS7_21rocsparse_index_base_SF_SF_SF_bbb.private_seg_size, 0
	.set _ZN9rocsparseL41csrgemm_numeric_fill_block_per_row_kernelILj1024ELj64ELj32768ELj137ELj64Eli21rocsparse_complex_numIfEEEvT5_PKS3_S5_NS_24const_host_device_scalarIT6_EEPKT4_S5_PKS7_SB_S5_SD_S8_SB_S5_SD_SB_S5_PS7_21rocsparse_index_base_SF_SF_SF_bbb.uses_vcc, 1
	.set _ZN9rocsparseL41csrgemm_numeric_fill_block_per_row_kernelILj1024ELj64ELj32768ELj137ELj64Eli21rocsparse_complex_numIfEEEvT5_PKS3_S5_NS_24const_host_device_scalarIT6_EEPKT4_S5_PKS7_SB_S5_SD_S8_SB_S5_SD_SB_S5_PS7_21rocsparse_index_base_SF_SF_SF_bbb.uses_flat_scratch, 0
	.set _ZN9rocsparseL41csrgemm_numeric_fill_block_per_row_kernelILj1024ELj64ELj32768ELj137ELj64Eli21rocsparse_complex_numIfEEEvT5_PKS3_S5_NS_24const_host_device_scalarIT6_EEPKT4_S5_PKS7_SB_S5_SD_S8_SB_S5_SD_SB_S5_PS7_21rocsparse_index_base_SF_SF_SF_bbb.has_dyn_sized_stack, 0
	.set _ZN9rocsparseL41csrgemm_numeric_fill_block_per_row_kernelILj1024ELj64ELj32768ELj137ELj64Eli21rocsparse_complex_numIfEEEvT5_PKS3_S5_NS_24const_host_device_scalarIT6_EEPKT4_S5_PKS7_SB_S5_SD_S8_SB_S5_SD_SB_S5_PS7_21rocsparse_index_base_SF_SF_SF_bbb.has_recursion, 0
	.set _ZN9rocsparseL41csrgemm_numeric_fill_block_per_row_kernelILj1024ELj64ELj32768ELj137ELj64Eli21rocsparse_complex_numIfEEEvT5_PKS3_S5_NS_24const_host_device_scalarIT6_EEPKT4_S5_PKS7_SB_S5_SD_S8_SB_S5_SD_SB_S5_PS7_21rocsparse_index_base_SF_SF_SF_bbb.has_indirect_call, 0
	.section	.AMDGPU.csdata,"",@progbits
; Kernel info:
; codeLenInByte = 3604
; TotalNumSgprs: 50
; NumVgprs: 21
; ScratchSize: 0
; MemoryBound: 0
; FloatMode: 240
; IeeeMode: 1
; LDSByteSize: 0 bytes/workgroup (compile time only)
; SGPRBlocks: 0
; VGPRBlocks: 1
; NumSGPRsForWavesPerEU: 50
; NumVGPRsForWavesPerEU: 21
; NamedBarCnt: 0
; Occupancy: 16
; WaveLimiterHint : 1
; COMPUTE_PGM_RSRC2:SCRATCH_EN: 0
; COMPUTE_PGM_RSRC2:USER_SGPR: 2
; COMPUTE_PGM_RSRC2:TRAP_HANDLER: 0
; COMPUTE_PGM_RSRC2:TGID_X_EN: 1
; COMPUTE_PGM_RSRC2:TGID_Y_EN: 0
; COMPUTE_PGM_RSRC2:TGID_Z_EN: 0
; COMPUTE_PGM_RSRC2:TIDIG_COMP_CNT: 0
	.section	.text._ZN9rocsparseL51csrgemm_numeric_fill_block_per_row_multipass_kernelILj512ELj16ELj2048ELj32Eli21rocsparse_complex_numIfEEEvT4_PKS3_S5_NS_24const_host_device_scalarIT5_EEPKT3_S5_PKS7_SB_S5_SD_S8_SB_S5_SD_SB_S5_PS7_PS9_21rocsparse_index_base_SG_SG_SG_bbb,"axG",@progbits,_ZN9rocsparseL51csrgemm_numeric_fill_block_per_row_multipass_kernelILj512ELj16ELj2048ELj32Eli21rocsparse_complex_numIfEEEvT4_PKS3_S5_NS_24const_host_device_scalarIT5_EEPKT3_S5_PKS7_SB_S5_SD_S8_SB_S5_SD_SB_S5_PS7_PS9_21rocsparse_index_base_SG_SG_SG_bbb,comdat
	.globl	_ZN9rocsparseL51csrgemm_numeric_fill_block_per_row_multipass_kernelILj512ELj16ELj2048ELj32Eli21rocsparse_complex_numIfEEEvT4_PKS3_S5_NS_24const_host_device_scalarIT5_EEPKT3_S5_PKS7_SB_S5_SD_S8_SB_S5_SD_SB_S5_PS7_PS9_21rocsparse_index_base_SG_SG_SG_bbb ; -- Begin function _ZN9rocsparseL51csrgemm_numeric_fill_block_per_row_multipass_kernelILj512ELj16ELj2048ELj32Eli21rocsparse_complex_numIfEEEvT4_PKS3_S5_NS_24const_host_device_scalarIT5_EEPKT3_S5_PKS7_SB_S5_SD_S8_SB_S5_SD_SB_S5_PS7_PS9_21rocsparse_index_base_SG_SG_SG_bbb
	.p2align	8
	.type	_ZN9rocsparseL51csrgemm_numeric_fill_block_per_row_multipass_kernelILj512ELj16ELj2048ELj32Eli21rocsparse_complex_numIfEEEvT4_PKS3_S5_NS_24const_host_device_scalarIT5_EEPKT3_S5_PKS7_SB_S5_SD_S8_SB_S5_SD_SB_S5_PS7_PS9_21rocsparse_index_base_SG_SG_SG_bbb,@function
_ZN9rocsparseL51csrgemm_numeric_fill_block_per_row_multipass_kernelILj512ELj16ELj2048ELj32Eli21rocsparse_complex_numIfEEEvT4_PKS3_S5_NS_24const_host_device_scalarIT5_EEPKT3_S5_PKS7_SB_S5_SD_S8_SB_S5_SD_SB_S5_PS7_PS9_21rocsparse_index_base_SG_SG_SG_bbb: ; @_ZN9rocsparseL51csrgemm_numeric_fill_block_per_row_multipass_kernelILj512ELj16ELj2048ELj32Eli21rocsparse_complex_numIfEEEvT4_PKS3_S5_NS_24const_host_device_scalarIT5_EEPKT3_S5_PKS7_SB_S5_SD_S8_SB_S5_SD_SB_S5_PS7_PS9_21rocsparse_index_base_SG_SG_SG_bbb
; %bb.0:
	s_clause 0x4
	s_load_b32 s8, s[0:1], 0xa0
	s_load_b128 s[4:7], s[0:1], 0x8
	s_load_b64 s[34:35], s[0:1], 0x38
	s_load_b128 s[28:31], s[0:1], 0x90
	s_load_b64 s[2:3], s[0:1], 0x50
	s_mov_b32 s49, 0
	s_mov_b32 s33, 0
	s_wait_kmcnt 0x0
	s_bitcmp1_b32 s8, 0
	s_cselect_b32 s18, -1, 0
	s_bitcmp1_b32 s8, 16
	s_cselect_b32 s9, -1, 0
	s_delay_alu instid0(SALU_CYCLE_1)
	s_xor_b32 s9, s9, -1
	s_bitcmp0_b32 s8, 0
	s_cbranch_scc1 .LBB218_5
; %bb.1:
	s_load_b64 s[48:49], s[0:1], 0x18
	s_and_not1_b32 vcc_lo, exec_lo, s9
	s_wait_kmcnt 0x0
	s_mov_b32 s33, s48
	s_cbranch_vccnz .LBB218_3
; %bb.2:
	s_load_b32 s33, s[48:49], 0x0
.LBB218_3:
	s_and_not1_b32 vcc_lo, exec_lo, s9
	s_cbranch_vccnz .LBB218_5
; %bb.4:
	s_wait_xcnt 0x0
	s_load_b32 s49, s[48:49], 0x4
.LBB218_5:
	s_clause 0x4
	s_load_b128 s[36:39], s[0:1], 0x80
	s_load_b256 s[20:27], s[0:1], 0x58
	s_load_b128 s[40:43], s[0:1], 0x40
	s_load_b128 s[44:47], s[0:1], 0x20
	s_load_b64 s[50:51], s[0:1], 0x30
	s_bitcmp1_b32 s8, 8
	s_mov_b32 s56, 0
	s_wait_xcnt 0x0
	s_cselect_b32 s48, -1, 0
	s_bfe_u32 s8, s8, 0x10008
	s_mov_b32 s57, 0
	s_cmp_eq_u32 s8, 0
	s_cbranch_scc1 .LBB218_11
; %bb.6:
	v_cndmask_b32_e64 v1, 0, 1, s9
	s_and_not1_b32 vcc_lo, exec_lo, s9
	s_mov_b32 s56, s2
	s_cbranch_vccnz .LBB218_8
; %bb.7:
	s_load_b32 s56, s[2:3], 0x0
.LBB218_8:
	s_delay_alu instid0(VALU_DEP_1)
	v_cmp_ne_u32_e32 vcc_lo, 1, v1
	s_cbranch_vccnz .LBB218_10
; %bb.9:
	s_wait_xcnt 0x0
	s_load_b32 s3, s[2:3], 0x4
.LBB218_10:
	s_wait_kmcnt 0x0
	s_mov_b32 s57, s3
.LBB218_11:
	s_load_b32 s2, s[4:5], 0x0
	s_bfe_u32 s3, ttmp6, 0x4000c
	s_wait_xcnt 0x0
	s_and_b32 s4, ttmp6, 15
	s_add_co_i32 s3, s3, 1
	s_getreg_b32 s5, hwreg(HW_REG_IB_STS2, 6, 4)
	s_mul_i32 s3, ttmp9, s3
	s_mov_b64 s[52:53], 0
	s_add_co_i32 s4, s4, s3
	s_cmp_eq_u32 s5, 0
	s_cselect_b32 s3, ttmp9, s4
	s_and_not1_b32 vcc_lo, exec_lo, s18
	s_wait_kmcnt 0x0
	s_add_co_i32 s2, s2, s3
	s_load_b32 s4, s[6:7], s2 offset:0x0 scale_offset
	s_wait_xcnt 0x0
	s_mov_b32 s7, 0
	s_mov_b64 s[2:3], 0
	s_cbranch_vccz .LBB218_14
; %bb.12:
	s_and_not1_b32 vcc_lo, exec_lo, s18
	s_cbranch_vccz .LBB218_15
.LBB218_13:
	s_load_b32 s58, s[0:1], 0x0
	s_wait_kmcnt 0x0
	s_cmp_lt_i32 s58, 1
	s_cbranch_scc0 .LBB218_16
	s_branch .LBB218_69
.LBB218_14:
	s_wait_kmcnt 0x0
	s_ashr_i32 s5, s4, 31
	s_mov_b32 s6, s28
	s_lshl_b64 s[2:3], s[4:5], 3
	s_delay_alu instid0(SALU_CYCLE_1)
	s_add_nc_u64 s[2:3], s[44:45], s[2:3]
	s_load_b64 s[2:3], s[2:3], 0x0
	s_wait_kmcnt 0x0
	s_sub_nc_u64 s[2:3], s[2:3], s[6:7]
	s_and_not1_b32 vcc_lo, exec_lo, s18
	s_cbranch_vccnz .LBB218_13
.LBB218_15:
	s_wait_kmcnt 0x0
	s_ashr_i32 s5, s4, 31
	s_mov_b32 s9, 0
	s_lshl_b64 s[6:7], s[4:5], 3
	s_mov_b32 s8, s28
	s_add_nc_u64 s[6:7], s[44:45], s[6:7]
	s_load_b64 s[6:7], s[6:7], 0x8
	s_wait_kmcnt 0x0
	s_sub_nc_u64 s[52:53], s[6:7], s[8:9]
	s_load_b32 s58, s[0:1], 0x0
	s_wait_kmcnt 0x0
	s_cmp_lt_i32 s58, 1
	s_cbranch_scc1 .LBB218_69
.LBB218_16:
	v_mbcnt_lo_u32_b32 v8, -1, 0
	s_ashr_i32 s5, s4, 31
	v_dual_lshrrev_b32 v2, 4, v0 :: v_dual_bitop2_b32 v1, 15, v0 bitop3:0x40
	s_delay_alu instid0(VALU_DEP_2) | instskip(SKIP_3) | instid1(VALU_DEP_1)
	v_dual_mov_b32 v3, 0 :: v_dual_bitop2_b32 v6, 8, v8 bitop3:0x14
	s_lshl_b64 s[4:5], s[4:5], 3
	s_mov_b32 s44, s31
	s_add_nc_u64 s[0:1], s[26:27], s[4:5]
	v_add_nc_u64_e32 v[4:5], s[2:3], v[2:3]
	s_load_b64 s[6:7], s[0:1], 0x0
	v_mov_b32_e32 v2, v1
	s_wait_xcnt 0x0
	v_cmp_eq_u32_e64 s1, 15, v1
	v_mov_b32_e32 v1, v3
	v_cmp_gt_i32_e32 vcc_lo, 32, v6
	v_xor_b32_e32 v10, 4, v8
	s_mov_b32 s27, 0
	s_mov_b32 s26, s30
	;; [unrolled: 1-line block ×3, first 2 shown]
	v_dual_cndmask_b32 v9, v8, v6, vcc_lo :: v_dual_bitop2_b32 v11, 2, v8 bitop3:0x14
	v_cmp_gt_i32_e64 s2, 32, v10
	v_sub_nc_u64_e64 v[6:7], v[0:1], s[44:45]
	s_delay_alu instid0(VALU_DEP_3)
	v_dual_lshlrev_b32 v9, 2, v9 :: v_dual_bitop2_b32 v1, 1, v8 bitop3:0x14
	s_add_nc_u64 s[54:55], s[20:21], s[4:5]
	v_cndmask_b32_e64 v10, v8, v10, s2
	v_cmp_gt_i32_e64 s2, 32, v11
	v_cmp_gt_i64_e32 vcc_lo, s[52:53], v[4:5]
	v_cmp_eq_u32_e64 s0, 0, v0
	s_wait_kmcnt 0x0
	s_sub_nc_u64 s[20:21], s[6:7], s[26:27]
	v_dual_lshlrev_b32 v28, 2, v10 :: v_dual_cndmask_b32 v11, v8, v11, s2
	v_cmp_gt_i32_e64 s2, 32, v1
	v_cmp_gt_u32_e64 s3, 32, v0
	v_cmp_gt_u32_e64 s4, 64, v0
	;; [unrolled: 1-line block ×4, first 2 shown]
	v_dual_cndmask_b32 v1, v8, v1, s2 :: v_dual_bitop2_b32 v8, 31, v8 bitop3:0x14
	v_dual_lshrrev_b32 v12, 3, v0 :: v_dual_lshlrev_b32 v29, 2, v11
	v_cmp_eq_u32_e64 s2, 0x1ff, v0
	s_delay_alu instid0(VALU_DEP_3)
	v_lshlrev_b32_e32 v30, 2, v1
	v_cmp_gt_u32_e64 s7, 0xa0, v0
	v_cmp_gt_u32_e64 s8, 0xc0, v0
	v_cmp_gt_u32_e64 s9, 0xe0, v0
	v_cmp_gt_u32_e64 s10, 0x100, v0
	v_cmp_gt_u32_e64 s11, 0x120, v0
	v_cmp_gt_u32_e64 s12, 0x140, v0
	v_cmp_gt_u32_e64 s13, 0x160, v0
	v_cmp_gt_u32_e64 s14, 0x180, v0
	v_cmp_gt_u32_e64 s15, 0x1a0, v0
	v_cmp_gt_u32_e64 s16, 0x1c0, v0
	v_cmp_gt_u32_e64 s17, 0x1e0, v0
	v_or_b32_e32 v32, 0xfffffe00, v0
	v_dual_mov_b32 v36, 0x800 :: v_dual_lshlrev_b32 v33, 3, v0
	v_mov_b64_e32 v[0:1], s[20:21]
	v_mov_b64_e32 v[10:11], 0
	v_lshrrev_b32_e64 v8, v8, -1
	v_dual_mov_b32 v34, 1 :: v_dual_bitop2_b32 v31, 60, v12 bitop3:0x40
	v_mov_b32_e32 v35, v3
	s_mov_b32 s26, s29
	s_and_b32 s30, s18, vcc_lo
	s_add_nc_u64 s[42:43], s[42:43], 4
	s_add_nc_u64 s[24:25], s[24:25], 4
	s_branch .LBB218_18
.LBB218_17:                             ;   in Loop: Header=BB218_18 Depth=1
	s_or_b32 exec_lo, exec_lo, s18
	ds_load_b32 v35, v3 offset:18432
	s_wait_dscnt 0x0
	s_barrier_signal -1
	s_barrier_wait -1
	v_cmp_le_i32_e32 vcc_lo, s58, v35
	v_add_nc_u32_e32 v36, 0x800, v35
	s_cbranch_vccnz .LBB218_69
.LBB218_18:                             ; =>This Loop Header: Depth=1
                                        ;     Child Loop BB218_19 Depth 2
                                        ;     Child Loop BB218_25 Depth 2
                                        ;       Child Loop BB218_31 Depth 3
                                        ;     Child Loop BB218_48 Depth 2
                                        ;     Child Loop BB218_60 Depth 2
                                        ;     Child Loop BB218_65 Depth 2
	v_dual_mov_b32 v12, v33 :: v_dual_mov_b32 v13, v32
	s_mov_b32 s18, 0
.LBB218_19:                             ;   Parent Loop BB218_18 Depth=1
                                        ; =>  This Inner Loop Header: Depth=2
	ds_store_b8 v13, v3 offset:16896
	v_add_nc_u32_e32 v13, 0x200, v13
	ds_store_b64 v12, v[10:11]
	v_add_nc_u32_e32 v12, 0x1000, v12
	v_cmp_lt_u32_e32 vcc_lo, 0x5ff, v13
	s_or_b32 s18, vcc_lo, s18
	s_delay_alu instid0(SALU_CYCLE_1)
	s_and_not1_b32 exec_lo, exec_lo, s18
	s_cbranch_execnz .LBB218_19
; %bb.20:                               ;   in Loop: Header=BB218_18 Depth=1
	s_or_b32 exec_lo, exec_lo, s18
	s_and_saveexec_b32 s18, s0
; %bb.21:                               ;   in Loop: Header=BB218_18 Depth=1
	v_mov_b32_e32 v12, s58
	ds_store_b32 v3, v12 offset:18432
; %bb.22:                               ;   in Loop: Header=BB218_18 Depth=1
	s_or_b32 exec_lo, exec_lo, s18
	v_mov_b32_e32 v37, s58
	s_wait_dscnt 0x0
	s_barrier_signal -1
	s_barrier_wait -1
	s_and_saveexec_b32 s21, s30
	s_cbranch_execz .LBB218_44
; %bb.23:                               ;   in Loop: Header=BB218_18 Depth=1
	v_mov_b64_e32 v[12:13], v[4:5]
	v_cmp_ne_u32_e64 s18, 0, v35
	v_mov_b32_e32 v37, s58
	s_mov_b32 s59, 0
	s_branch .LBB218_25
.LBB218_24:                             ;   in Loop: Header=BB218_25 Depth=2
	s_wait_xcnt 0x0
	s_or_b32 exec_lo, exec_lo, s19
	v_add_nc_u64_e32 v[12:13], 32, v[12:13]
	s_delay_alu instid0(VALU_DEP_1) | instskip(SKIP_1) | instid1(SALU_CYCLE_1)
	v_cmp_le_i64_e32 vcc_lo, s[52:53], v[12:13]
	s_or_b32 s59, vcc_lo, s59
	s_and_not1_b32 exec_lo, exec_lo, s59
	s_cbranch_execz .LBB218_43
.LBB218_25:                             ;   Parent Loop BB218_18 Depth=1
                                        ; =>  This Loop Header: Depth=2
                                        ;       Child Loop BB218_31 Depth 3
	v_lshl_add_u64 v[14:15], v[12:13], 2, s[46:47]
	s_and_b32 vcc_lo, exec_lo, s18
	global_load_b32 v16, v[14:15], off
	s_wait_xcnt 0x0
	v_lshl_add_u64 v[14:15], v[12:13], 3, s[50:51]
	global_load_b64 v[24:25], v[14:15], off
	s_wait_xcnt 0x0
	v_lshl_add_u64 v[14:15], v[12:13], 3, s[38:39]
	s_wait_loadcnt 0x1
	v_subrev_nc_u32_e32 v16, s28, v16
	s_delay_alu instid0(VALU_DEP_1)
	v_ashrrev_i32_e32 v17, 31, v16
	s_cbranch_vccz .LBB218_42
; %bb.26:                               ;   in Loop: Header=BB218_25 Depth=2
	global_load_b64 v[20:21], v[14:15], off
	s_cbranch_execnz .LBB218_28
.LBB218_27:                             ;   in Loop: Header=BB218_25 Depth=2
	s_wait_dscnt 0x0
	global_load_b64 v[18:19], v16, s[34:35] scale_offset
	s_wait_loadcnt 0x0
	v_sub_nc_u64_e64 v[20:21], v[18:19], s[26:27]
.LBB218_28:                             ;   in Loop: Header=BB218_25 Depth=2
	s_wait_xcnt 0x0
	v_lshl_add_u64 v[16:17], v[16:17], 3, s[34:35]
	s_mov_b32 s60, exec_lo
	global_load_b64 v[16:17], v[16:17], off offset:8
	s_wait_loadcnt_dscnt 0x0
	v_sub_nc_u64_e64 v[18:19], v[16:17], s[26:27]
	s_wait_xcnt 0x0
	v_add_nc_u64_e32 v[16:17], v[20:21], v[2:3]
	s_delay_alu instid0(VALU_DEP_1)
	v_cmpx_lt_i64_e64 v[16:17], v[18:19]
	s_cbranch_execz .LBB218_40
; %bb.29:                               ;   in Loop: Header=BB218_25 Depth=2
	v_mul_f32_e64 v38, v25, -s49
	v_mul_f32_e32 v39, s33, v25
	v_mov_b64_e32 v[26:27], v[16:17]
	v_lshl_add_u64 v[20:21], v[16:17], 2, s[40:41]
	v_lshl_add_u64 v[22:23], v[16:17], 3, s[42:43]
	s_delay_alu instid0(VALU_DEP_4)
	v_dual_fmac_f32 v38, s33, v24 :: v_dual_fmac_f32 v39, s49, v24
	s_mov_b32 s62, 0
                                        ; implicit-def: $sgpr61
                                        ; implicit-def: $sgpr63
	s_branch .LBB218_31
.LBB218_30:                             ;   in Loop: Header=BB218_31 Depth=3
	s_or_b32 exec_lo, exec_lo, s64
	s_delay_alu instid0(SALU_CYCLE_1) | instskip(NEXT) | instid1(SALU_CYCLE_1)
	s_and_b32 s19, exec_lo, s20
	s_or_b32 s62, s19, s62
	s_and_not1_b32 s19, s61, exec_lo
	s_and_b32 s20, s63, exec_lo
	s_delay_alu instid0(SALU_CYCLE_1)
	s_or_b32 s61, s19, s20
	s_and_not1_b32 exec_lo, exec_lo, s62
	s_cbranch_execz .LBB218_37
.LBB218_31:                             ;   Parent Loop BB218_18 Depth=1
                                        ;     Parent Loop BB218_25 Depth=2
                                        ; =>    This Inner Loop Header: Depth=3
	global_load_b32 v24, v[20:21], off
	s_wait_loadcnt 0x0
	v_subrev_nc_u32_e32 v40, s29, v24
	v_mov_b64_e32 v[24:25], v[26:27]
	s_delay_alu instid0(VALU_DEP_2)
	v_cmp_lt_i32_e64 s19, v40, v35
	v_cmp_ge_i32_e64 s20, v40, v36
	v_cmp_lt_i32_e32 vcc_lo, v40, v36
	s_or_b32 s20, s19, s20
	s_mov_b32 s19, 0
	s_wait_xcnt 0x0
	s_and_saveexec_b32 s64, s20
	s_delay_alu instid0(SALU_CYCLE_1)
	s_xor_b32 s20, exec_lo, s64
; %bb.32:                               ;   in Loop: Header=BB218_31 Depth=3
	s_and_b32 s19, vcc_lo, exec_lo
; %bb.33:                               ;   in Loop: Header=BB218_31 Depth=3
	s_and_not1_saveexec_b32 s20, s20
	s_cbranch_execz .LBB218_35
; %bb.34:                               ;   in Loop: Header=BB218_31 Depth=3
	global_load_b64 v[26:27], v[22:23], off offset:-4
	s_or_b32 s19, s19, exec_lo
	s_wait_loadcnt 0x0
	v_mul_f32_e64 v42, v27, -v39
	v_sub_nc_u32_e32 v41, v40, v35
	s_delay_alu instid0(VALU_DEP_2) | instskip(NEXT) | instid1(VALU_DEP_1)
	v_dual_mul_f32 v27, v38, v27 :: v_dual_fmac_f32 v42, v38, v26
	v_dual_lshlrev_b32 v43, 3, v41 :: v_dual_fmac_f32 v27, v39, v26
	ds_store_b8 v41, v34 offset:16384
	ds_add_f32 v43, v42
	ds_add_f32 v43, v27 offset:4
.LBB218_35:                             ;   in Loop: Header=BB218_31 Depth=3
	s_wait_xcnt 0x0
	s_or_b32 exec_lo, exec_lo, s20
	s_mov_b32 s20, -1
	s_or_b32 s63, s63, exec_lo
                                        ; implicit-def: $vgpr26_vgpr27
	s_and_saveexec_b32 s64, s19
	s_cbranch_execz .LBB218_30
; %bb.36:                               ;   in Loop: Header=BB218_31 Depth=3
	v_add_nc_u64_e32 v[26:27], 16, v[24:25]
	v_add_nc_u64_e32 v[20:21], 64, v[20:21]
	;; [unrolled: 1-line block ×3, first 2 shown]
	s_and_not1_b32 s63, s63, exec_lo
	s_delay_alu instid0(VALU_DEP_3)
	v_cmp_ge_i64_e32 vcc_lo, v[26:27], v[18:19]
	s_or_not1_b32 s20, vcc_lo, exec_lo
	s_branch .LBB218_30
.LBB218_37:                             ;   in Loop: Header=BB218_25 Depth=2
	s_or_b32 exec_lo, exec_lo, s62
	s_and_saveexec_b32 s19, s61
	s_delay_alu instid0(SALU_CYCLE_1)
	s_xor_b32 s19, exec_lo, s19
; %bb.38:                               ;   in Loop: Header=BB218_25 Depth=2
	v_mov_b64_e32 v[16:17], v[24:25]
	v_min_i32_e32 v37, v40, v37
; %bb.39:                               ;   in Loop: Header=BB218_25 Depth=2
	s_or_b32 exec_lo, exec_lo, s19
.LBB218_40:                             ;   in Loop: Header=BB218_25 Depth=2
	s_delay_alu instid0(SALU_CYCLE_1)
	s_or_b32 exec_lo, exec_lo, s60
	ds_bpermute_b32 v18, v9, v16
	ds_bpermute_b32 v19, v9, v17
	s_wait_dscnt 0x0
	v_min_i64 v[16:17], v[18:19], v[16:17]
	ds_bpermute_b32 v18, v28, v16
	ds_bpermute_b32 v19, v28, v17
	s_wait_dscnt 0x0
	v_min_i64 v[16:17], v[18:19], v[16:17]
	ds_bpermute_b32 v18, v29, v16
	ds_bpermute_b32 v19, v29, v17
	s_wait_dscnt 0x0
	v_min_i64 v[16:17], v[18:19], v[16:17]
	ds_bpermute_b32 v18, v30, v16
	ds_bpermute_b32 v19, v30, v17
	s_and_saveexec_b32 s19, s1
	s_cbranch_execz .LBB218_24
; %bb.41:                               ;   in Loop: Header=BB218_25 Depth=2
	s_wait_dscnt 0x0
	v_min_i64 v[16:17], v[18:19], v[16:17]
	global_store_b64 v[14:15], v[16:17], off
	s_branch .LBB218_24
.LBB218_42:                             ;   in Loop: Header=BB218_25 Depth=2
                                        ; implicit-def: $vgpr20_vgpr21
	s_branch .LBB218_27
.LBB218_43:                             ;   in Loop: Header=BB218_18 Depth=1
	s_or_b32 exec_lo, exec_lo, s59
.LBB218_44:                             ;   in Loop: Header=BB218_18 Depth=1
	s_delay_alu instid0(SALU_CYCLE_1) | instskip(NEXT) | instid1(SALU_CYCLE_1)
	s_or_b32 exec_lo, exec_lo, s21
	s_and_not1_b32 vcc_lo, exec_lo, s48
	s_cbranch_vccnz .LBB218_58
; %bb.45:                               ;   in Loop: Header=BB218_18 Depth=1
	s_load_b128 s[60:63], s[54:55], 0x0
	s_mov_b32 s59, exec_lo
	s_wait_kmcnt 0x0
	v_add_nc_u64_e32 v[12:13], s[60:61], v[6:7]
	s_sub_nc_u64 s[20:21], s[62:63], s[44:45]
	s_delay_alu instid0(VALU_DEP_1) | instid1(SALU_CYCLE_1)
	v_cmpx_gt_i64_e64 s[20:21], v[12:13]
	s_cbranch_execz .LBB218_57
; %bb.46:                               ;   in Loop: Header=BB218_18 Depth=1
	v_lshl_add_u64 v[14:15], v[12:13], 2, s[22:23]
	v_lshl_add_u64 v[16:17], v[12:13], 3, s[24:25]
	s_mov_b32 s60, 0
                                        ; implicit-def: $sgpr61
                                        ; implicit-def: $sgpr62
	s_branch .LBB218_48
.LBB218_47:                             ;   in Loop: Header=BB218_48 Depth=2
	s_or_b32 exec_lo, exec_lo, s63
	s_delay_alu instid0(SALU_CYCLE_1) | instskip(NEXT) | instid1(SALU_CYCLE_1)
	s_and_b32 s18, exec_lo, s19
	s_or_b32 s60, s18, s60
	s_and_not1_b32 s18, s61, exec_lo
	s_and_b32 s19, s62, exec_lo
	s_delay_alu instid0(SALU_CYCLE_1)
	s_or_b32 s61, s18, s19
	s_and_not1_b32 exec_lo, exec_lo, s60
	s_cbranch_execz .LBB218_54
.LBB218_48:                             ;   Parent Loop BB218_18 Depth=1
                                        ; =>  This Inner Loop Header: Depth=2
	s_wait_dscnt 0x1
	global_load_b32 v18, v[14:15], off
	s_wait_loadcnt 0x0
	v_subrev_nc_u32_e32 v18, s31, v18
	s_delay_alu instid0(VALU_DEP_1)
	v_cmp_lt_i32_e64 s18, v18, v35
	v_cmp_ge_i32_e64 s19, v18, v36
	v_cmp_lt_i32_e32 vcc_lo, v18, v36
	s_or_b32 s19, s18, s19
	s_mov_b32 s18, 0
	s_wait_xcnt 0x0
	s_and_saveexec_b32 s63, s19
	s_delay_alu instid0(SALU_CYCLE_1)
	s_xor_b32 s19, exec_lo, s63
; %bb.49:                               ;   in Loop: Header=BB218_48 Depth=2
	s_and_b32 s18, vcc_lo, exec_lo
; %bb.50:                               ;   in Loop: Header=BB218_48 Depth=2
	s_and_not1_saveexec_b32 s19, s19
	s_cbranch_execz .LBB218_52
; %bb.51:                               ;   in Loop: Header=BB218_48 Depth=2
	global_load_b64 v[20:21], v[16:17], off offset:-4
	s_wait_dscnt 0x0
	v_sub_nc_u32_e32 v19, v18, v35
	s_or_b32 s18, s18, exec_lo
	s_wait_loadcnt 0x0
	v_mul_f32_e64 v22, v21, -s57
	s_delay_alu instid0(VALU_DEP_2)
	v_dual_mul_f32 v21, s56, v21 :: v_dual_lshlrev_b32 v23, 3, v19
	ds_store_b8 v19, v34 offset:16384
	v_dual_fmac_f32 v22, s56, v20 :: v_dual_fmac_f32 v21, s57, v20
	ds_add_f32 v23, v22
	ds_add_f32 v23, v21 offset:4
.LBB218_52:                             ;   in Loop: Header=BB218_48 Depth=2
	s_wait_xcnt 0x0
	s_or_b32 exec_lo, exec_lo, s19
	s_mov_b32 s19, -1
	s_or_b32 s62, s62, exec_lo
	s_and_saveexec_b32 s63, s18
	s_cbranch_execz .LBB218_47
; %bb.53:                               ;   in Loop: Header=BB218_48 Depth=2
	v_add_nc_u64_e32 v[12:13], 0x200, v[12:13]
	v_add_nc_u64_e32 v[14:15], 0x800, v[14:15]
	;; [unrolled: 1-line block ×3, first 2 shown]
	s_and_not1_b32 s62, s62, exec_lo
	s_delay_alu instid0(VALU_DEP_3)
	v_cmp_le_i64_e32 vcc_lo, s[20:21], v[12:13]
	s_or_not1_b32 s19, vcc_lo, exec_lo
	s_branch .LBB218_47
.LBB218_54:                             ;   in Loop: Header=BB218_18 Depth=1
	s_or_b32 exec_lo, exec_lo, s60
	s_and_saveexec_b32 s18, s61
	s_delay_alu instid0(SALU_CYCLE_1)
	s_xor_b32 s18, exec_lo, s18
; %bb.55:                               ;   in Loop: Header=BB218_18 Depth=1
	v_min_i32_e32 v37, v18, v37
; %bb.56:                               ;   in Loop: Header=BB218_18 Depth=1
	s_or_b32 exec_lo, exec_lo, s18
.LBB218_57:                             ;   in Loop: Header=BB218_18 Depth=1
	s_delay_alu instid0(SALU_CYCLE_1)
	s_or_b32 exec_lo, exec_lo, s59
.LBB218_58:                             ;   in Loop: Header=BB218_18 Depth=1
	ds_bpermute_b32 v12, v9, v37
	s_wait_dscnt 0x0
	v_min_i32_e32 v12, v12, v37
	ds_bpermute_b32 v13, v28, v12
	s_wait_dscnt 0x0
	v_min_i32_e32 v12, v13, v12
	;; [unrolled: 3-line block ×3, first 2 shown]
	ds_bpermute_b32 v13, v30, v12
	s_and_saveexec_b32 s18, s1
	s_cbranch_execz .LBB218_63
; %bb.59:                               ;   in Loop: Header=BB218_18 Depth=1
	s_wait_dscnt 0x0
	v_min_i32_e32 v12, v13, v12
	s_mov_b32 s20, exec_lo
	s_brev_b32 s19, -2
.LBB218_60:                             ;   Parent Loop BB218_18 Depth=1
                                        ; =>  This Inner Loop Header: Depth=2
	s_ctz_i32_b32 s21, s20
	s_delay_alu instid0(VALU_DEP_1) | instid1(SALU_CYCLE_1)
	v_readlane_b32 s59, v12, s21
	s_lshl_b32 s21, 1, s21
	s_delay_alu instid0(SALU_CYCLE_1)
	s_and_not1_b32 s20, s20, s21
	s_min_i32 s19, s19, s59
	s_cmp_lg_u32 s20, 0
	s_cbranch_scc1 .LBB218_60
; %bb.61:                               ;   in Loop: Header=BB218_18 Depth=1
	v_mbcnt_lo_u32_b32 v12, exec_lo, 0
	s_mov_b32 s20, exec_lo
	s_delay_alu instid0(VALU_DEP_1)
	v_cmpx_eq_u32_e32 0, v12
	s_xor_b32 s20, exec_lo, s20
; %bb.62:                               ;   in Loop: Header=BB218_18 Depth=1
	v_mov_b32_e32 v12, s19
	ds_min_i32 v3, v12 offset:18432
.LBB218_63:                             ;   in Loop: Header=BB218_18 Depth=1
	s_or_b32 exec_lo, exec_lo, s18
	v_dual_mov_b32 v16, v33 :: v_dual_mov_b32 v17, v32
	s_mov_b32 s18, 0
	s_wait_storecnt_dscnt 0x0
	s_barrier_signal -1
	s_barrier_wait -1
	s_branch .LBB218_65
.LBB218_64:                             ;   in Loop: Header=BB218_65 Depth=2
	s_or_b32 exec_lo, exec_lo, s19
	s_wait_storecnt_dscnt 0x0
	s_barrier_signal -1
	s_barrier_wait -1
	ds_load_b32 v12, v3 offset:60
	v_add_nc_u32_e32 v17, 0x200, v17
	v_add_nc_u32_e32 v16, 0x1000, v16
	s_delay_alu instid0(VALU_DEP_2) | instskip(SKIP_3) | instid1(VALU_DEP_1)
	v_cmp_lt_u32_e32 vcc_lo, 0x5ff, v17
	s_or_b32 s18, vcc_lo, s18
	s_wait_dscnt 0x0
	v_ashrrev_i32_e32 v13, 31, v12
	v_add_nc_u64_e32 v[0:1], v[0:1], v[12:13]
	s_and_not1_b32 exec_lo, exec_lo, s18
	s_cbranch_execz .LBB218_17
.LBB218_65:                             ;   Parent Loop BB218_18 Depth=1
                                        ; =>  This Inner Loop Header: Depth=2
	ds_load_u8 v14, v17 offset:16896
	ds_load_b64 v[12:13], v16
	s_wait_dscnt 0x0
	s_barrier_signal -1
	s_barrier_wait -1
	v_cmp_ne_u16_e32 vcc_lo, 0, v14
	s_bcnt1_i32_b32 s19, vcc_lo
	s_delay_alu instid0(SALU_CYCLE_1)
	v_mov_b32_e32 v15, s19
	s_mov_b32 s19, exec_lo
	ds_store_b32 v31, v15
	s_wait_dscnt 0x0
	s_barrier_signal -1
	s_barrier_wait -1
	ds_load_b128 v[18:21], v3
	ds_load_b128 v[22:25], v3 offset:16
	v_and_b32_e32 v15, vcc_lo, v8
	ds_load_b128 v[36:39], v3 offset:32
	s_wait_dscnt 0x2
	v_cndmask_b32_e64 v18, v18, 0, s3
	v_cndmask_b32_e64 v26, v19, 0, s4
	;; [unrolled: 1-line block ×4, first 2 shown]
	s_wait_dscnt 0x1
	v_cndmask_b32_e64 v22, v22, 0, s7
	v_bcnt_u32_b32 v15, v15, v18
	ds_load_b96 v[18:20], v3 offset:48
	v_cndmask_b32_e64 v23, v23, 0, s8
	v_cndmask_b32_e64 v24, v24, 0, s9
	v_add3_u32 v15, v15, v26, v27
	s_delay_alu instid0(VALU_DEP_1) | instskip(SKIP_3) | instid1(VALU_DEP_3)
	v_add3_u32 v15, v15, v21, v22
	v_cndmask_b32_e64 v21, v25, 0, s10
	s_wait_dscnt 0x1
	v_cndmask_b32_e64 v22, v36, 0, s11
	v_add3_u32 v15, v15, v23, v24
	v_cndmask_b32_e64 v23, v37, 0, s12
	v_cndmask_b32_e64 v24, v38, 0, s13
	s_delay_alu instid0(VALU_DEP_3)
	v_add3_u32 v15, v15, v21, v22
	v_cndmask_b32_e64 v21, v39, 0, s14
	s_wait_dscnt 0x0
	v_cndmask_b32_e64 v18, v18, 0, s15
	v_cndmask_b32_e64 v19, v19, 0, s16
	;; [unrolled: 1-line block ×3, first 2 shown]
	v_add3_u32 v15, v15, v23, v24
	s_delay_alu instid0(VALU_DEP_1) | instskip(SKIP_1) | instid1(VALU_DEP_2)
	v_add3_u32 v15, v15, v21, v18
	v_and_b32_e32 v18, 1, v14
	v_add3_u32 v14, v15, v19, v20
	s_delay_alu instid0(VALU_DEP_2)
	v_cmpx_eq_u32_e32 1, v18
	s_cbranch_execz .LBB218_67
; %bb.66:                               ;   in Loop: Header=BB218_65 Depth=2
	v_lshl_add_u64 v[18:19], v[0:1], 3, s[36:37]
	s_delay_alu instid0(VALU_DEP_3) | instskip(NEXT) | instid1(VALU_DEP_1)
	v_ashrrev_i32_e32 v15, 31, v14
	v_lshl_add_u64 v[18:19], v[14:15], 3, v[18:19]
	global_store_b64 v[18:19], v[12:13], off offset:-8
.LBB218_67:                             ;   in Loop: Header=BB218_65 Depth=2
	s_wait_xcnt 0x0
	s_or_b32 exec_lo, exec_lo, s19
	s_and_saveexec_b32 s19, s2
	s_cbranch_execz .LBB218_64
; %bb.68:                               ;   in Loop: Header=BB218_65 Depth=2
	ds_store_b32 v3, v14 offset:60
	s_branch .LBB218_64
.LBB218_69:
	s_endpgm
	.section	.rodata,"a",@progbits
	.p2align	6, 0x0
	.amdhsa_kernel _ZN9rocsparseL51csrgemm_numeric_fill_block_per_row_multipass_kernelILj512ELj16ELj2048ELj32Eli21rocsparse_complex_numIfEEEvT4_PKS3_S5_NS_24const_host_device_scalarIT5_EEPKT3_S5_PKS7_SB_S5_SD_S8_SB_S5_SD_SB_S5_PS7_PS9_21rocsparse_index_base_SG_SG_SG_bbb
		.amdhsa_group_segment_fixed_size 18436
		.amdhsa_private_segment_fixed_size 0
		.amdhsa_kernarg_size 164
		.amdhsa_user_sgpr_count 2
		.amdhsa_user_sgpr_dispatch_ptr 0
		.amdhsa_user_sgpr_queue_ptr 0
		.amdhsa_user_sgpr_kernarg_segment_ptr 1
		.amdhsa_user_sgpr_dispatch_id 0
		.amdhsa_user_sgpr_kernarg_preload_length 0
		.amdhsa_user_sgpr_kernarg_preload_offset 0
		.amdhsa_user_sgpr_private_segment_size 0
		.amdhsa_wavefront_size32 1
		.amdhsa_uses_dynamic_stack 0
		.amdhsa_enable_private_segment 0
		.amdhsa_system_sgpr_workgroup_id_x 1
		.amdhsa_system_sgpr_workgroup_id_y 0
		.amdhsa_system_sgpr_workgroup_id_z 0
		.amdhsa_system_sgpr_workgroup_info 0
		.amdhsa_system_vgpr_workitem_id 0
		.amdhsa_next_free_vgpr 44
		.amdhsa_next_free_sgpr 65
		.amdhsa_named_barrier_count 0
		.amdhsa_reserve_vcc 1
		.amdhsa_float_round_mode_32 0
		.amdhsa_float_round_mode_16_64 0
		.amdhsa_float_denorm_mode_32 3
		.amdhsa_float_denorm_mode_16_64 3
		.amdhsa_fp16_overflow 0
		.amdhsa_memory_ordered 1
		.amdhsa_forward_progress 1
		.amdhsa_inst_pref_size 24
		.amdhsa_round_robin_scheduling 0
		.amdhsa_exception_fp_ieee_invalid_op 0
		.amdhsa_exception_fp_denorm_src 0
		.amdhsa_exception_fp_ieee_div_zero 0
		.amdhsa_exception_fp_ieee_overflow 0
		.amdhsa_exception_fp_ieee_underflow 0
		.amdhsa_exception_fp_ieee_inexact 0
		.amdhsa_exception_int_div_zero 0
	.end_amdhsa_kernel
	.section	.text._ZN9rocsparseL51csrgemm_numeric_fill_block_per_row_multipass_kernelILj512ELj16ELj2048ELj32Eli21rocsparse_complex_numIfEEEvT4_PKS3_S5_NS_24const_host_device_scalarIT5_EEPKT3_S5_PKS7_SB_S5_SD_S8_SB_S5_SD_SB_S5_PS7_PS9_21rocsparse_index_base_SG_SG_SG_bbb,"axG",@progbits,_ZN9rocsparseL51csrgemm_numeric_fill_block_per_row_multipass_kernelILj512ELj16ELj2048ELj32Eli21rocsparse_complex_numIfEEEvT4_PKS3_S5_NS_24const_host_device_scalarIT5_EEPKT3_S5_PKS7_SB_S5_SD_S8_SB_S5_SD_SB_S5_PS7_PS9_21rocsparse_index_base_SG_SG_SG_bbb,comdat
.Lfunc_end218:
	.size	_ZN9rocsparseL51csrgemm_numeric_fill_block_per_row_multipass_kernelILj512ELj16ELj2048ELj32Eli21rocsparse_complex_numIfEEEvT4_PKS3_S5_NS_24const_host_device_scalarIT5_EEPKT3_S5_PKS7_SB_S5_SD_S8_SB_S5_SD_SB_S5_PS7_PS9_21rocsparse_index_base_SG_SG_SG_bbb, .Lfunc_end218-_ZN9rocsparseL51csrgemm_numeric_fill_block_per_row_multipass_kernelILj512ELj16ELj2048ELj32Eli21rocsparse_complex_numIfEEEvT4_PKS3_S5_NS_24const_host_device_scalarIT5_EEPKT3_S5_PKS7_SB_S5_SD_S8_SB_S5_SD_SB_S5_PS7_PS9_21rocsparse_index_base_SG_SG_SG_bbb
                                        ; -- End function
	.set _ZN9rocsparseL51csrgemm_numeric_fill_block_per_row_multipass_kernelILj512ELj16ELj2048ELj32Eli21rocsparse_complex_numIfEEEvT4_PKS3_S5_NS_24const_host_device_scalarIT5_EEPKT3_S5_PKS7_SB_S5_SD_S8_SB_S5_SD_SB_S5_PS7_PS9_21rocsparse_index_base_SG_SG_SG_bbb.num_vgpr, 44
	.set _ZN9rocsparseL51csrgemm_numeric_fill_block_per_row_multipass_kernelILj512ELj16ELj2048ELj32Eli21rocsparse_complex_numIfEEEvT4_PKS3_S5_NS_24const_host_device_scalarIT5_EEPKT3_S5_PKS7_SB_S5_SD_S8_SB_S5_SD_SB_S5_PS7_PS9_21rocsparse_index_base_SG_SG_SG_bbb.num_agpr, 0
	.set _ZN9rocsparseL51csrgemm_numeric_fill_block_per_row_multipass_kernelILj512ELj16ELj2048ELj32Eli21rocsparse_complex_numIfEEEvT4_PKS3_S5_NS_24const_host_device_scalarIT5_EEPKT3_S5_PKS7_SB_S5_SD_S8_SB_S5_SD_SB_S5_PS7_PS9_21rocsparse_index_base_SG_SG_SG_bbb.numbered_sgpr, 65
	.set _ZN9rocsparseL51csrgemm_numeric_fill_block_per_row_multipass_kernelILj512ELj16ELj2048ELj32Eli21rocsparse_complex_numIfEEEvT4_PKS3_S5_NS_24const_host_device_scalarIT5_EEPKT3_S5_PKS7_SB_S5_SD_S8_SB_S5_SD_SB_S5_PS7_PS9_21rocsparse_index_base_SG_SG_SG_bbb.num_named_barrier, 0
	.set _ZN9rocsparseL51csrgemm_numeric_fill_block_per_row_multipass_kernelILj512ELj16ELj2048ELj32Eli21rocsparse_complex_numIfEEEvT4_PKS3_S5_NS_24const_host_device_scalarIT5_EEPKT3_S5_PKS7_SB_S5_SD_S8_SB_S5_SD_SB_S5_PS7_PS9_21rocsparse_index_base_SG_SG_SG_bbb.private_seg_size, 0
	.set _ZN9rocsparseL51csrgemm_numeric_fill_block_per_row_multipass_kernelILj512ELj16ELj2048ELj32Eli21rocsparse_complex_numIfEEEvT4_PKS3_S5_NS_24const_host_device_scalarIT5_EEPKT3_S5_PKS7_SB_S5_SD_S8_SB_S5_SD_SB_S5_PS7_PS9_21rocsparse_index_base_SG_SG_SG_bbb.uses_vcc, 1
	.set _ZN9rocsparseL51csrgemm_numeric_fill_block_per_row_multipass_kernelILj512ELj16ELj2048ELj32Eli21rocsparse_complex_numIfEEEvT4_PKS3_S5_NS_24const_host_device_scalarIT5_EEPKT3_S5_PKS7_SB_S5_SD_S8_SB_S5_SD_SB_S5_PS7_PS9_21rocsparse_index_base_SG_SG_SG_bbb.uses_flat_scratch, 0
	.set _ZN9rocsparseL51csrgemm_numeric_fill_block_per_row_multipass_kernelILj512ELj16ELj2048ELj32Eli21rocsparse_complex_numIfEEEvT4_PKS3_S5_NS_24const_host_device_scalarIT5_EEPKT3_S5_PKS7_SB_S5_SD_S8_SB_S5_SD_SB_S5_PS7_PS9_21rocsparse_index_base_SG_SG_SG_bbb.has_dyn_sized_stack, 0
	.set _ZN9rocsparseL51csrgemm_numeric_fill_block_per_row_multipass_kernelILj512ELj16ELj2048ELj32Eli21rocsparse_complex_numIfEEEvT4_PKS3_S5_NS_24const_host_device_scalarIT5_EEPKT3_S5_PKS7_SB_S5_SD_S8_SB_S5_SD_SB_S5_PS7_PS9_21rocsparse_index_base_SG_SG_SG_bbb.has_recursion, 0
	.set _ZN9rocsparseL51csrgemm_numeric_fill_block_per_row_multipass_kernelILj512ELj16ELj2048ELj32Eli21rocsparse_complex_numIfEEEvT4_PKS3_S5_NS_24const_host_device_scalarIT5_EEPKT3_S5_PKS7_SB_S5_SD_S8_SB_S5_SD_SB_S5_PS7_PS9_21rocsparse_index_base_SG_SG_SG_bbb.has_indirect_call, 0
	.section	.AMDGPU.csdata,"",@progbits
; Kernel info:
; codeLenInByte = 2952
; TotalNumSgprs: 67
; NumVgprs: 44
; ScratchSize: 0
; MemoryBound: 0
; FloatMode: 240
; IeeeMode: 1
; LDSByteSize: 18436 bytes/workgroup (compile time only)
; SGPRBlocks: 0
; VGPRBlocks: 2
; NumSGPRsForWavesPerEU: 67
; NumVGPRsForWavesPerEU: 44
; NamedBarCnt: 0
; Occupancy: 16
; WaveLimiterHint : 1
; COMPUTE_PGM_RSRC2:SCRATCH_EN: 0
; COMPUTE_PGM_RSRC2:USER_SGPR: 2
; COMPUTE_PGM_RSRC2:TRAP_HANDLER: 0
; COMPUTE_PGM_RSRC2:TGID_X_EN: 1
; COMPUTE_PGM_RSRC2:TGID_Y_EN: 0
; COMPUTE_PGM_RSRC2:TGID_Z_EN: 0
; COMPUTE_PGM_RSRC2:TIDIG_COMP_CNT: 0
	.section	.text._ZN9rocsparseL51csrgemm_numeric_fill_block_per_row_multipass_kernelILj512ELj16ELj2048ELj64Eli21rocsparse_complex_numIfEEEvT4_PKS3_S5_NS_24const_host_device_scalarIT5_EEPKT3_S5_PKS7_SB_S5_SD_S8_SB_S5_SD_SB_S5_PS7_PS9_21rocsparse_index_base_SG_SG_SG_bbb,"axG",@progbits,_ZN9rocsparseL51csrgemm_numeric_fill_block_per_row_multipass_kernelILj512ELj16ELj2048ELj64Eli21rocsparse_complex_numIfEEEvT4_PKS3_S5_NS_24const_host_device_scalarIT5_EEPKT3_S5_PKS7_SB_S5_SD_S8_SB_S5_SD_SB_S5_PS7_PS9_21rocsparse_index_base_SG_SG_SG_bbb,comdat
	.globl	_ZN9rocsparseL51csrgemm_numeric_fill_block_per_row_multipass_kernelILj512ELj16ELj2048ELj64Eli21rocsparse_complex_numIfEEEvT4_PKS3_S5_NS_24const_host_device_scalarIT5_EEPKT3_S5_PKS7_SB_S5_SD_S8_SB_S5_SD_SB_S5_PS7_PS9_21rocsparse_index_base_SG_SG_SG_bbb ; -- Begin function _ZN9rocsparseL51csrgemm_numeric_fill_block_per_row_multipass_kernelILj512ELj16ELj2048ELj64Eli21rocsparse_complex_numIfEEEvT4_PKS3_S5_NS_24const_host_device_scalarIT5_EEPKT3_S5_PKS7_SB_S5_SD_S8_SB_S5_SD_SB_S5_PS7_PS9_21rocsparse_index_base_SG_SG_SG_bbb
	.p2align	8
	.type	_ZN9rocsparseL51csrgemm_numeric_fill_block_per_row_multipass_kernelILj512ELj16ELj2048ELj64Eli21rocsparse_complex_numIfEEEvT4_PKS3_S5_NS_24const_host_device_scalarIT5_EEPKT3_S5_PKS7_SB_S5_SD_S8_SB_S5_SD_SB_S5_PS7_PS9_21rocsparse_index_base_SG_SG_SG_bbb,@function
_ZN9rocsparseL51csrgemm_numeric_fill_block_per_row_multipass_kernelILj512ELj16ELj2048ELj64Eli21rocsparse_complex_numIfEEEvT4_PKS3_S5_NS_24const_host_device_scalarIT5_EEPKT3_S5_PKS7_SB_S5_SD_S8_SB_S5_SD_SB_S5_PS7_PS9_21rocsparse_index_base_SG_SG_SG_bbb: ; @_ZN9rocsparseL51csrgemm_numeric_fill_block_per_row_multipass_kernelILj512ELj16ELj2048ELj64Eli21rocsparse_complex_numIfEEEvT4_PKS3_S5_NS_24const_host_device_scalarIT5_EEPKT3_S5_PKS7_SB_S5_SD_S8_SB_S5_SD_SB_S5_PS7_PS9_21rocsparse_index_base_SG_SG_SG_bbb
; %bb.0:
	s_clause 0x4
	s_load_b32 s8, s[0:1], 0xa0
	s_load_b128 s[4:7], s[0:1], 0x8
	s_load_b64 s[34:35], s[0:1], 0x38
	s_load_b128 s[20:23], s[0:1], 0x90
	s_load_b64 s[2:3], s[0:1], 0x50
	s_mov_b32 s41, 0
	s_mov_b32 s33, 0
	s_wait_kmcnt 0x0
	s_bitcmp1_b32 s8, 0
	s_cselect_b32 s10, -1, 0
	s_bitcmp1_b32 s8, 16
	s_cselect_b32 s9, -1, 0
	s_delay_alu instid0(SALU_CYCLE_1)
	s_xor_b32 s9, s9, -1
	s_bitcmp0_b32 s8, 0
	s_cbranch_scc1 .LBB219_5
; %bb.1:
	s_load_b64 s[40:41], s[0:1], 0x18
	s_and_not1_b32 vcc_lo, exec_lo, s9
	s_wait_kmcnt 0x0
	s_mov_b32 s33, s40
	s_cbranch_vccnz .LBB219_3
; %bb.2:
	s_load_b32 s33, s[40:41], 0x0
.LBB219_3:
	s_and_not1_b32 vcc_lo, exec_lo, s9
	s_cbranch_vccnz .LBB219_5
; %bb.4:
	s_wait_xcnt 0x0
	s_load_b32 s41, s[40:41], 0x4
.LBB219_5:
	s_clause 0x4
	s_load_b128 s[24:27], s[0:1], 0x80
	s_load_b256 s[12:19], s[0:1], 0x58
	s_load_b128 s[28:31], s[0:1], 0x40
	s_load_b128 s[36:39], s[0:1], 0x20
	s_load_b64 s[42:43], s[0:1], 0x30
	s_bitcmp1_b32 s8, 8
	s_mov_b32 s48, 0
	s_wait_xcnt 0x0
	s_cselect_b32 s40, -1, 0
	s_bfe_u32 s8, s8, 0x10008
	s_mov_b32 s49, 0
	s_cmp_eq_u32 s8, 0
	s_cbranch_scc1 .LBB219_11
; %bb.6:
	v_cndmask_b32_e64 v1, 0, 1, s9
	s_and_not1_b32 vcc_lo, exec_lo, s9
	s_mov_b32 s48, s2
	s_cbranch_vccnz .LBB219_8
; %bb.7:
	s_load_b32 s48, s[2:3], 0x0
.LBB219_8:
	s_delay_alu instid0(VALU_DEP_1)
	v_cmp_ne_u32_e32 vcc_lo, 1, v1
	s_cbranch_vccnz .LBB219_10
; %bb.9:
	s_wait_xcnt 0x0
	s_load_b32 s3, s[2:3], 0x4
.LBB219_10:
	s_wait_kmcnt 0x0
	s_mov_b32 s49, s3
.LBB219_11:
	s_load_b32 s2, s[4:5], 0x0
	s_bfe_u32 s3, ttmp6, 0x4000c
	s_wait_xcnt 0x0
	s_and_b32 s4, ttmp6, 15
	s_add_co_i32 s3, s3, 1
	s_getreg_b32 s5, hwreg(HW_REG_IB_STS2, 6, 4)
	s_mul_i32 s3, ttmp9, s3
	s_mov_b64 s[44:45], 0
	s_add_co_i32 s4, s4, s3
	s_cmp_eq_u32 s5, 0
	s_cselect_b32 s3, ttmp9, s4
	s_and_not1_b32 vcc_lo, exec_lo, s10
	s_wait_kmcnt 0x0
	s_add_co_i32 s2, s2, s3
	s_load_b32 s4, s[6:7], s2 offset:0x0 scale_offset
	s_wait_xcnt 0x0
	s_mov_b32 s7, 0
	s_mov_b64 s[2:3], 0
	s_cbranch_vccz .LBB219_14
; %bb.12:
	s_and_not1_b32 vcc_lo, exec_lo, s10
	s_cbranch_vccz .LBB219_15
.LBB219_13:
	s_load_b32 s50, s[0:1], 0x0
	s_wait_kmcnt 0x0
	s_cmp_lt_i32 s50, 1
	s_cbranch_scc0 .LBB219_16
	s_branch .LBB219_69
.LBB219_14:
	s_wait_kmcnt 0x0
	s_ashr_i32 s5, s4, 31
	s_mov_b32 s6, s20
	s_lshl_b64 s[2:3], s[4:5], 3
	s_delay_alu instid0(SALU_CYCLE_1)
	s_add_nc_u64 s[2:3], s[36:37], s[2:3]
	s_load_b64 s[2:3], s[2:3], 0x0
	s_wait_kmcnt 0x0
	s_sub_nc_u64 s[2:3], s[2:3], s[6:7]
	s_and_not1_b32 vcc_lo, exec_lo, s10
	s_cbranch_vccnz .LBB219_13
.LBB219_15:
	s_wait_kmcnt 0x0
	s_ashr_i32 s5, s4, 31
	s_mov_b32 s9, 0
	s_lshl_b64 s[6:7], s[4:5], 3
	s_mov_b32 s8, s20
	s_add_nc_u64 s[6:7], s[36:37], s[6:7]
	s_load_b64 s[6:7], s[6:7], 0x8
	s_wait_kmcnt 0x0
	s_sub_nc_u64 s[44:45], s[6:7], s[8:9]
	s_load_b32 s50, s[0:1], 0x0
	s_wait_kmcnt 0x0
	s_cmp_lt_i32 s50, 1
	s_cbranch_scc1 .LBB219_69
.LBB219_16:
	v_mbcnt_lo_u32_b32 v8, -1, 0
	v_mov_b32_e32 v3, 0
	s_ashr_i32 s5, s4, 31
	v_dual_lshrrev_b32 v10, 4, v0 :: v_dual_bitop2_b32 v2, 15, v0 bitop3:0x40
	s_delay_alu instid0(VALU_DEP_2)
	v_dual_mov_b32 v11, v3 :: v_dual_bitop2_b32 v9, 8, v8 bitop3:0x14
	v_mov_b32_e32 v1, v3
	s_lshl_b64 s[4:5], s[4:5], 3
	s_mov_b32 s36, s23
	s_add_nc_u64 s[0:1], s[18:19], s[4:5]
	v_add_nc_u64_e32 v[4:5], s[2:3], v[10:11]
	v_cmp_gt_i32_e32 vcc_lo, 32, v9
	v_xor_b32_e32 v11, 4, v8
	s_load_b64 s[6:7], s[0:1], 0x0
	s_mov_b32 s19, 0
	s_mov_b32 s18, s22
	;; [unrolled: 1-line block ×3, first 2 shown]
	s_add_nc_u64 s[46:47], s[12:13], s[4:5]
	v_sub_nc_u64_e64 v[6:7], v[0:1], s[36:37]
	v_cndmask_b32_e32 v1, v8, v9, vcc_lo
	v_cmp_gt_i32_e64 s2, 32, v11
	v_xor_b32_e32 v12, 2, v8
	v_cmp_gt_i64_e32 vcc_lo, s[44:45], v[4:5]
	s_wait_xcnt 0x0
	v_cmp_eq_u32_e64 s0, 0, v0
	v_dual_lshlrev_b32 v33, 3, v0 :: v_dual_bitop2_b32 v31, 28, v10 bitop3:0x40
	v_dual_cndmask_b32 v11, v8, v11, s2 :: v_dual_bitop2_b32 v9, 1, v8 bitop3:0x14
	v_cmp_gt_i32_e64 s2, 32, v12
	v_cmp_gt_u32_e64 s3, 64, v0
	v_cmp_gt_u32_e64 s4, 0x80, v0
	s_delay_alu instid0(VALU_DEP_4)
	v_lshlrev_b32_e32 v28, 2, v11
	v_cmp_gt_u32_e64 s5, 0xc0, v0
	v_cndmask_b32_e64 v12, v8, v12, s2
	v_cmp_gt_i32_e64 s2, 32, v9
	s_wait_kmcnt 0x0
	s_sub_nc_u64 s[12:13], s[6:7], s[18:19]
	v_cmp_gt_u32_e64 s6, 0x100, v0
	v_cmp_gt_u32_e64 s7, 0x140, v0
	;; [unrolled: 1-line block ×3, first 2 shown]
	v_dual_cndmask_b32 v13, v8, v9, s2 :: v_dual_bitop2_b32 v8, 31, v8 bitop3:0x14
	v_lshlrev_b32_e32 v9, 2, v1
	v_cmp_eq_u32_e64 s2, 0x1ff, v0
	v_cmp_gt_u32_e64 s9, 0x1c0, v0
	v_or_b32_e32 v32, 0xfffffe00, v0
	v_mov_b64_e32 v[0:1], s[12:13]
	v_mov_b64_e32 v[10:11], 0
	v_cmp_eq_u32_e64 s1, 15, v2
	v_dual_lshlrev_b32 v29, 2, v12 :: v_dual_lshlrev_b32 v30, 2, v13
	v_lshrrev_b32_e64 v8, v8, -1
	v_dual_mov_b32 v36, 0x800 :: v_dual_mov_b32 v35, v3
	v_mov_b32_e32 v34, 1
	s_mov_b32 s18, s21
	s_and_b32 s22, s10, vcc_lo
	s_add_nc_u64 s[30:31], s[30:31], 4
	s_add_nc_u64 s[16:17], s[16:17], 4
	s_branch .LBB219_18
.LBB219_17:                             ;   in Loop: Header=BB219_18 Depth=1
	s_or_b32 exec_lo, exec_lo, s10
	ds_load_b32 v35, v3 offset:18432
	s_wait_dscnt 0x0
	s_barrier_signal -1
	s_barrier_wait -1
	v_cmp_le_i32_e32 vcc_lo, s50, v35
	v_add_nc_u32_e32 v36, 0x800, v35
	s_cbranch_vccnz .LBB219_69
.LBB219_18:                             ; =>This Loop Header: Depth=1
                                        ;     Child Loop BB219_19 Depth 2
                                        ;     Child Loop BB219_25 Depth 2
                                        ;       Child Loop BB219_31 Depth 3
                                        ;     Child Loop BB219_48 Depth 2
                                        ;     Child Loop BB219_60 Depth 2
	;; [unrolled: 1-line block ×3, first 2 shown]
	v_dual_mov_b32 v12, v33 :: v_dual_mov_b32 v13, v32
	s_mov_b32 s10, 0
.LBB219_19:                             ;   Parent Loop BB219_18 Depth=1
                                        ; =>  This Inner Loop Header: Depth=2
	ds_store_b8 v13, v3 offset:16896
	v_add_nc_u32_e32 v13, 0x200, v13
	ds_store_b64 v12, v[10:11]
	v_add_nc_u32_e32 v12, 0x1000, v12
	v_cmp_lt_u32_e32 vcc_lo, 0x5ff, v13
	s_or_b32 s10, vcc_lo, s10
	s_delay_alu instid0(SALU_CYCLE_1)
	s_and_not1_b32 exec_lo, exec_lo, s10
	s_cbranch_execnz .LBB219_19
; %bb.20:                               ;   in Loop: Header=BB219_18 Depth=1
	s_or_b32 exec_lo, exec_lo, s10
	s_and_saveexec_b32 s10, s0
; %bb.21:                               ;   in Loop: Header=BB219_18 Depth=1
	v_mov_b32_e32 v12, s50
	ds_store_b32 v3, v12 offset:18432
; %bb.22:                               ;   in Loop: Header=BB219_18 Depth=1
	s_or_b32 exec_lo, exec_lo, s10
	v_mov_b32_e32 v37, s50
	s_wait_dscnt 0x0
	s_barrier_signal -1
	s_barrier_wait -1
	s_and_saveexec_b32 s13, s22
	s_cbranch_execz .LBB219_44
; %bb.23:                               ;   in Loop: Header=BB219_18 Depth=1
	v_mov_b64_e32 v[12:13], v[4:5]
	v_cmp_ne_u32_e64 s10, 0, v35
	v_mov_b32_e32 v37, s50
	s_mov_b32 s51, 0
	s_branch .LBB219_25
.LBB219_24:                             ;   in Loop: Header=BB219_25 Depth=2
	s_wait_xcnt 0x0
	s_or_b32 exec_lo, exec_lo, s11
	v_add_nc_u64_e32 v[12:13], 32, v[12:13]
	s_delay_alu instid0(VALU_DEP_1) | instskip(SKIP_1) | instid1(SALU_CYCLE_1)
	v_cmp_le_i64_e32 vcc_lo, s[44:45], v[12:13]
	s_or_b32 s51, vcc_lo, s51
	s_and_not1_b32 exec_lo, exec_lo, s51
	s_cbranch_execz .LBB219_43
.LBB219_25:                             ;   Parent Loop BB219_18 Depth=1
                                        ; =>  This Loop Header: Depth=2
                                        ;       Child Loop BB219_31 Depth 3
	v_lshl_add_u64 v[14:15], v[12:13], 2, s[38:39]
	s_and_b32 vcc_lo, exec_lo, s10
	global_load_b32 v16, v[14:15], off
	s_wait_xcnt 0x0
	v_lshl_add_u64 v[14:15], v[12:13], 3, s[42:43]
	global_load_b64 v[24:25], v[14:15], off
	s_wait_xcnt 0x0
	v_lshl_add_u64 v[14:15], v[12:13], 3, s[26:27]
	s_wait_loadcnt 0x1
	v_subrev_nc_u32_e32 v16, s20, v16
	s_delay_alu instid0(VALU_DEP_1)
	v_ashrrev_i32_e32 v17, 31, v16
	s_cbranch_vccz .LBB219_42
; %bb.26:                               ;   in Loop: Header=BB219_25 Depth=2
	global_load_b64 v[20:21], v[14:15], off
	s_cbranch_execnz .LBB219_28
.LBB219_27:                             ;   in Loop: Header=BB219_25 Depth=2
	s_wait_dscnt 0x0
	global_load_b64 v[18:19], v16, s[34:35] scale_offset
	s_wait_loadcnt 0x0
	v_sub_nc_u64_e64 v[20:21], v[18:19], s[18:19]
.LBB219_28:                             ;   in Loop: Header=BB219_25 Depth=2
	s_wait_xcnt 0x0
	v_lshl_add_u64 v[16:17], v[16:17], 3, s[34:35]
	s_mov_b32 s52, exec_lo
	global_load_b64 v[16:17], v[16:17], off offset:8
	s_wait_loadcnt_dscnt 0x0
	v_sub_nc_u64_e64 v[18:19], v[16:17], s[18:19]
	s_wait_xcnt 0x0
	v_add_nc_u64_e32 v[16:17], v[20:21], v[2:3]
	s_delay_alu instid0(VALU_DEP_1)
	v_cmpx_lt_i64_e64 v[16:17], v[18:19]
	s_cbranch_execz .LBB219_40
; %bb.29:                               ;   in Loop: Header=BB219_25 Depth=2
	v_mul_f32_e64 v38, v25, -s41
	v_mul_f32_e32 v39, s33, v25
	v_mov_b64_e32 v[26:27], v[16:17]
	v_lshl_add_u64 v[20:21], v[16:17], 2, s[28:29]
	v_lshl_add_u64 v[22:23], v[16:17], 3, s[30:31]
	s_delay_alu instid0(VALU_DEP_4)
	v_dual_fmac_f32 v38, s33, v24 :: v_dual_fmac_f32 v39, s41, v24
	s_mov_b32 s54, 0
                                        ; implicit-def: $sgpr53
                                        ; implicit-def: $sgpr55
	s_branch .LBB219_31
.LBB219_30:                             ;   in Loop: Header=BB219_31 Depth=3
	s_or_b32 exec_lo, exec_lo, s56
	s_delay_alu instid0(SALU_CYCLE_1) | instskip(NEXT) | instid1(SALU_CYCLE_1)
	s_and_b32 s11, exec_lo, s12
	s_or_b32 s54, s11, s54
	s_and_not1_b32 s11, s53, exec_lo
	s_and_b32 s12, s55, exec_lo
	s_delay_alu instid0(SALU_CYCLE_1)
	s_or_b32 s53, s11, s12
	s_and_not1_b32 exec_lo, exec_lo, s54
	s_cbranch_execz .LBB219_37
.LBB219_31:                             ;   Parent Loop BB219_18 Depth=1
                                        ;     Parent Loop BB219_25 Depth=2
                                        ; =>    This Inner Loop Header: Depth=3
	global_load_b32 v24, v[20:21], off
	s_wait_loadcnt 0x0
	v_subrev_nc_u32_e32 v40, s21, v24
	v_mov_b64_e32 v[24:25], v[26:27]
	s_delay_alu instid0(VALU_DEP_2)
	v_cmp_lt_i32_e64 s11, v40, v35
	v_cmp_ge_i32_e64 s12, v40, v36
	v_cmp_lt_i32_e32 vcc_lo, v40, v36
	s_or_b32 s12, s11, s12
	s_mov_b32 s11, 0
	s_wait_xcnt 0x0
	s_and_saveexec_b32 s56, s12
	s_delay_alu instid0(SALU_CYCLE_1)
	s_xor_b32 s12, exec_lo, s56
; %bb.32:                               ;   in Loop: Header=BB219_31 Depth=3
	s_and_b32 s11, vcc_lo, exec_lo
; %bb.33:                               ;   in Loop: Header=BB219_31 Depth=3
	s_and_not1_saveexec_b32 s12, s12
	s_cbranch_execz .LBB219_35
; %bb.34:                               ;   in Loop: Header=BB219_31 Depth=3
	global_load_b64 v[26:27], v[22:23], off offset:-4
	s_or_b32 s11, s11, exec_lo
	s_wait_loadcnt 0x0
	v_mul_f32_e64 v42, v27, -v39
	v_sub_nc_u32_e32 v41, v40, v35
	s_delay_alu instid0(VALU_DEP_2) | instskip(NEXT) | instid1(VALU_DEP_1)
	v_dual_mul_f32 v27, v38, v27 :: v_dual_fmac_f32 v42, v38, v26
	v_dual_lshlrev_b32 v43, 3, v41 :: v_dual_fmac_f32 v27, v39, v26
	ds_store_b8 v41, v34 offset:16384
	ds_add_f32 v43, v42
	ds_add_f32 v43, v27 offset:4
.LBB219_35:                             ;   in Loop: Header=BB219_31 Depth=3
	s_wait_xcnt 0x0
	s_or_b32 exec_lo, exec_lo, s12
	s_mov_b32 s12, -1
	s_or_b32 s55, s55, exec_lo
                                        ; implicit-def: $vgpr26_vgpr27
	s_and_saveexec_b32 s56, s11
	s_cbranch_execz .LBB219_30
; %bb.36:                               ;   in Loop: Header=BB219_31 Depth=3
	v_add_nc_u64_e32 v[26:27], 16, v[24:25]
	v_add_nc_u64_e32 v[20:21], 64, v[20:21]
	;; [unrolled: 1-line block ×3, first 2 shown]
	s_and_not1_b32 s55, s55, exec_lo
	s_delay_alu instid0(VALU_DEP_3)
	v_cmp_ge_i64_e32 vcc_lo, v[26:27], v[18:19]
	s_or_not1_b32 s12, vcc_lo, exec_lo
	s_branch .LBB219_30
.LBB219_37:                             ;   in Loop: Header=BB219_25 Depth=2
	s_or_b32 exec_lo, exec_lo, s54
	s_and_saveexec_b32 s11, s53
	s_delay_alu instid0(SALU_CYCLE_1)
	s_xor_b32 s11, exec_lo, s11
; %bb.38:                               ;   in Loop: Header=BB219_25 Depth=2
	v_mov_b64_e32 v[16:17], v[24:25]
	v_min_i32_e32 v37, v40, v37
; %bb.39:                               ;   in Loop: Header=BB219_25 Depth=2
	s_or_b32 exec_lo, exec_lo, s11
.LBB219_40:                             ;   in Loop: Header=BB219_25 Depth=2
	s_delay_alu instid0(SALU_CYCLE_1)
	s_or_b32 exec_lo, exec_lo, s52
	ds_bpermute_b32 v18, v9, v16
	ds_bpermute_b32 v19, v9, v17
	s_wait_dscnt 0x0
	v_min_i64 v[16:17], v[18:19], v[16:17]
	ds_bpermute_b32 v18, v28, v16
	ds_bpermute_b32 v19, v28, v17
	s_wait_dscnt 0x0
	v_min_i64 v[16:17], v[18:19], v[16:17]
	;; [unrolled: 4-line block ×3, first 2 shown]
	ds_bpermute_b32 v18, v30, v16
	ds_bpermute_b32 v19, v30, v17
	s_and_saveexec_b32 s11, s1
	s_cbranch_execz .LBB219_24
; %bb.41:                               ;   in Loop: Header=BB219_25 Depth=2
	s_wait_dscnt 0x0
	v_min_i64 v[16:17], v[18:19], v[16:17]
	global_store_b64 v[14:15], v[16:17], off
	s_branch .LBB219_24
.LBB219_42:                             ;   in Loop: Header=BB219_25 Depth=2
                                        ; implicit-def: $vgpr20_vgpr21
	s_branch .LBB219_27
.LBB219_43:                             ;   in Loop: Header=BB219_18 Depth=1
	s_or_b32 exec_lo, exec_lo, s51
.LBB219_44:                             ;   in Loop: Header=BB219_18 Depth=1
	s_delay_alu instid0(SALU_CYCLE_1) | instskip(NEXT) | instid1(SALU_CYCLE_1)
	s_or_b32 exec_lo, exec_lo, s13
	s_and_not1_b32 vcc_lo, exec_lo, s40
	s_cbranch_vccnz .LBB219_58
; %bb.45:                               ;   in Loop: Header=BB219_18 Depth=1
	s_load_b128 s[52:55], s[46:47], 0x0
	s_mov_b32 s51, exec_lo
	s_wait_kmcnt 0x0
	v_add_nc_u64_e32 v[12:13], s[52:53], v[6:7]
	s_sub_nc_u64 s[12:13], s[54:55], s[36:37]
	s_delay_alu instid0(VALU_DEP_1) | instid1(SALU_CYCLE_1)
	v_cmpx_gt_i64_e64 s[12:13], v[12:13]
	s_cbranch_execz .LBB219_57
; %bb.46:                               ;   in Loop: Header=BB219_18 Depth=1
	v_lshl_add_u64 v[14:15], v[12:13], 2, s[14:15]
	v_lshl_add_u64 v[16:17], v[12:13], 3, s[16:17]
	s_mov_b32 s52, 0
                                        ; implicit-def: $sgpr53
                                        ; implicit-def: $sgpr54
	s_branch .LBB219_48
.LBB219_47:                             ;   in Loop: Header=BB219_48 Depth=2
	s_or_b32 exec_lo, exec_lo, s55
	s_delay_alu instid0(SALU_CYCLE_1) | instskip(NEXT) | instid1(SALU_CYCLE_1)
	s_and_b32 s10, exec_lo, s11
	s_or_b32 s52, s10, s52
	s_and_not1_b32 s10, s53, exec_lo
	s_and_b32 s11, s54, exec_lo
	s_delay_alu instid0(SALU_CYCLE_1)
	s_or_b32 s53, s10, s11
	s_and_not1_b32 exec_lo, exec_lo, s52
	s_cbranch_execz .LBB219_54
.LBB219_48:                             ;   Parent Loop BB219_18 Depth=1
                                        ; =>  This Inner Loop Header: Depth=2
	s_wait_dscnt 0x1
	global_load_b32 v18, v[14:15], off
	s_wait_loadcnt 0x0
	v_subrev_nc_u32_e32 v18, s23, v18
	s_delay_alu instid0(VALU_DEP_1)
	v_cmp_lt_i32_e64 s10, v18, v35
	v_cmp_ge_i32_e64 s11, v18, v36
	v_cmp_lt_i32_e32 vcc_lo, v18, v36
	s_or_b32 s11, s10, s11
	s_mov_b32 s10, 0
	s_wait_xcnt 0x0
	s_and_saveexec_b32 s55, s11
	s_delay_alu instid0(SALU_CYCLE_1)
	s_xor_b32 s11, exec_lo, s55
; %bb.49:                               ;   in Loop: Header=BB219_48 Depth=2
	s_and_b32 s10, vcc_lo, exec_lo
; %bb.50:                               ;   in Loop: Header=BB219_48 Depth=2
	s_and_not1_saveexec_b32 s11, s11
	s_cbranch_execz .LBB219_52
; %bb.51:                               ;   in Loop: Header=BB219_48 Depth=2
	global_load_b64 v[20:21], v[16:17], off offset:-4
	s_wait_dscnt 0x0
	v_sub_nc_u32_e32 v19, v18, v35
	s_or_b32 s10, s10, exec_lo
	s_wait_loadcnt 0x0
	v_mul_f32_e64 v22, v21, -s49
	s_delay_alu instid0(VALU_DEP_2)
	v_dual_mul_f32 v21, s48, v21 :: v_dual_lshlrev_b32 v23, 3, v19
	ds_store_b8 v19, v34 offset:16384
	v_dual_fmac_f32 v22, s48, v20 :: v_dual_fmac_f32 v21, s49, v20
	ds_add_f32 v23, v22
	ds_add_f32 v23, v21 offset:4
.LBB219_52:                             ;   in Loop: Header=BB219_48 Depth=2
	s_wait_xcnt 0x0
	s_or_b32 exec_lo, exec_lo, s11
	s_mov_b32 s11, -1
	s_or_b32 s54, s54, exec_lo
	s_and_saveexec_b32 s55, s10
	s_cbranch_execz .LBB219_47
; %bb.53:                               ;   in Loop: Header=BB219_48 Depth=2
	v_add_nc_u64_e32 v[12:13], 0x200, v[12:13]
	v_add_nc_u64_e32 v[14:15], 0x800, v[14:15]
	;; [unrolled: 1-line block ×3, first 2 shown]
	s_and_not1_b32 s54, s54, exec_lo
	s_delay_alu instid0(VALU_DEP_3)
	v_cmp_le_i64_e32 vcc_lo, s[12:13], v[12:13]
	s_or_not1_b32 s11, vcc_lo, exec_lo
	s_branch .LBB219_47
.LBB219_54:                             ;   in Loop: Header=BB219_18 Depth=1
	s_or_b32 exec_lo, exec_lo, s52
	s_and_saveexec_b32 s10, s53
	s_delay_alu instid0(SALU_CYCLE_1)
	s_xor_b32 s10, exec_lo, s10
; %bb.55:                               ;   in Loop: Header=BB219_18 Depth=1
	v_min_i32_e32 v37, v18, v37
; %bb.56:                               ;   in Loop: Header=BB219_18 Depth=1
	s_or_b32 exec_lo, exec_lo, s10
.LBB219_57:                             ;   in Loop: Header=BB219_18 Depth=1
	s_delay_alu instid0(SALU_CYCLE_1)
	s_or_b32 exec_lo, exec_lo, s51
.LBB219_58:                             ;   in Loop: Header=BB219_18 Depth=1
	ds_bpermute_b32 v12, v9, v37
	s_wait_dscnt 0x0
	v_min_i32_e32 v12, v12, v37
	ds_bpermute_b32 v13, v28, v12
	s_wait_dscnt 0x0
	v_min_i32_e32 v12, v13, v12
	;; [unrolled: 3-line block ×3, first 2 shown]
	ds_bpermute_b32 v13, v30, v12
	s_and_saveexec_b32 s10, s1
	s_cbranch_execz .LBB219_63
; %bb.59:                               ;   in Loop: Header=BB219_18 Depth=1
	s_wait_dscnt 0x0
	v_min_i32_e32 v12, v13, v12
	s_mov_b32 s12, exec_lo
	s_brev_b32 s11, -2
.LBB219_60:                             ;   Parent Loop BB219_18 Depth=1
                                        ; =>  This Inner Loop Header: Depth=2
	s_ctz_i32_b32 s13, s12
	s_delay_alu instid0(VALU_DEP_1) | instid1(SALU_CYCLE_1)
	v_readlane_b32 s51, v12, s13
	s_lshl_b32 s13, 1, s13
	s_delay_alu instid0(SALU_CYCLE_1)
	s_and_not1_b32 s12, s12, s13
	s_min_i32 s11, s11, s51
	s_cmp_lg_u32 s12, 0
	s_cbranch_scc1 .LBB219_60
; %bb.61:                               ;   in Loop: Header=BB219_18 Depth=1
	v_mbcnt_lo_u32_b32 v12, exec_lo, 0
	s_mov_b32 s12, exec_lo
	s_delay_alu instid0(VALU_DEP_1)
	v_cmpx_eq_u32_e32 0, v12
	s_xor_b32 s12, exec_lo, s12
; %bb.62:                               ;   in Loop: Header=BB219_18 Depth=1
	v_mov_b32_e32 v12, s11
	ds_min_i32 v3, v12 offset:18432
.LBB219_63:                             ;   in Loop: Header=BB219_18 Depth=1
	s_or_b32 exec_lo, exec_lo, s10
	v_dual_mov_b32 v16, v33 :: v_dual_mov_b32 v17, v32
	s_mov_b32 s10, 0
	s_wait_storecnt_dscnt 0x0
	s_barrier_signal -1
	s_barrier_wait -1
	s_branch .LBB219_65
.LBB219_64:                             ;   in Loop: Header=BB219_65 Depth=2
	s_or_b32 exec_lo, exec_lo, s11
	s_wait_storecnt_dscnt 0x0
	s_barrier_signal -1
	s_barrier_wait -1
	ds_load_b32 v12, v3 offset:28
	v_add_nc_u32_e32 v17, 0x200, v17
	v_add_nc_u32_e32 v16, 0x1000, v16
	s_delay_alu instid0(VALU_DEP_2) | instskip(SKIP_3) | instid1(VALU_DEP_1)
	v_cmp_lt_u32_e32 vcc_lo, 0x5ff, v17
	s_or_b32 s10, vcc_lo, s10
	s_wait_dscnt 0x0
	v_ashrrev_i32_e32 v13, 31, v12
	v_add_nc_u64_e32 v[0:1], v[0:1], v[12:13]
	s_and_not1_b32 exec_lo, exec_lo, s10
	s_cbranch_execz .LBB219_17
.LBB219_65:                             ;   Parent Loop BB219_18 Depth=1
                                        ; =>  This Inner Loop Header: Depth=2
	ds_load_u8 v14, v17 offset:16896
	ds_load_b64 v[12:13], v16
	s_wait_dscnt 0x0
	s_barrier_signal -1
	s_barrier_wait -1
	v_cmp_ne_u16_e32 vcc_lo, 0, v14
	s_bcnt1_i32_b32 s11, vcc_lo
	s_delay_alu instid0(SALU_CYCLE_1)
	v_mov_b32_e32 v15, s11
	s_mov_b32 s11, exec_lo
	ds_store_b32 v31, v15
	s_wait_dscnt 0x0
	s_barrier_signal -1
	s_barrier_wait -1
	ds_load_b128 v[18:21], v3
	ds_load_b96 v[22:24], v3 offset:16
	v_and_b32_e32 v15, vcc_lo, v8
	s_wait_dscnt 0x1
	v_cndmask_b32_e64 v18, v18, 0, s3
	v_cndmask_b32_e64 v19, v19, 0, s4
	;; [unrolled: 1-line block ×3, first 2 shown]
	s_delay_alu instid0(VALU_DEP_3) | instskip(SKIP_3) | instid1(VALU_DEP_3)
	v_bcnt_u32_b32 v15, v15, v18
	v_cndmask_b32_e64 v18, v21, 0, s6
	s_wait_dscnt 0x0
	v_cndmask_b32_e64 v21, v22, 0, s7
	v_add3_u32 v15, v15, v19, v20
	v_cndmask_b32_e64 v19, v23, 0, s8
	v_cndmask_b32_e64 v20, v24, 0, s9
	s_delay_alu instid0(VALU_DEP_3) | instskip(SKIP_1) | instid1(VALU_DEP_2)
	v_add3_u32 v15, v15, v18, v21
	v_and_b32_e32 v18, 1, v14
	v_add3_u32 v14, v15, v19, v20
	s_delay_alu instid0(VALU_DEP_2)
	v_cmpx_eq_u32_e32 1, v18
	s_cbranch_execz .LBB219_67
; %bb.66:                               ;   in Loop: Header=BB219_65 Depth=2
	v_lshl_add_u64 v[18:19], v[0:1], 3, s[24:25]
	s_delay_alu instid0(VALU_DEP_3) | instskip(NEXT) | instid1(VALU_DEP_1)
	v_ashrrev_i32_e32 v15, 31, v14
	v_lshl_add_u64 v[18:19], v[14:15], 3, v[18:19]
	global_store_b64 v[18:19], v[12:13], off offset:-8
.LBB219_67:                             ;   in Loop: Header=BB219_65 Depth=2
	s_wait_xcnt 0x0
	s_or_b32 exec_lo, exec_lo, s11
	s_and_saveexec_b32 s11, s2
	s_cbranch_execz .LBB219_64
; %bb.68:                               ;   in Loop: Header=BB219_65 Depth=2
	ds_store_b32 v3, v14 offset:28
	s_branch .LBB219_64
.LBB219_69:
	s_endpgm
	.section	.rodata,"a",@progbits
	.p2align	6, 0x0
	.amdhsa_kernel _ZN9rocsparseL51csrgemm_numeric_fill_block_per_row_multipass_kernelILj512ELj16ELj2048ELj64Eli21rocsparse_complex_numIfEEEvT4_PKS3_S5_NS_24const_host_device_scalarIT5_EEPKT3_S5_PKS7_SB_S5_SD_S8_SB_S5_SD_SB_S5_PS7_PS9_21rocsparse_index_base_SG_SG_SG_bbb
		.amdhsa_group_segment_fixed_size 18436
		.amdhsa_private_segment_fixed_size 0
		.amdhsa_kernarg_size 164
		.amdhsa_user_sgpr_count 2
		.amdhsa_user_sgpr_dispatch_ptr 0
		.amdhsa_user_sgpr_queue_ptr 0
		.amdhsa_user_sgpr_kernarg_segment_ptr 1
		.amdhsa_user_sgpr_dispatch_id 0
		.amdhsa_user_sgpr_kernarg_preload_length 0
		.amdhsa_user_sgpr_kernarg_preload_offset 0
		.amdhsa_user_sgpr_private_segment_size 0
		.amdhsa_wavefront_size32 1
		.amdhsa_uses_dynamic_stack 0
		.amdhsa_enable_private_segment 0
		.amdhsa_system_sgpr_workgroup_id_x 1
		.amdhsa_system_sgpr_workgroup_id_y 0
		.amdhsa_system_sgpr_workgroup_id_z 0
		.amdhsa_system_sgpr_workgroup_info 0
		.amdhsa_system_vgpr_workitem_id 0
		.amdhsa_next_free_vgpr 44
		.amdhsa_next_free_sgpr 57
		.amdhsa_named_barrier_count 0
		.amdhsa_reserve_vcc 1
		.amdhsa_float_round_mode_32 0
		.amdhsa_float_round_mode_16_64 0
		.amdhsa_float_denorm_mode_32 3
		.amdhsa_float_denorm_mode_16_64 3
		.amdhsa_fp16_overflow 0
		.amdhsa_memory_ordered 1
		.amdhsa_forward_progress 1
		.amdhsa_inst_pref_size 22
		.amdhsa_round_robin_scheduling 0
		.amdhsa_exception_fp_ieee_invalid_op 0
		.amdhsa_exception_fp_denorm_src 0
		.amdhsa_exception_fp_ieee_div_zero 0
		.amdhsa_exception_fp_ieee_overflow 0
		.amdhsa_exception_fp_ieee_underflow 0
		.amdhsa_exception_fp_ieee_inexact 0
		.amdhsa_exception_int_div_zero 0
	.end_amdhsa_kernel
	.section	.text._ZN9rocsparseL51csrgemm_numeric_fill_block_per_row_multipass_kernelILj512ELj16ELj2048ELj64Eli21rocsparse_complex_numIfEEEvT4_PKS3_S5_NS_24const_host_device_scalarIT5_EEPKT3_S5_PKS7_SB_S5_SD_S8_SB_S5_SD_SB_S5_PS7_PS9_21rocsparse_index_base_SG_SG_SG_bbb,"axG",@progbits,_ZN9rocsparseL51csrgemm_numeric_fill_block_per_row_multipass_kernelILj512ELj16ELj2048ELj64Eli21rocsparse_complex_numIfEEEvT4_PKS3_S5_NS_24const_host_device_scalarIT5_EEPKT3_S5_PKS7_SB_S5_SD_S8_SB_S5_SD_SB_S5_PS7_PS9_21rocsparse_index_base_SG_SG_SG_bbb,comdat
.Lfunc_end219:
	.size	_ZN9rocsparseL51csrgemm_numeric_fill_block_per_row_multipass_kernelILj512ELj16ELj2048ELj64Eli21rocsparse_complex_numIfEEEvT4_PKS3_S5_NS_24const_host_device_scalarIT5_EEPKT3_S5_PKS7_SB_S5_SD_S8_SB_S5_SD_SB_S5_PS7_PS9_21rocsparse_index_base_SG_SG_SG_bbb, .Lfunc_end219-_ZN9rocsparseL51csrgemm_numeric_fill_block_per_row_multipass_kernelILj512ELj16ELj2048ELj64Eli21rocsparse_complex_numIfEEEvT4_PKS3_S5_NS_24const_host_device_scalarIT5_EEPKT3_S5_PKS7_SB_S5_SD_S8_SB_S5_SD_SB_S5_PS7_PS9_21rocsparse_index_base_SG_SG_SG_bbb
                                        ; -- End function
	.set _ZN9rocsparseL51csrgemm_numeric_fill_block_per_row_multipass_kernelILj512ELj16ELj2048ELj64Eli21rocsparse_complex_numIfEEEvT4_PKS3_S5_NS_24const_host_device_scalarIT5_EEPKT3_S5_PKS7_SB_S5_SD_S8_SB_S5_SD_SB_S5_PS7_PS9_21rocsparse_index_base_SG_SG_SG_bbb.num_vgpr, 44
	.set _ZN9rocsparseL51csrgemm_numeric_fill_block_per_row_multipass_kernelILj512ELj16ELj2048ELj64Eli21rocsparse_complex_numIfEEEvT4_PKS3_S5_NS_24const_host_device_scalarIT5_EEPKT3_S5_PKS7_SB_S5_SD_S8_SB_S5_SD_SB_S5_PS7_PS9_21rocsparse_index_base_SG_SG_SG_bbb.num_agpr, 0
	.set _ZN9rocsparseL51csrgemm_numeric_fill_block_per_row_multipass_kernelILj512ELj16ELj2048ELj64Eli21rocsparse_complex_numIfEEEvT4_PKS3_S5_NS_24const_host_device_scalarIT5_EEPKT3_S5_PKS7_SB_S5_SD_S8_SB_S5_SD_SB_S5_PS7_PS9_21rocsparse_index_base_SG_SG_SG_bbb.numbered_sgpr, 57
	.set _ZN9rocsparseL51csrgemm_numeric_fill_block_per_row_multipass_kernelILj512ELj16ELj2048ELj64Eli21rocsparse_complex_numIfEEEvT4_PKS3_S5_NS_24const_host_device_scalarIT5_EEPKT3_S5_PKS7_SB_S5_SD_S8_SB_S5_SD_SB_S5_PS7_PS9_21rocsparse_index_base_SG_SG_SG_bbb.num_named_barrier, 0
	.set _ZN9rocsparseL51csrgemm_numeric_fill_block_per_row_multipass_kernelILj512ELj16ELj2048ELj64Eli21rocsparse_complex_numIfEEEvT4_PKS3_S5_NS_24const_host_device_scalarIT5_EEPKT3_S5_PKS7_SB_S5_SD_S8_SB_S5_SD_SB_S5_PS7_PS9_21rocsparse_index_base_SG_SG_SG_bbb.private_seg_size, 0
	.set _ZN9rocsparseL51csrgemm_numeric_fill_block_per_row_multipass_kernelILj512ELj16ELj2048ELj64Eli21rocsparse_complex_numIfEEEvT4_PKS3_S5_NS_24const_host_device_scalarIT5_EEPKT3_S5_PKS7_SB_S5_SD_S8_SB_S5_SD_SB_S5_PS7_PS9_21rocsparse_index_base_SG_SG_SG_bbb.uses_vcc, 1
	.set _ZN9rocsparseL51csrgemm_numeric_fill_block_per_row_multipass_kernelILj512ELj16ELj2048ELj64Eli21rocsparse_complex_numIfEEEvT4_PKS3_S5_NS_24const_host_device_scalarIT5_EEPKT3_S5_PKS7_SB_S5_SD_S8_SB_S5_SD_SB_S5_PS7_PS9_21rocsparse_index_base_SG_SG_SG_bbb.uses_flat_scratch, 0
	.set _ZN9rocsparseL51csrgemm_numeric_fill_block_per_row_multipass_kernelILj512ELj16ELj2048ELj64Eli21rocsparse_complex_numIfEEEvT4_PKS3_S5_NS_24const_host_device_scalarIT5_EEPKT3_S5_PKS7_SB_S5_SD_S8_SB_S5_SD_SB_S5_PS7_PS9_21rocsparse_index_base_SG_SG_SG_bbb.has_dyn_sized_stack, 0
	.set _ZN9rocsparseL51csrgemm_numeric_fill_block_per_row_multipass_kernelILj512ELj16ELj2048ELj64Eli21rocsparse_complex_numIfEEEvT4_PKS3_S5_NS_24const_host_device_scalarIT5_EEPKT3_S5_PKS7_SB_S5_SD_S8_SB_S5_SD_SB_S5_PS7_PS9_21rocsparse_index_base_SG_SG_SG_bbb.has_recursion, 0
	.set _ZN9rocsparseL51csrgemm_numeric_fill_block_per_row_multipass_kernelILj512ELj16ELj2048ELj64Eli21rocsparse_complex_numIfEEEvT4_PKS3_S5_NS_24const_host_device_scalarIT5_EEPKT3_S5_PKS7_SB_S5_SD_S8_SB_S5_SD_SB_S5_PS7_PS9_21rocsparse_index_base_SG_SG_SG_bbb.has_indirect_call, 0
	.section	.AMDGPU.csdata,"",@progbits
; Kernel info:
; codeLenInByte = 2720
; TotalNumSgprs: 59
; NumVgprs: 44
; ScratchSize: 0
; MemoryBound: 0
; FloatMode: 240
; IeeeMode: 1
; LDSByteSize: 18436 bytes/workgroup (compile time only)
; SGPRBlocks: 0
; VGPRBlocks: 2
; NumSGPRsForWavesPerEU: 59
; NumVGPRsForWavesPerEU: 44
; NamedBarCnt: 0
; Occupancy: 16
; WaveLimiterHint : 1
; COMPUTE_PGM_RSRC2:SCRATCH_EN: 0
; COMPUTE_PGM_RSRC2:USER_SGPR: 2
; COMPUTE_PGM_RSRC2:TRAP_HANDLER: 0
; COMPUTE_PGM_RSRC2:TGID_X_EN: 1
; COMPUTE_PGM_RSRC2:TGID_Y_EN: 0
; COMPUTE_PGM_RSRC2:TGID_Z_EN: 0
; COMPUTE_PGM_RSRC2:TIDIG_COMP_CNT: 0
	.section	.text._ZN9rocsparseL38csrgemm_numeric_fill_wf_per_row_kernelILj256ELj8ELj16ELj137Eli21rocsparse_complex_numIdEEEvT4_S3_PKS3_S5_NS_24const_host_device_scalarIT5_EEPKT3_S5_PKS7_SB_S5_SD_S8_SB_S5_SD_SB_S5_PS7_21rocsparse_index_base_SF_SF_SF_bbb,"axG",@progbits,_ZN9rocsparseL38csrgemm_numeric_fill_wf_per_row_kernelILj256ELj8ELj16ELj137Eli21rocsparse_complex_numIdEEEvT4_S3_PKS3_S5_NS_24const_host_device_scalarIT5_EEPKT3_S5_PKS7_SB_S5_SD_S8_SB_S5_SD_SB_S5_PS7_21rocsparse_index_base_SF_SF_SF_bbb,comdat
	.globl	_ZN9rocsparseL38csrgemm_numeric_fill_wf_per_row_kernelILj256ELj8ELj16ELj137Eli21rocsparse_complex_numIdEEEvT4_S3_PKS3_S5_NS_24const_host_device_scalarIT5_EEPKT3_S5_PKS7_SB_S5_SD_S8_SB_S5_SD_SB_S5_PS7_21rocsparse_index_base_SF_SF_SF_bbb ; -- Begin function _ZN9rocsparseL38csrgemm_numeric_fill_wf_per_row_kernelILj256ELj8ELj16ELj137Eli21rocsparse_complex_numIdEEEvT4_S3_PKS3_S5_NS_24const_host_device_scalarIT5_EEPKT3_S5_PKS7_SB_S5_SD_S8_SB_S5_SD_SB_S5_PS7_21rocsparse_index_base_SF_SF_SF_bbb
	.p2align	8
	.type	_ZN9rocsparseL38csrgemm_numeric_fill_wf_per_row_kernelILj256ELj8ELj16ELj137Eli21rocsparse_complex_numIdEEEvT4_S3_PKS3_S5_NS_24const_host_device_scalarIT5_EEPKT3_S5_PKS7_SB_S5_SD_S8_SB_S5_SD_SB_S5_PS7_21rocsparse_index_base_SF_SF_SF_bbb,@function
_ZN9rocsparseL38csrgemm_numeric_fill_wf_per_row_kernelILj256ELj8ELj16ELj137Eli21rocsparse_complex_numIdEEEvT4_S3_PKS3_S5_NS_24const_host_device_scalarIT5_EEPKT3_S5_PKS7_SB_S5_SD_S8_SB_S5_SD_SB_S5_PS7_21rocsparse_index_base_SF_SF_SF_bbb: ; @_ZN9rocsparseL38csrgemm_numeric_fill_wf_per_row_kernelILj256ELj8ELj16ELj137Eli21rocsparse_complex_numIdEEEvT4_S3_PKS3_S5_NS_24const_host_device_scalarIT5_EEPKT3_S5_PKS7_SB_S5_SD_S8_SB_S5_SD_SB_S5_PS7_21rocsparse_index_base_SF_SF_SF_bbb
; %bb.0:
	s_clause 0x3
	s_load_b32 s3, s[0:1], 0xa8
	s_load_b128 s[8:11], s[0:1], 0x18
	s_load_b128 s[4:7], s[0:1], 0x58
	;; [unrolled: 1-line block ×3, first 2 shown]
	v_mov_b64_e32 v[4:5], 0
	v_mov_b64_e32 v[10:11], 0
	;; [unrolled: 1-line block ×3, first 2 shown]
	v_mbcnt_lo_u32_b32 v1, -1, 0
	s_wait_kmcnt 0x0
	s_bitcmp1_b32 s3, 0
	v_mov_b64_e32 v[2:3], s[8:9]
	s_cselect_b32 s36, -1, 0
	s_bitcmp1_b32 s3, 16
	v_mov_b64_e32 v[6:7], s[4:5]
	s_cselect_b32 s2, -1, 0
	s_clause 0x1
	scratch_store_b64 off, v[2:3], off
	scratch_store_b64 off, v[6:7], off offset:8
	s_xor_b32 s12, s2, -1
	s_bitcmp0_b32 s3, 0
	v_cndmask_b32_e64 v8, 0, 1, s12
	s_delay_alu instid0(VALU_DEP_1)
	v_cmp_ne_u32_e32 vcc_lo, 1, v8
	s_cbranch_scc1 .LBB220_3
; %bb.1:
	s_wait_xcnt 0x1
	v_dual_mov_b32 v2, 0 :: v_dual_lshlrev_b32 v3, 20, v1
	v_mov_b64_e32 v[12:13], s[10:11]
	s_and_b32 vcc_lo, exec_lo, vcc_lo
	s_delay_alu instid0(VALU_DEP_2) | instskip(NEXT) | instid1(VALU_DEP_1)
	v_add_nc_u64_e32 v[2:3], src_flat_scratch_base_lo, v[2:3]
	v_cndmask_b32_e64 v3, s9, v3, s2
	s_delay_alu instid0(VALU_DEP_2)
	v_cndmask_b32_e64 v2, s8, v2, s2
	flat_load_b64 v[10:11], v[2:3]
	s_cbranch_vccnz .LBB220_3
; %bb.2:
	s_wait_xcnt 0x0
	v_mov_b32_e32 v2, 0
	flat_load_b64 v[12:13], v2, s[8:9] offset:8
.LBB220_3:
	s_load_b128 s[28:31], s[0:1], 0x8
	v_mov_b64_e32 v[6:7], 0
	s_bitcmp1_b32 s3, 8
	s_cselect_b32 s33, -1, 0
	s_bfe_u32 s3, s3, 0x10008
	s_delay_alu instid0(SALU_CYCLE_1)
	s_cmp_eq_u32 s3, 0
	s_cbranch_scc1 .LBB220_6
; %bb.4:
	v_dual_mov_b32 v2, 8 :: v_dual_lshlrev_b32 v3, 20, v1
	v_mov_b64_e32 v[4:5], s[6:7]
	s_and_not1_b32 vcc_lo, exec_lo, s12
	s_delay_alu instid0(VALU_DEP_2) | instskip(NEXT) | instid1(VALU_DEP_1)
	v_add_nc_u64_e32 v[2:3], src_flat_scratch_base_lo, v[2:3]
	v_cndmask_b32_e64 v3, s5, v3, s2
	s_delay_alu instid0(VALU_DEP_2)
	v_cndmask_b32_e64 v2, s4, v2, s2
	flat_load_b64 v[6:7], v[2:3]
	s_cbranch_vccnz .LBB220_6
; %bb.5:
	v_mov_b32_e32 v1, 0
	flat_load_b64 v[4:5], v1, s[4:5] offset:8
.LBB220_6:
	s_clause 0x4
	s_load_b64 s[2:3], s[0:1], 0x0
	s_load_b64 s[34:35], s[0:1], 0x90
	s_load_b256 s[4:11], s[0:1], 0x68
	s_load_b128 s[24:27], s[0:1], 0x48
	s_load_b256 s[12:19], s[0:1], 0x28
	v_dual_lshrrev_b32 v9, 3, v0 :: v_dual_bitop2_b32 v14, 7, v0 bitop3:0x40
	s_wait_xcnt 0x0
	s_mov_b32 s0, 0
	s_delay_alu instid0(VALU_DEP_1) | instskip(NEXT) | instid1(VALU_DEP_2)
	v_dual_mov_b32 v0, 0 :: v_dual_lshlrev_b32 v1, 6, v9
	v_dual_lshlrev_b32 v2, 2, v14 :: v_dual_lshlrev_b32 v3, 4, v14
	v_or_b32_e32 v28, -8, v14
	s_delay_alu instid0(VALU_DEP_2) | instskip(NEXT) | instid1(VALU_DEP_3)
	v_or3_b32 v29, v1, v2, 0x2000
	v_lshl_or_b32 v30, v9, 8, v3
	v_dual_mov_b32 v1, v0 :: v_dual_mov_b32 v2, v0
	s_delay_alu instid0(VALU_DEP_3) | instskip(SKIP_1) | instid1(VALU_DEP_3)
	v_dual_mov_b32 v3, v0 :: v_dual_mov_b32 v8, v29
	s_wait_kmcnt 0x0
	v_dual_mov_b32 v15, v30 :: v_dual_mov_b32 v16, s3
	v_mov_b32_e32 v17, v28
.LBB220_7:                              ; =>This Inner Loop Header: Depth=1
	s_delay_alu instid0(VALU_DEP_1)
	v_add_co_u32 v17, s1, v17, 8
	s_xor_b32 s1, s1, -1
	ds_store_b32 v8, v16
	ds_store_b128 v15, v[0:3]
	v_add_nc_u32_e32 v15, 0x80, v15
	v_add_nc_u32_e32 v8, 32, v8
	s_and_b32 s1, exec_lo, s1
	s_delay_alu instid0(SALU_CYCLE_1) | instskip(NEXT) | instid1(SALU_CYCLE_1)
	s_or_b32 s0, s1, s0
	s_and_not1_b32 exec_lo, exec_lo, s0
	s_cbranch_execnz .LBB220_7
; %bb.8:
	s_or_b32 exec_lo, exec_lo, s0
	s_bfe_u32 s0, ttmp6, 0x4000c
	s_and_b32 s1, ttmp6, 15
	s_add_co_i32 s0, s0, 1
	s_getreg_b32 s37, hwreg(HW_REG_IB_STS2, 6, 4)
	s_mul_i32 s0, ttmp9, s0
	s_wait_storecnt 0x0
	s_wait_loadcnt_dscnt 0x0
	s_add_co_i32 s1, s1, s0
	s_cmp_eq_u32 s37, 0
	s_cselect_b32 s0, ttmp9, s1
	s_delay_alu instid0(SALU_CYCLE_1) | instskip(NEXT) | instid1(SALU_CYCLE_1)
	s_lshl_b32 s0, s0, 5
	v_and_or_b32 v8, 0x1fffffe0, s0, v9
	s_mov_b32 s0, exec_lo
	s_delay_alu instid0(VALU_DEP_1)
	v_cmpx_gt_i32_e64 s2, v8
	s_cbranch_execz .LBB220_47
; %bb.9:
	s_cmp_eq_u64 s[30:31], 0
	s_cbranch_scc1 .LBB220_11
; %bb.10:
	s_load_b32 s0, s[28:29], 0x0
	s_wait_kmcnt 0x0
	v_add_nc_u32_e32 v0, s0, v8
	global_load_b32 v8, v0, s[30:31] scale_offset
.LBB220_11:
	v_lshl_or_b32 v31, v9, 6, 0x2000
	s_wait_loadcnt 0x0
	v_dual_lshlrev_b32 v32, 8, v9 :: v_dual_ashrrev_i32 v9, 31, v8
	s_and_not1_b32 vcc_lo, exec_lo, s36
	s_cbranch_vccnz .LBB220_29
; %bb.12:
	s_delay_alu instid0(VALU_DEP_1)
	v_lshl_add_u64 v[0:1], v[8:9], 3, s[12:13]
	v_mov_b32_e32 v15, 0
	s_mov_b32 s1, 0
	s_mov_b32 s0, s20
	s_mov_b32 s2, exec_lo
	global_load_b128 v[0:3], v[0:1], off
	v_sub_nc_u64_e64 v[18:19], v[14:15], s[0:1]
	s_wait_loadcnt 0x0
	v_sub_nc_u64_e64 v[16:17], v[2:3], s[0:1]
	s_delay_alu instid0(VALU_DEP_2) | instskip(NEXT) | instid1(VALU_DEP_1)
	v_add_nc_u64_e32 v[18:19], v[0:1], v[18:19]
	v_cmpx_lt_i64_e64 v[18:19], v[16:17]
	s_cbranch_execz .LBB220_28
; %bb.13:
	s_mov_b32 s0, s21
	s_mov_b32 s12, s1
	s_branch .LBB220_15
.LBB220_14:                             ;   in Loop: Header=BB220_15 Depth=1
	s_or_b32 exec_lo, exec_lo, s13
	v_add_nc_u64_e32 v[18:19], 8, v[18:19]
	s_delay_alu instid0(VALU_DEP_1) | instskip(SKIP_1) | instid1(SALU_CYCLE_1)
	v_cmp_ge_i64_e32 vcc_lo, v[18:19], v[16:17]
	s_or_b32 s12, vcc_lo, s12
	s_and_not1_b32 exec_lo, exec_lo, s12
	s_cbranch_execz .LBB220_28
.LBB220_15:                             ; =>This Loop Header: Depth=1
                                        ;     Child Loop BB220_19 Depth 2
                                        ;       Child Loop BB220_22 Depth 3
	v_lshl_add_u64 v[0:1], v[18:19], 2, s[14:15]
	s_mov_b32 s13, exec_lo
	global_load_b32 v0, v[0:1], off
	s_wait_loadcnt 0x0
	s_wait_xcnt 0x0
	v_subrev_nc_u32_e32 v0, s20, v0
	s_delay_alu instid0(VALU_DEP_1) | instskip(NEXT) | instid1(VALU_DEP_1)
	v_ashrrev_i32_e32 v1, 31, v0
	v_lshl_add_u64 v[0:1], v[0:1], 3, s[18:19]
	global_load_b128 v[0:3], v[0:1], off
	s_wait_loadcnt 0x0
	s_wait_xcnt 0x0
	v_cmpx_lt_i64_e64 v[0:1], v[2:3]
	s_cbranch_execz .LBB220_14
; %bb.16:                               ;   in Loop: Header=BB220_15 Depth=1
	v_lshl_add_u64 v[20:21], v[18:19], 4, s[16:17]
	s_mov_b32 s28, 0
	global_load_b128 v[24:27], v[20:21], off
	s_wait_loadcnt 0x0
	s_wait_xcnt 0x0
	v_mul_f64_e64 v[20:21], v[26:27], -v[12:13]
	v_mul_f64_e32 v[22:23], v[10:11], v[26:27]
	v_sub_nc_u64_e64 v[26:27], v[0:1], s[0:1]
	s_delay_alu instid0(VALU_DEP_3) | instskip(NEXT) | instid1(VALU_DEP_3)
	v_fmac_f64_e32 v[20:21], v[10:11], v[24:25]
	v_fmac_f64_e32 v[22:23], v[12:13], v[24:25]
	v_sub_nc_u64_e64 v[24:25], v[2:3], s[0:1]
	s_branch .LBB220_19
.LBB220_17:                             ;   in Loop: Header=BB220_19 Depth=2
	s_or_b32 exec_lo, exec_lo, s30
.LBB220_18:                             ;   in Loop: Header=BB220_19 Depth=2
	s_delay_alu instid0(SALU_CYCLE_1) | instskip(SKIP_4) | instid1(VALU_DEP_1)
	s_or_b32 exec_lo, exec_lo, s29
	s_wait_loadcnt 0x0
	v_mul_f64_e64 v[34:35], v[2:3], -v[22:23]
	v_mul_f64_e32 v[2:3], v[20:21], v[2:3]
	v_add_nc_u64_e32 v[26:27], 1, v[26:27]
	v_cmp_ge_i64_e32 vcc_lo, v[26:27], v[24:25]
	s_or_b32 s28, vcc_lo, s28
	s_delay_alu instid0(VALU_DEP_4) | instskip(NEXT) | instid1(VALU_DEP_4)
	v_fmac_f64_e32 v[34:35], v[20:21], v[0:1]
	v_fmac_f64_e32 v[2:3], v[22:23], v[0:1]
	v_lshl_add_u32 v0, v15, 4, v32
	ds_add_f64 v0, v[34:35]
	ds_add_f64 v0, v[2:3] offset:8
	s_and_not1_b32 exec_lo, exec_lo, s28
	s_cbranch_execz .LBB220_14
.LBB220_19:                             ;   Parent Loop BB220_15 Depth=1
                                        ; =>  This Loop Header: Depth=2
                                        ;       Child Loop BB220_22 Depth 3
	s_delay_alu instid0(VALU_DEP_4)
	v_lshl_add_u64 v[0:1], v[26:27], 2, s[24:25]
	s_mov_b32 s29, exec_lo
	global_load_b32 v15, v[0:1], off
	s_wait_xcnt 0x0
	v_lshl_add_u64 v[0:1], v[26:27], 4, s[26:27]
	global_load_b128 v[0:3], v[0:1], off
	s_wait_loadcnt 0x1
	v_subrev_nc_u32_e32 v33, s21, v15
	s_delay_alu instid0(VALU_DEP_1) | instskip(NEXT) | instid1(VALU_DEP_1)
	v_lshl_add_u32 v15, v33, 3, v33
	v_and_b32_e32 v15, 15, v15
	s_delay_alu instid0(VALU_DEP_1)
	v_lshl_add_u32 v34, v15, 2, v31
	ds_load_b32 v35, v34
	s_wait_dscnt 0x0
	s_wait_xcnt 0x0
	v_cmpx_ne_u32_e64 v35, v33
	s_cbranch_execz .LBB220_18
; %bb.20:                               ;   in Loop: Header=BB220_19 Depth=2
	s_mov_b32 s30, 0
	s_branch .LBB220_22
.LBB220_21:                             ;   in Loop: Header=BB220_22 Depth=3
	s_or_b32 exec_lo, exec_lo, s37
	s_delay_alu instid0(SALU_CYCLE_1) | instskip(NEXT) | instid1(SALU_CYCLE_1)
	s_and_b32 s31, exec_lo, s36
	s_or_b32 s30, s31, s30
	s_delay_alu instid0(SALU_CYCLE_1)
	s_and_not1_b32 exec_lo, exec_lo, s30
	s_cbranch_execz .LBB220_17
.LBB220_22:                             ;   Parent Loop BB220_15 Depth=1
                                        ;     Parent Loop BB220_19 Depth=2
                                        ; =>    This Inner Loop Header: Depth=3
	s_mov_b32 s31, 0
	s_mov_b32 s36, exec_lo
	v_cmpx_ne_u32_e64 s3, v35
	s_xor_b32 s36, exec_lo, s36
	s_cbranch_execz .LBB220_24
; %bb.23:                               ;   in Loop: Header=BB220_22 Depth=3
	v_add_nc_u32_e32 v15, 1, v15
	s_mov_b32 s31, exec_lo
                                        ; implicit-def: $vgpr34
	s_delay_alu instid0(VALU_DEP_1)
	v_and_b32_e32 v15, 15, v15
	s_and_not1_saveexec_b32 s36, s36
	s_cbranch_execz .LBB220_26
	s_branch .LBB220_25
.LBB220_24:                             ;   in Loop: Header=BB220_22 Depth=3
	s_and_not1_saveexec_b32 s36, s36
	s_cbranch_execz .LBB220_26
.LBB220_25:                             ;   in Loop: Header=BB220_22 Depth=3
	v_mov_b32_e32 v35, s3
	s_and_not1_b32 s31, s31, exec_lo
	ds_cmpstore_rtn_b32 v34, v34, v33, v35
	s_wait_dscnt 0x0
	v_cmp_ne_u32_e32 vcc_lo, s3, v34
	s_and_b32 s37, vcc_lo, exec_lo
	s_delay_alu instid0(SALU_CYCLE_1)
	s_or_b32 s31, s31, s37
.LBB220_26:                             ;   in Loop: Header=BB220_22 Depth=3
	s_or_b32 exec_lo, exec_lo, s36
	s_mov_b32 s36, -1
                                        ; implicit-def: $vgpr34
                                        ; implicit-def: $vgpr35
	s_and_saveexec_b32 s37, s31
	s_cbranch_execz .LBB220_21
; %bb.27:                               ;   in Loop: Header=BB220_22 Depth=3
	v_lshl_add_u32 v34, v15, 2, v31
	ds_load_b32 v35, v34
	s_wait_dscnt 0x0
	v_cmp_eq_u32_e32 vcc_lo, v35, v33
	s_or_not1_b32 s36, vcc_lo, exec_lo
	s_branch .LBB220_21
.LBB220_28:
	s_or_b32 exec_lo, exec_lo, s2
.LBB220_29:
	s_delay_alu instid0(SALU_CYCLE_1)
	s_and_not1_b32 vcc_lo, exec_lo, s33
	s_cbranch_vccnz .LBB220_32
; %bb.30:
	v_lshl_add_u64 v[0:1], v[8:9], 3, s[4:5]
	v_mov_b32_e32 v15, 0
	s_mov_b32 s1, 0
	s_mov_b32 s0, s23
	global_load_b128 v[0:3], v[0:1], off
	v_sub_nc_u64_e64 v[12:13], v[14:15], s[0:1]
	s_wait_loadcnt 0x0
	v_sub_nc_u64_e64 v[10:11], v[2:3], s[0:1]
	s_delay_alu instid0(VALU_DEP_2) | instskip(SKIP_1) | instid1(VALU_DEP_1)
	v_add_nc_u64_e32 v[12:13], v[0:1], v[12:13]
	s_mov_b32 s0, exec_lo
	v_cmpx_lt_i64_e64 v[12:13], v[10:11]
	s_cbranch_execnz .LBB220_38
.LBB220_31:
	s_or_b32 exec_lo, exec_lo, s0
.LBB220_32:
	v_lshl_add_u64 v[0:1], v[8:9], 3, s[10:11]
	s_wait_dscnt 0x0
	s_mov_b32 s23, 0
	v_mov_b32_e32 v3, 0
	global_load_b64 v[0:1], v[0:1], off
	s_wait_loadcnt 0x0
	v_sub_nc_u64_e64 v[0:1], v[0:1], s[22:23]
	s_delay_alu instid0(VALU_DEP_1)
	v_lshl_add_u64 v[0:1], v[0:1], 4, s[34:35]
	s_branch .LBB220_34
.LBB220_33:                             ;   in Loop: Header=BB220_34 Depth=1
	s_wait_xcnt 0x0
	s_or_b32 exec_lo, exec_lo, s0
	v_add_co_u32 v28, s0, v28, 8
	s_xor_b32 s0, s0, -1
	v_add_nc_u32_e32 v30, 0x80, v30
	v_add_nc_u32_e32 v29, 32, v29
	s_and_b32 s0, exec_lo, s0
	s_delay_alu instid0(SALU_CYCLE_1) | instskip(NEXT) | instid1(SALU_CYCLE_1)
	s_or_b32 s23, s0, s23
	s_and_not1_b32 exec_lo, exec_lo, s23
	s_cbranch_execz .LBB220_47
.LBB220_34:                             ; =>This Inner Loop Header: Depth=1
	ds_load_b32 v4, v29
	s_mov_b32 s0, exec_lo
	s_wait_dscnt 0x0
	v_cmpx_gt_i32_e64 s3, v4
	s_cbranch_execz .LBB220_33
; %bb.35:                               ;   in Loop: Header=BB220_34 Depth=1
	ds_load_b128 v[6:9], v31
	ds_load_b128 v[10:13], v31 offset:16
	s_wait_dscnt 0x1
	v_cmp_gt_i32_e32 vcc_lo, v4, v6
	v_cndmask_b32_e64 v2, 0, 1, vcc_lo
	v_cmp_gt_i32_e32 vcc_lo, v4, v7
	s_delay_alu instid0(VALU_DEP_2) | instskip(SKIP_2) | instid1(VALU_DEP_3)
	v_lshlrev_b32_e32 v2, 4, v2
	v_cndmask_b32_e64 v5, 0, 1, vcc_lo
	v_cmp_gt_i32_e32 vcc_lo, v4, v8
	v_add_nc_u64_e32 v[6:7], v[0:1], v[2:3]
	s_delay_alu instid0(VALU_DEP_3) | instskip(SKIP_2) | instid1(VALU_DEP_3)
	v_lshlrev_b32_e32 v2, 4, v5
	v_cndmask_b32_e64 v5, 0, 1, vcc_lo
	v_cmp_gt_i32_e32 vcc_lo, v4, v9
	v_add_nc_u64_e32 v[6:7], v[6:7], v[2:3]
	s_delay_alu instid0(VALU_DEP_3) | instskip(SKIP_3) | instid1(VALU_DEP_3)
	v_lshlrev_b32_e32 v2, 4, v5
	v_cndmask_b32_e64 v5, 0, 1, vcc_lo
	s_wait_dscnt 0x0
	v_cmp_gt_i32_e32 vcc_lo, v4, v10
	v_add_nc_u64_e32 v[6:7], v[6:7], v[2:3]
	s_delay_alu instid0(VALU_DEP_3) | instskip(SKIP_2) | instid1(VALU_DEP_3)
	v_lshlrev_b32_e32 v2, 4, v5
	v_cndmask_b32_e64 v5, 0, 1, vcc_lo
	v_cmp_gt_i32_e32 vcc_lo, v4, v11
	v_add_nc_u64_e32 v[14:15], v[6:7], v[2:3]
	ds_load_b128 v[6:9], v31 offset:32
	v_lshlrev_b32_e32 v2, 4, v5
	v_cndmask_b32_e64 v5, 0, 1, vcc_lo
	v_cmp_gt_i32_e32 vcc_lo, v4, v12
	s_delay_alu instid0(VALU_DEP_3) | instskip(NEXT) | instid1(VALU_DEP_3)
	v_add_nc_u64_e32 v[10:11], v[14:15], v[2:3]
	v_lshlrev_b32_e32 v2, 4, v5
	v_cndmask_b32_e64 v5, 0, 1, vcc_lo
	v_cmp_gt_i32_e32 vcc_lo, v4, v13
	s_delay_alu instid0(VALU_DEP_3) | instskip(NEXT) | instid1(VALU_DEP_3)
	v_add_nc_u64_e32 v[10:11], v[10:11], v[2:3]
	v_lshlrev_b32_e32 v2, 4, v5
	v_cndmask_b32_e64 v5, 0, 1, vcc_lo
	s_delay_alu instid0(VALU_DEP_2)
	v_add_nc_u64_e32 v[14:15], v[10:11], v[2:3]
	ds_load_b128 v[10:13], v31 offset:48
	s_wait_dscnt 0x1
	v_cmp_gt_i32_e32 vcc_lo, v4, v6
	v_lshlrev_b32_e32 v2, 4, v5
	v_cndmask_b32_e64 v5, 0, 1, vcc_lo
	v_cmp_gt_i32_e32 vcc_lo, v4, v7
	s_delay_alu instid0(VALU_DEP_3) | instskip(NEXT) | instid1(VALU_DEP_3)
	v_add_nc_u64_e32 v[14:15], v[14:15], v[2:3]
	v_lshlrev_b32_e32 v2, 4, v5
	v_cndmask_b32_e64 v5, 0, 1, vcc_lo
	v_cmp_gt_i32_e32 vcc_lo, v4, v8
	s_delay_alu instid0(VALU_DEP_3) | instskip(NEXT) | instid1(VALU_DEP_3)
	v_add_nc_u64_e32 v[6:7], v[14:15], v[2:3]
	;; [unrolled: 5-line block ×3, first 2 shown]
	v_lshlrev_b32_e32 v2, 4, v5
	v_cndmask_b32_e64 v5, 0, 1, vcc_lo
	s_wait_dscnt 0x0
	v_cmp_gt_i32_e32 vcc_lo, v4, v10
	s_delay_alu instid0(VALU_DEP_3) | instskip(NEXT) | instid1(VALU_DEP_3)
	v_add_nc_u64_e32 v[6:7], v[6:7], v[2:3]
	v_lshlrev_b32_e32 v2, 4, v5
	v_cndmask_b32_e64 v5, 0, 1, vcc_lo
	v_cmp_gt_i32_e32 vcc_lo, v4, v11
	s_delay_alu instid0(VALU_DEP_3) | instskip(NEXT) | instid1(VALU_DEP_3)
	v_add_nc_u64_e32 v[6:7], v[6:7], v[2:3]
	v_lshlrev_b32_e32 v2, 4, v5
	v_cndmask_b32_e64 v5, 0, 1, vcc_lo
	;; [unrolled: 5-line block ×3, first 2 shown]
	v_cmp_gt_i32_e32 vcc_lo, v4, v13
	s_delay_alu instid0(VALU_DEP_3) | instskip(SKIP_3) | instid1(VALU_DEP_2)
	v_add_nc_u64_e32 v[10:11], v[6:7], v[2:3]
	ds_load_2addr_b64 v[6:9], v30 offset1:1
	v_lshlrev_b32_e32 v2, 4, v5
	v_cndmask_b32_e64 v12, 0, 1, vcc_lo
	v_add_nc_u64_e32 v[4:5], v[10:11], v[2:3]
	s_delay_alu instid0(VALU_DEP_2) | instskip(NEXT) | instid1(VALU_DEP_1)
	v_lshlrev_b32_e32 v2, 4, v12
	v_add_nc_u64_e32 v[4:5], v[4:5], v[2:3]
	s_wait_dscnt 0x0
	global_store_b128 v[4:5], v[6:9], off
	s_branch .LBB220_33
.LBB220_36:                             ;   in Loop: Header=BB220_38 Depth=1
	s_or_b32 exec_lo, exec_lo, s4
.LBB220_37:                             ;   in Loop: Header=BB220_38 Depth=1
	s_delay_alu instid0(SALU_CYCLE_1) | instskip(SKIP_4) | instid1(VALU_DEP_1)
	s_or_b32 exec_lo, exec_lo, s2
	s_wait_loadcnt 0x0
	v_mul_f64_e64 v[16:17], v[2:3], -v[4:5]
	v_mul_f64_e32 v[2:3], v[6:7], v[2:3]
	v_add_nc_u64_e32 v[12:13], 8, v[12:13]
	v_cmp_ge_i64_e32 vcc_lo, v[12:13], v[10:11]
	s_or_b32 s1, vcc_lo, s1
	s_delay_alu instid0(VALU_DEP_4) | instskip(NEXT) | instid1(VALU_DEP_4)
	v_fmac_f64_e32 v[16:17], v[6:7], v[0:1]
	v_fmac_f64_e32 v[2:3], v[4:5], v[0:1]
	v_lshl_add_u32 v0, v14, 4, v32
	ds_add_f64 v0, v[16:17]
	ds_add_f64 v0, v[2:3] offset:8
	s_and_not1_b32 exec_lo, exec_lo, s1
	s_cbranch_execz .LBB220_31
.LBB220_38:                             ; =>This Loop Header: Depth=1
                                        ;     Child Loop BB220_41 Depth 2
	v_lshl_add_u64 v[0:1], v[12:13], 2, s[6:7]
	s_mov_b32 s2, exec_lo
	global_load_b32 v14, v[0:1], off
	s_wait_xcnt 0x0
	v_lshl_add_u64 v[0:1], v[12:13], 4, s[8:9]
	global_load_b128 v[0:3], v[0:1], off
	s_wait_loadcnt 0x1
	v_subrev_nc_u32_e32 v15, s23, v14
	s_delay_alu instid0(VALU_DEP_1) | instskip(NEXT) | instid1(VALU_DEP_1)
	v_lshl_add_u32 v14, v15, 3, v15
	v_and_b32_e32 v14, 15, v14
	s_delay_alu instid0(VALU_DEP_1)
	v_lshl_add_u32 v16, v14, 2, v31
	ds_load_b32 v17, v16
	s_wait_dscnt 0x0
	s_wait_xcnt 0x0
	v_cmpx_ne_u32_e64 v17, v15
	s_cbranch_execz .LBB220_37
; %bb.39:                               ;   in Loop: Header=BB220_38 Depth=1
	s_mov_b32 s4, 0
	s_branch .LBB220_41
.LBB220_40:                             ;   in Loop: Header=BB220_41 Depth=2
	s_or_b32 exec_lo, exec_lo, s13
	s_delay_alu instid0(SALU_CYCLE_1) | instskip(NEXT) | instid1(SALU_CYCLE_1)
	s_and_b32 s5, exec_lo, s12
	s_or_b32 s4, s5, s4
	s_delay_alu instid0(SALU_CYCLE_1)
	s_and_not1_b32 exec_lo, exec_lo, s4
	s_cbranch_execz .LBB220_36
.LBB220_41:                             ;   Parent Loop BB220_38 Depth=1
                                        ; =>  This Inner Loop Header: Depth=2
	s_mov_b32 s5, 0
	s_mov_b32 s12, exec_lo
	v_cmpx_ne_u32_e64 s3, v17
	s_xor_b32 s12, exec_lo, s12
	s_cbranch_execz .LBB220_43
; %bb.42:                               ;   in Loop: Header=BB220_41 Depth=2
	v_add_nc_u32_e32 v14, 1, v14
	s_mov_b32 s5, exec_lo
                                        ; implicit-def: $vgpr16
	s_delay_alu instid0(VALU_DEP_1)
	v_and_b32_e32 v14, 15, v14
	s_and_not1_saveexec_b32 s12, s12
	s_cbranch_execz .LBB220_45
	s_branch .LBB220_44
.LBB220_43:                             ;   in Loop: Header=BB220_41 Depth=2
	s_and_not1_saveexec_b32 s12, s12
	s_cbranch_execz .LBB220_45
.LBB220_44:                             ;   in Loop: Header=BB220_41 Depth=2
	v_mov_b32_e32 v17, s3
	s_and_not1_b32 s5, s5, exec_lo
	ds_cmpstore_rtn_b32 v16, v16, v15, v17
	s_wait_dscnt 0x0
	v_cmp_ne_u32_e32 vcc_lo, s3, v16
	s_and_b32 s13, vcc_lo, exec_lo
	s_delay_alu instid0(SALU_CYCLE_1)
	s_or_b32 s5, s5, s13
.LBB220_45:                             ;   in Loop: Header=BB220_41 Depth=2
	s_or_b32 exec_lo, exec_lo, s12
	s_mov_b32 s12, -1
                                        ; implicit-def: $vgpr16
                                        ; implicit-def: $vgpr17
	s_and_saveexec_b32 s13, s5
	s_cbranch_execz .LBB220_40
; %bb.46:                               ;   in Loop: Header=BB220_41 Depth=2
	v_lshl_add_u32 v16, v14, 2, v31
	ds_load_b32 v17, v16
	s_wait_dscnt 0x0
	v_cmp_eq_u32_e32 vcc_lo, v17, v15
	s_or_not1_b32 s12, vcc_lo, exec_lo
	s_branch .LBB220_40
.LBB220_47:
	s_endpgm
	.section	.rodata,"a",@progbits
	.p2align	6, 0x0
	.amdhsa_kernel _ZN9rocsparseL38csrgemm_numeric_fill_wf_per_row_kernelILj256ELj8ELj16ELj137Eli21rocsparse_complex_numIdEEEvT4_S3_PKS3_S5_NS_24const_host_device_scalarIT5_EEPKT3_S5_PKS7_SB_S5_SD_S8_SB_S5_SD_SB_S5_PS7_21rocsparse_index_base_SF_SF_SF_bbb
		.amdhsa_group_segment_fixed_size 10240
		.amdhsa_private_segment_fixed_size 24
		.amdhsa_kernarg_size 172
		.amdhsa_user_sgpr_count 2
		.amdhsa_user_sgpr_dispatch_ptr 0
		.amdhsa_user_sgpr_queue_ptr 0
		.amdhsa_user_sgpr_kernarg_segment_ptr 1
		.amdhsa_user_sgpr_dispatch_id 0
		.amdhsa_user_sgpr_kernarg_preload_length 0
		.amdhsa_user_sgpr_kernarg_preload_offset 0
		.amdhsa_user_sgpr_private_segment_size 0
		.amdhsa_wavefront_size32 1
		.amdhsa_uses_dynamic_stack 0
		.amdhsa_enable_private_segment 1
		.amdhsa_system_sgpr_workgroup_id_x 1
		.amdhsa_system_sgpr_workgroup_id_y 0
		.amdhsa_system_sgpr_workgroup_id_z 0
		.amdhsa_system_sgpr_workgroup_info 0
		.amdhsa_system_vgpr_workitem_id 0
		.amdhsa_next_free_vgpr 36
		.amdhsa_next_free_sgpr 38
		.amdhsa_named_barrier_count 0
		.amdhsa_reserve_vcc 1
		.amdhsa_float_round_mode_32 0
		.amdhsa_float_round_mode_16_64 0
		.amdhsa_float_denorm_mode_32 3
		.amdhsa_float_denorm_mode_16_64 3
		.amdhsa_fp16_overflow 0
		.amdhsa_memory_ordered 1
		.amdhsa_forward_progress 1
		.amdhsa_inst_pref_size 20
		.amdhsa_round_robin_scheduling 0
		.amdhsa_exception_fp_ieee_invalid_op 0
		.amdhsa_exception_fp_denorm_src 0
		.amdhsa_exception_fp_ieee_div_zero 0
		.amdhsa_exception_fp_ieee_overflow 0
		.amdhsa_exception_fp_ieee_underflow 0
		.amdhsa_exception_fp_ieee_inexact 0
		.amdhsa_exception_int_div_zero 0
	.end_amdhsa_kernel
	.section	.text._ZN9rocsparseL38csrgemm_numeric_fill_wf_per_row_kernelILj256ELj8ELj16ELj137Eli21rocsparse_complex_numIdEEEvT4_S3_PKS3_S5_NS_24const_host_device_scalarIT5_EEPKT3_S5_PKS7_SB_S5_SD_S8_SB_S5_SD_SB_S5_PS7_21rocsparse_index_base_SF_SF_SF_bbb,"axG",@progbits,_ZN9rocsparseL38csrgemm_numeric_fill_wf_per_row_kernelILj256ELj8ELj16ELj137Eli21rocsparse_complex_numIdEEEvT4_S3_PKS3_S5_NS_24const_host_device_scalarIT5_EEPKT3_S5_PKS7_SB_S5_SD_S8_SB_S5_SD_SB_S5_PS7_21rocsparse_index_base_SF_SF_SF_bbb,comdat
.Lfunc_end220:
	.size	_ZN9rocsparseL38csrgemm_numeric_fill_wf_per_row_kernelILj256ELj8ELj16ELj137Eli21rocsparse_complex_numIdEEEvT4_S3_PKS3_S5_NS_24const_host_device_scalarIT5_EEPKT3_S5_PKS7_SB_S5_SD_S8_SB_S5_SD_SB_S5_PS7_21rocsparse_index_base_SF_SF_SF_bbb, .Lfunc_end220-_ZN9rocsparseL38csrgemm_numeric_fill_wf_per_row_kernelILj256ELj8ELj16ELj137Eli21rocsparse_complex_numIdEEEvT4_S3_PKS3_S5_NS_24const_host_device_scalarIT5_EEPKT3_S5_PKS7_SB_S5_SD_S8_SB_S5_SD_SB_S5_PS7_21rocsparse_index_base_SF_SF_SF_bbb
                                        ; -- End function
	.set _ZN9rocsparseL38csrgemm_numeric_fill_wf_per_row_kernelILj256ELj8ELj16ELj137Eli21rocsparse_complex_numIdEEEvT4_S3_PKS3_S5_NS_24const_host_device_scalarIT5_EEPKT3_S5_PKS7_SB_S5_SD_S8_SB_S5_SD_SB_S5_PS7_21rocsparse_index_base_SF_SF_SF_bbb.num_vgpr, 36
	.set _ZN9rocsparseL38csrgemm_numeric_fill_wf_per_row_kernelILj256ELj8ELj16ELj137Eli21rocsparse_complex_numIdEEEvT4_S3_PKS3_S5_NS_24const_host_device_scalarIT5_EEPKT3_S5_PKS7_SB_S5_SD_S8_SB_S5_SD_SB_S5_PS7_21rocsparse_index_base_SF_SF_SF_bbb.num_agpr, 0
	.set _ZN9rocsparseL38csrgemm_numeric_fill_wf_per_row_kernelILj256ELj8ELj16ELj137Eli21rocsparse_complex_numIdEEEvT4_S3_PKS3_S5_NS_24const_host_device_scalarIT5_EEPKT3_S5_PKS7_SB_S5_SD_S8_SB_S5_SD_SB_S5_PS7_21rocsparse_index_base_SF_SF_SF_bbb.numbered_sgpr, 38
	.set _ZN9rocsparseL38csrgemm_numeric_fill_wf_per_row_kernelILj256ELj8ELj16ELj137Eli21rocsparse_complex_numIdEEEvT4_S3_PKS3_S5_NS_24const_host_device_scalarIT5_EEPKT3_S5_PKS7_SB_S5_SD_S8_SB_S5_SD_SB_S5_PS7_21rocsparse_index_base_SF_SF_SF_bbb.num_named_barrier, 0
	.set _ZN9rocsparseL38csrgemm_numeric_fill_wf_per_row_kernelILj256ELj8ELj16ELj137Eli21rocsparse_complex_numIdEEEvT4_S3_PKS3_S5_NS_24const_host_device_scalarIT5_EEPKT3_S5_PKS7_SB_S5_SD_S8_SB_S5_SD_SB_S5_PS7_21rocsparse_index_base_SF_SF_SF_bbb.private_seg_size, 24
	.set _ZN9rocsparseL38csrgemm_numeric_fill_wf_per_row_kernelILj256ELj8ELj16ELj137Eli21rocsparse_complex_numIdEEEvT4_S3_PKS3_S5_NS_24const_host_device_scalarIT5_EEPKT3_S5_PKS7_SB_S5_SD_S8_SB_S5_SD_SB_S5_PS7_21rocsparse_index_base_SF_SF_SF_bbb.uses_vcc, 1
	.set _ZN9rocsparseL38csrgemm_numeric_fill_wf_per_row_kernelILj256ELj8ELj16ELj137Eli21rocsparse_complex_numIdEEEvT4_S3_PKS3_S5_NS_24const_host_device_scalarIT5_EEPKT3_S5_PKS7_SB_S5_SD_S8_SB_S5_SD_SB_S5_PS7_21rocsparse_index_base_SF_SF_SF_bbb.uses_flat_scratch, 1
	.set _ZN9rocsparseL38csrgemm_numeric_fill_wf_per_row_kernelILj256ELj8ELj16ELj137Eli21rocsparse_complex_numIdEEEvT4_S3_PKS3_S5_NS_24const_host_device_scalarIT5_EEPKT3_S5_PKS7_SB_S5_SD_S8_SB_S5_SD_SB_S5_PS7_21rocsparse_index_base_SF_SF_SF_bbb.has_dyn_sized_stack, 0
	.set _ZN9rocsparseL38csrgemm_numeric_fill_wf_per_row_kernelILj256ELj8ELj16ELj137Eli21rocsparse_complex_numIdEEEvT4_S3_PKS3_S5_NS_24const_host_device_scalarIT5_EEPKT3_S5_PKS7_SB_S5_SD_S8_SB_S5_SD_SB_S5_PS7_21rocsparse_index_base_SF_SF_SF_bbb.has_recursion, 0
	.set _ZN9rocsparseL38csrgemm_numeric_fill_wf_per_row_kernelILj256ELj8ELj16ELj137Eli21rocsparse_complex_numIdEEEvT4_S3_PKS3_S5_NS_24const_host_device_scalarIT5_EEPKT3_S5_PKS7_SB_S5_SD_S8_SB_S5_SD_SB_S5_PS7_21rocsparse_index_base_SF_SF_SF_bbb.has_indirect_call, 0
	.section	.AMDGPU.csdata,"",@progbits
; Kernel info:
; codeLenInByte = 2448
; TotalNumSgprs: 40
; NumVgprs: 36
; ScratchSize: 24
; MemoryBound: 0
; FloatMode: 240
; IeeeMode: 1
; LDSByteSize: 10240 bytes/workgroup (compile time only)
; SGPRBlocks: 0
; VGPRBlocks: 2
; NumSGPRsForWavesPerEU: 40
; NumVGPRsForWavesPerEU: 36
; NamedBarCnt: 0
; Occupancy: 16
; WaveLimiterHint : 1
; COMPUTE_PGM_RSRC2:SCRATCH_EN: 1
; COMPUTE_PGM_RSRC2:USER_SGPR: 2
; COMPUTE_PGM_RSRC2:TRAP_HANDLER: 0
; COMPUTE_PGM_RSRC2:TGID_X_EN: 1
; COMPUTE_PGM_RSRC2:TGID_Y_EN: 0
; COMPUTE_PGM_RSRC2:TGID_Z_EN: 0
; COMPUTE_PGM_RSRC2:TIDIG_COMP_CNT: 0
	.section	.text._ZN9rocsparseL38csrgemm_numeric_fill_wf_per_row_kernelILj256ELj16ELj32ELj137Eli21rocsparse_complex_numIdEEEvT4_S3_PKS3_S5_NS_24const_host_device_scalarIT5_EEPKT3_S5_PKS7_SB_S5_SD_S8_SB_S5_SD_SB_S5_PS7_21rocsparse_index_base_SF_SF_SF_bbb,"axG",@progbits,_ZN9rocsparseL38csrgemm_numeric_fill_wf_per_row_kernelILj256ELj16ELj32ELj137Eli21rocsparse_complex_numIdEEEvT4_S3_PKS3_S5_NS_24const_host_device_scalarIT5_EEPKT3_S5_PKS7_SB_S5_SD_S8_SB_S5_SD_SB_S5_PS7_21rocsparse_index_base_SF_SF_SF_bbb,comdat
	.globl	_ZN9rocsparseL38csrgemm_numeric_fill_wf_per_row_kernelILj256ELj16ELj32ELj137Eli21rocsparse_complex_numIdEEEvT4_S3_PKS3_S5_NS_24const_host_device_scalarIT5_EEPKT3_S5_PKS7_SB_S5_SD_S8_SB_S5_SD_SB_S5_PS7_21rocsparse_index_base_SF_SF_SF_bbb ; -- Begin function _ZN9rocsparseL38csrgemm_numeric_fill_wf_per_row_kernelILj256ELj16ELj32ELj137Eli21rocsparse_complex_numIdEEEvT4_S3_PKS3_S5_NS_24const_host_device_scalarIT5_EEPKT3_S5_PKS7_SB_S5_SD_S8_SB_S5_SD_SB_S5_PS7_21rocsparse_index_base_SF_SF_SF_bbb
	.p2align	8
	.type	_ZN9rocsparseL38csrgemm_numeric_fill_wf_per_row_kernelILj256ELj16ELj32ELj137Eli21rocsparse_complex_numIdEEEvT4_S3_PKS3_S5_NS_24const_host_device_scalarIT5_EEPKT3_S5_PKS7_SB_S5_SD_S8_SB_S5_SD_SB_S5_PS7_21rocsparse_index_base_SF_SF_SF_bbb,@function
_ZN9rocsparseL38csrgemm_numeric_fill_wf_per_row_kernelILj256ELj16ELj32ELj137Eli21rocsparse_complex_numIdEEEvT4_S3_PKS3_S5_NS_24const_host_device_scalarIT5_EEPKT3_S5_PKS7_SB_S5_SD_S8_SB_S5_SD_SB_S5_PS7_21rocsparse_index_base_SF_SF_SF_bbb: ; @_ZN9rocsparseL38csrgemm_numeric_fill_wf_per_row_kernelILj256ELj16ELj32ELj137Eli21rocsparse_complex_numIdEEEvT4_S3_PKS3_S5_NS_24const_host_device_scalarIT5_EEPKT3_S5_PKS7_SB_S5_SD_S8_SB_S5_SD_SB_S5_PS7_21rocsparse_index_base_SF_SF_SF_bbb
; %bb.0:
	s_clause 0x3
	s_load_b32 s3, s[0:1], 0xa8
	s_load_b128 s[8:11], s[0:1], 0x18
	s_load_b128 s[4:7], s[0:1], 0x58
	s_load_b128 s[20:23], s[0:1], 0x98
	v_mov_b64_e32 v[4:5], 0
	v_mov_b64_e32 v[10:11], 0
	;; [unrolled: 1-line block ×3, first 2 shown]
	v_mbcnt_lo_u32_b32 v1, -1, 0
	s_wait_kmcnt 0x0
	s_bitcmp1_b32 s3, 0
	v_mov_b64_e32 v[2:3], s[8:9]
	s_cselect_b32 s36, -1, 0
	s_bitcmp1_b32 s3, 16
	v_mov_b64_e32 v[6:7], s[4:5]
	s_cselect_b32 s2, -1, 0
	s_clause 0x1
	scratch_store_b64 off, v[2:3], off
	scratch_store_b64 off, v[6:7], off offset:8
	s_xor_b32 s12, s2, -1
	s_bitcmp0_b32 s3, 0
	v_cndmask_b32_e64 v8, 0, 1, s12
	s_delay_alu instid0(VALU_DEP_1)
	v_cmp_ne_u32_e32 vcc_lo, 1, v8
	s_cbranch_scc1 .LBB221_3
; %bb.1:
	s_wait_xcnt 0x1
	v_dual_mov_b32 v2, 0 :: v_dual_lshlrev_b32 v3, 20, v1
	v_mov_b64_e32 v[12:13], s[10:11]
	s_and_b32 vcc_lo, exec_lo, vcc_lo
	s_delay_alu instid0(VALU_DEP_2) | instskip(NEXT) | instid1(VALU_DEP_1)
	v_add_nc_u64_e32 v[2:3], src_flat_scratch_base_lo, v[2:3]
	v_cndmask_b32_e64 v3, s9, v3, s2
	s_delay_alu instid0(VALU_DEP_2)
	v_cndmask_b32_e64 v2, s8, v2, s2
	flat_load_b64 v[10:11], v[2:3]
	s_cbranch_vccnz .LBB221_3
; %bb.2:
	s_wait_xcnt 0x0
	v_mov_b32_e32 v2, 0
	flat_load_b64 v[12:13], v2, s[8:9] offset:8
.LBB221_3:
	s_load_b128 s[28:31], s[0:1], 0x8
	v_mov_b64_e32 v[6:7], 0
	s_bitcmp1_b32 s3, 8
	s_cselect_b32 s33, -1, 0
	s_bfe_u32 s3, s3, 0x10008
	s_delay_alu instid0(SALU_CYCLE_1)
	s_cmp_eq_u32 s3, 0
	s_cbranch_scc1 .LBB221_6
; %bb.4:
	v_dual_mov_b32 v2, 8 :: v_dual_lshlrev_b32 v3, 20, v1
	v_mov_b64_e32 v[4:5], s[6:7]
	s_and_not1_b32 vcc_lo, exec_lo, s12
	s_delay_alu instid0(VALU_DEP_2) | instskip(NEXT) | instid1(VALU_DEP_1)
	v_add_nc_u64_e32 v[2:3], src_flat_scratch_base_lo, v[2:3]
	v_cndmask_b32_e64 v3, s5, v3, s2
	s_delay_alu instid0(VALU_DEP_2)
	v_cndmask_b32_e64 v2, s4, v2, s2
	flat_load_b64 v[6:7], v[2:3]
	s_cbranch_vccnz .LBB221_6
; %bb.5:
	v_mov_b32_e32 v1, 0
	flat_load_b64 v[4:5], v1, s[4:5] offset:8
.LBB221_6:
	s_clause 0x4
	s_load_b64 s[2:3], s[0:1], 0x0
	s_load_b64 s[34:35], s[0:1], 0x90
	s_load_b256 s[4:11], s[0:1], 0x68
	s_load_b128 s[24:27], s[0:1], 0x48
	s_load_b256 s[12:19], s[0:1], 0x28
	v_dual_lshrrev_b32 v9, 4, v0 :: v_dual_bitop2_b32 v14, 15, v0 bitop3:0x40
	s_wait_xcnt 0x0
	s_mov_b32 s0, 0
	s_delay_alu instid0(VALU_DEP_1) | instskip(NEXT) | instid1(VALU_DEP_2)
	v_dual_mov_b32 v0, 0 :: v_dual_lshlrev_b32 v1, 7, v9
	v_dual_lshlrev_b32 v2, 2, v14 :: v_dual_lshlrev_b32 v3, 4, v14
	v_or_b32_e32 v28, -16, v14
	s_delay_alu instid0(VALU_DEP_2) | instskip(NEXT) | instid1(VALU_DEP_3)
	v_or3_b32 v29, v1, v2, 0x2000
	v_lshl_or_b32 v30, v9, 9, v3
	v_dual_mov_b32 v1, v0 :: v_dual_mov_b32 v2, v0
	s_delay_alu instid0(VALU_DEP_3) | instskip(SKIP_1) | instid1(VALU_DEP_3)
	v_dual_mov_b32 v3, v0 :: v_dual_mov_b32 v8, v29
	s_wait_kmcnt 0x0
	v_dual_mov_b32 v15, v30 :: v_dual_mov_b32 v16, s3
	v_mov_b32_e32 v17, v28
.LBB221_7:                              ; =>This Inner Loop Header: Depth=1
	s_delay_alu instid0(VALU_DEP_1)
	v_add_co_u32 v17, s1, v17, 16
	s_xor_b32 s1, s1, -1
	ds_store_b32 v8, v16
	ds_store_b128 v15, v[0:3]
	v_add_nc_u32_e32 v15, 0x100, v15
	v_add_nc_u32_e32 v8, 64, v8
	s_and_b32 s1, exec_lo, s1
	s_delay_alu instid0(SALU_CYCLE_1) | instskip(NEXT) | instid1(SALU_CYCLE_1)
	s_or_b32 s0, s1, s0
	s_and_not1_b32 exec_lo, exec_lo, s0
	s_cbranch_execnz .LBB221_7
; %bb.8:
	s_or_b32 exec_lo, exec_lo, s0
	s_bfe_u32 s0, ttmp6, 0x4000c
	s_and_b32 s1, ttmp6, 15
	s_add_co_i32 s0, s0, 1
	s_getreg_b32 s37, hwreg(HW_REG_IB_STS2, 6, 4)
	s_mul_i32 s0, ttmp9, s0
	s_wait_storecnt 0x0
	s_wait_loadcnt_dscnt 0x0
	s_add_co_i32 s1, s1, s0
	s_cmp_eq_u32 s37, 0
	s_cselect_b32 s0, ttmp9, s1
	s_delay_alu instid0(SALU_CYCLE_1) | instskip(NEXT) | instid1(SALU_CYCLE_1)
	s_lshl_b32 s0, s0, 4
	v_and_or_b32 v8, 0xffffff0, s0, v9
	s_mov_b32 s0, exec_lo
	s_delay_alu instid0(VALU_DEP_1)
	v_cmpx_gt_i32_e64 s2, v8
	s_cbranch_execz .LBB221_47
; %bb.9:
	s_cmp_eq_u64 s[30:31], 0
	s_cbranch_scc1 .LBB221_11
; %bb.10:
	s_load_b32 s0, s[28:29], 0x0
	s_wait_kmcnt 0x0
	v_add_nc_u32_e32 v0, s0, v8
	global_load_b32 v8, v0, s[30:31] scale_offset
.LBB221_11:
	v_lshl_or_b32 v31, v9, 7, 0x2000
	s_wait_loadcnt 0x0
	v_dual_lshlrev_b32 v32, 9, v9 :: v_dual_ashrrev_i32 v9, 31, v8
	s_and_not1_b32 vcc_lo, exec_lo, s36
	s_cbranch_vccnz .LBB221_29
; %bb.12:
	s_delay_alu instid0(VALU_DEP_1)
	v_lshl_add_u64 v[0:1], v[8:9], 3, s[12:13]
	v_mov_b32_e32 v15, 0
	s_mov_b32 s1, 0
	s_mov_b32 s0, s20
	s_mov_b32 s2, exec_lo
	global_load_b128 v[0:3], v[0:1], off
	v_sub_nc_u64_e64 v[18:19], v[14:15], s[0:1]
	s_wait_loadcnt 0x0
	v_sub_nc_u64_e64 v[16:17], v[2:3], s[0:1]
	s_delay_alu instid0(VALU_DEP_2) | instskip(NEXT) | instid1(VALU_DEP_1)
	v_add_nc_u64_e32 v[18:19], v[0:1], v[18:19]
	v_cmpx_lt_i64_e64 v[18:19], v[16:17]
	s_cbranch_execz .LBB221_28
; %bb.13:
	s_mov_b32 s0, s21
	s_mov_b32 s12, s1
	s_branch .LBB221_15
.LBB221_14:                             ;   in Loop: Header=BB221_15 Depth=1
	s_or_b32 exec_lo, exec_lo, s13
	v_add_nc_u64_e32 v[18:19], 16, v[18:19]
	s_delay_alu instid0(VALU_DEP_1) | instskip(SKIP_1) | instid1(SALU_CYCLE_1)
	v_cmp_ge_i64_e32 vcc_lo, v[18:19], v[16:17]
	s_or_b32 s12, vcc_lo, s12
	s_and_not1_b32 exec_lo, exec_lo, s12
	s_cbranch_execz .LBB221_28
.LBB221_15:                             ; =>This Loop Header: Depth=1
                                        ;     Child Loop BB221_19 Depth 2
                                        ;       Child Loop BB221_22 Depth 3
	v_lshl_add_u64 v[0:1], v[18:19], 2, s[14:15]
	s_mov_b32 s13, exec_lo
	global_load_b32 v0, v[0:1], off
	s_wait_loadcnt 0x0
	s_wait_xcnt 0x0
	v_subrev_nc_u32_e32 v0, s20, v0
	s_delay_alu instid0(VALU_DEP_1) | instskip(NEXT) | instid1(VALU_DEP_1)
	v_ashrrev_i32_e32 v1, 31, v0
	v_lshl_add_u64 v[0:1], v[0:1], 3, s[18:19]
	global_load_b128 v[0:3], v[0:1], off
	s_wait_loadcnt 0x0
	s_wait_xcnt 0x0
	v_cmpx_lt_i64_e64 v[0:1], v[2:3]
	s_cbranch_execz .LBB221_14
; %bb.16:                               ;   in Loop: Header=BB221_15 Depth=1
	v_lshl_add_u64 v[20:21], v[18:19], 4, s[16:17]
	s_mov_b32 s28, 0
	global_load_b128 v[24:27], v[20:21], off
	s_wait_loadcnt 0x0
	s_wait_xcnt 0x0
	v_mul_f64_e64 v[20:21], v[26:27], -v[12:13]
	v_mul_f64_e32 v[22:23], v[10:11], v[26:27]
	v_sub_nc_u64_e64 v[26:27], v[0:1], s[0:1]
	s_delay_alu instid0(VALU_DEP_3) | instskip(NEXT) | instid1(VALU_DEP_3)
	v_fmac_f64_e32 v[20:21], v[10:11], v[24:25]
	v_fmac_f64_e32 v[22:23], v[12:13], v[24:25]
	v_sub_nc_u64_e64 v[24:25], v[2:3], s[0:1]
	s_branch .LBB221_19
.LBB221_17:                             ;   in Loop: Header=BB221_19 Depth=2
	s_or_b32 exec_lo, exec_lo, s30
.LBB221_18:                             ;   in Loop: Header=BB221_19 Depth=2
	s_delay_alu instid0(SALU_CYCLE_1) | instskip(SKIP_4) | instid1(VALU_DEP_1)
	s_or_b32 exec_lo, exec_lo, s29
	s_wait_loadcnt 0x0
	v_mul_f64_e64 v[34:35], v[2:3], -v[22:23]
	v_mul_f64_e32 v[2:3], v[20:21], v[2:3]
	v_add_nc_u64_e32 v[26:27], 1, v[26:27]
	v_cmp_ge_i64_e32 vcc_lo, v[26:27], v[24:25]
	s_or_b32 s28, vcc_lo, s28
	s_delay_alu instid0(VALU_DEP_4) | instskip(NEXT) | instid1(VALU_DEP_4)
	v_fmac_f64_e32 v[34:35], v[20:21], v[0:1]
	v_fmac_f64_e32 v[2:3], v[22:23], v[0:1]
	v_lshl_add_u32 v0, v15, 4, v32
	ds_add_f64 v0, v[34:35]
	ds_add_f64 v0, v[2:3] offset:8
	s_and_not1_b32 exec_lo, exec_lo, s28
	s_cbranch_execz .LBB221_14
.LBB221_19:                             ;   Parent Loop BB221_15 Depth=1
                                        ; =>  This Loop Header: Depth=2
                                        ;       Child Loop BB221_22 Depth 3
	s_delay_alu instid0(VALU_DEP_4)
	v_lshl_add_u64 v[0:1], v[26:27], 2, s[24:25]
	s_mov_b32 s29, exec_lo
	global_load_b32 v15, v[0:1], off
	s_wait_xcnt 0x0
	v_lshl_add_u64 v[0:1], v[26:27], 4, s[26:27]
	global_load_b128 v[0:3], v[0:1], off
	s_wait_loadcnt 0x1
	v_subrev_nc_u32_e32 v33, s21, v15
	s_delay_alu instid0(VALU_DEP_1) | instskip(NEXT) | instid1(VALU_DEP_1)
	v_lshl_add_u32 v15, v33, 3, v33
	v_and_b32_e32 v15, 31, v15
	s_delay_alu instid0(VALU_DEP_1)
	v_lshl_add_u32 v34, v15, 2, v31
	ds_load_b32 v35, v34
	s_wait_dscnt 0x0
	s_wait_xcnt 0x0
	v_cmpx_ne_u32_e64 v35, v33
	s_cbranch_execz .LBB221_18
; %bb.20:                               ;   in Loop: Header=BB221_19 Depth=2
	s_mov_b32 s30, 0
	s_branch .LBB221_22
.LBB221_21:                             ;   in Loop: Header=BB221_22 Depth=3
	s_or_b32 exec_lo, exec_lo, s37
	s_delay_alu instid0(SALU_CYCLE_1) | instskip(NEXT) | instid1(SALU_CYCLE_1)
	s_and_b32 s31, exec_lo, s36
	s_or_b32 s30, s31, s30
	s_delay_alu instid0(SALU_CYCLE_1)
	s_and_not1_b32 exec_lo, exec_lo, s30
	s_cbranch_execz .LBB221_17
.LBB221_22:                             ;   Parent Loop BB221_15 Depth=1
                                        ;     Parent Loop BB221_19 Depth=2
                                        ; =>    This Inner Loop Header: Depth=3
	s_mov_b32 s31, 0
	s_mov_b32 s36, exec_lo
	v_cmpx_ne_u32_e64 s3, v35
	s_xor_b32 s36, exec_lo, s36
	s_cbranch_execz .LBB221_24
; %bb.23:                               ;   in Loop: Header=BB221_22 Depth=3
	v_add_nc_u32_e32 v15, 1, v15
	s_mov_b32 s31, exec_lo
                                        ; implicit-def: $vgpr34
	s_delay_alu instid0(VALU_DEP_1)
	v_and_b32_e32 v15, 31, v15
	s_and_not1_saveexec_b32 s36, s36
	s_cbranch_execz .LBB221_26
	s_branch .LBB221_25
.LBB221_24:                             ;   in Loop: Header=BB221_22 Depth=3
	s_and_not1_saveexec_b32 s36, s36
	s_cbranch_execz .LBB221_26
.LBB221_25:                             ;   in Loop: Header=BB221_22 Depth=3
	v_mov_b32_e32 v35, s3
	s_and_not1_b32 s31, s31, exec_lo
	ds_cmpstore_rtn_b32 v34, v34, v33, v35
	s_wait_dscnt 0x0
	v_cmp_ne_u32_e32 vcc_lo, s3, v34
	s_and_b32 s37, vcc_lo, exec_lo
	s_delay_alu instid0(SALU_CYCLE_1)
	s_or_b32 s31, s31, s37
.LBB221_26:                             ;   in Loop: Header=BB221_22 Depth=3
	s_or_b32 exec_lo, exec_lo, s36
	s_mov_b32 s36, -1
                                        ; implicit-def: $vgpr34
                                        ; implicit-def: $vgpr35
	s_and_saveexec_b32 s37, s31
	s_cbranch_execz .LBB221_21
; %bb.27:                               ;   in Loop: Header=BB221_22 Depth=3
	v_lshl_add_u32 v34, v15, 2, v31
	ds_load_b32 v35, v34
	s_wait_dscnt 0x0
	v_cmp_eq_u32_e32 vcc_lo, v35, v33
	s_or_not1_b32 s36, vcc_lo, exec_lo
	s_branch .LBB221_21
.LBB221_28:
	s_or_b32 exec_lo, exec_lo, s2
.LBB221_29:
	s_delay_alu instid0(SALU_CYCLE_1)
	s_and_not1_b32 vcc_lo, exec_lo, s33
	s_cbranch_vccnz .LBB221_32
; %bb.30:
	v_lshl_add_u64 v[0:1], v[8:9], 3, s[4:5]
	v_mov_b32_e32 v15, 0
	s_mov_b32 s1, 0
	s_mov_b32 s0, s23
	global_load_b128 v[0:3], v[0:1], off
	v_sub_nc_u64_e64 v[12:13], v[14:15], s[0:1]
	s_wait_loadcnt 0x0
	v_sub_nc_u64_e64 v[10:11], v[2:3], s[0:1]
	s_delay_alu instid0(VALU_DEP_2) | instskip(SKIP_1) | instid1(VALU_DEP_1)
	v_add_nc_u64_e32 v[12:13], v[0:1], v[12:13]
	s_mov_b32 s0, exec_lo
	v_cmpx_lt_i64_e64 v[12:13], v[10:11]
	s_cbranch_execnz .LBB221_38
.LBB221_31:
	s_or_b32 exec_lo, exec_lo, s0
.LBB221_32:
	v_lshl_add_u64 v[0:1], v[8:9], 3, s[10:11]
	s_wait_dscnt 0x0
	s_mov_b32 s23, 0
	v_mov_b32_e32 v3, 0
	global_load_b64 v[0:1], v[0:1], off
	s_wait_loadcnt 0x0
	v_sub_nc_u64_e64 v[0:1], v[0:1], s[22:23]
	s_delay_alu instid0(VALU_DEP_1)
	v_lshl_add_u64 v[0:1], v[0:1], 4, s[34:35]
	s_branch .LBB221_34
.LBB221_33:                             ;   in Loop: Header=BB221_34 Depth=1
	s_wait_xcnt 0x0
	s_or_b32 exec_lo, exec_lo, s0
	v_add_co_u32 v28, s0, v28, 16
	s_xor_b32 s0, s0, -1
	v_add_nc_u32_e32 v30, 0x100, v30
	v_add_nc_u32_e32 v29, 64, v29
	s_and_b32 s0, exec_lo, s0
	s_delay_alu instid0(SALU_CYCLE_1) | instskip(NEXT) | instid1(SALU_CYCLE_1)
	s_or_b32 s23, s0, s23
	s_and_not1_b32 exec_lo, exec_lo, s23
	s_cbranch_execz .LBB221_47
.LBB221_34:                             ; =>This Inner Loop Header: Depth=1
	ds_load_b32 v4, v29
	s_mov_b32 s0, exec_lo
	s_wait_dscnt 0x0
	v_cmpx_gt_i32_e64 s3, v4
	s_cbranch_execz .LBB221_33
; %bb.35:                               ;   in Loop: Header=BB221_34 Depth=1
	ds_load_b128 v[6:9], v31
	ds_load_b128 v[10:13], v31 offset:16
	s_wait_dscnt 0x1
	v_cmp_gt_i32_e32 vcc_lo, v4, v6
	v_cndmask_b32_e64 v2, 0, 1, vcc_lo
	v_cmp_gt_i32_e32 vcc_lo, v4, v7
	s_delay_alu instid0(VALU_DEP_2) | instskip(SKIP_2) | instid1(VALU_DEP_3)
	v_lshlrev_b32_e32 v2, 4, v2
	v_cndmask_b32_e64 v5, 0, 1, vcc_lo
	v_cmp_gt_i32_e32 vcc_lo, v4, v8
	v_add_nc_u64_e32 v[6:7], v[0:1], v[2:3]
	s_delay_alu instid0(VALU_DEP_3) | instskip(SKIP_2) | instid1(VALU_DEP_3)
	v_lshlrev_b32_e32 v2, 4, v5
	v_cndmask_b32_e64 v5, 0, 1, vcc_lo
	v_cmp_gt_i32_e32 vcc_lo, v4, v9
	v_add_nc_u64_e32 v[6:7], v[6:7], v[2:3]
	s_delay_alu instid0(VALU_DEP_3) | instskip(SKIP_3) | instid1(VALU_DEP_3)
	v_lshlrev_b32_e32 v2, 4, v5
	v_cndmask_b32_e64 v5, 0, 1, vcc_lo
	s_wait_dscnt 0x0
	v_cmp_gt_i32_e32 vcc_lo, v4, v10
	v_add_nc_u64_e32 v[6:7], v[6:7], v[2:3]
	s_delay_alu instid0(VALU_DEP_3) | instskip(SKIP_2) | instid1(VALU_DEP_3)
	v_lshlrev_b32_e32 v2, 4, v5
	v_cndmask_b32_e64 v5, 0, 1, vcc_lo
	v_cmp_gt_i32_e32 vcc_lo, v4, v11
	v_add_nc_u64_e32 v[14:15], v[6:7], v[2:3]
	ds_load_b128 v[6:9], v31 offset:32
	v_lshlrev_b32_e32 v2, 4, v5
	v_cndmask_b32_e64 v5, 0, 1, vcc_lo
	v_cmp_gt_i32_e32 vcc_lo, v4, v12
	s_delay_alu instid0(VALU_DEP_3) | instskip(NEXT) | instid1(VALU_DEP_3)
	v_add_nc_u64_e32 v[10:11], v[14:15], v[2:3]
	v_lshlrev_b32_e32 v2, 4, v5
	v_cndmask_b32_e64 v5, 0, 1, vcc_lo
	v_cmp_gt_i32_e32 vcc_lo, v4, v13
	s_delay_alu instid0(VALU_DEP_3) | instskip(NEXT) | instid1(VALU_DEP_3)
	v_add_nc_u64_e32 v[10:11], v[10:11], v[2:3]
	v_lshlrev_b32_e32 v2, 4, v5
	v_cndmask_b32_e64 v5, 0, 1, vcc_lo
	s_delay_alu instid0(VALU_DEP_2)
	v_add_nc_u64_e32 v[14:15], v[10:11], v[2:3]
	ds_load_b128 v[10:13], v31 offset:48
	s_wait_dscnt 0x1
	v_cmp_gt_i32_e32 vcc_lo, v4, v6
	v_lshlrev_b32_e32 v2, 4, v5
	v_cndmask_b32_e64 v5, 0, 1, vcc_lo
	v_cmp_gt_i32_e32 vcc_lo, v4, v7
	s_delay_alu instid0(VALU_DEP_3) | instskip(NEXT) | instid1(VALU_DEP_3)
	v_add_nc_u64_e32 v[14:15], v[14:15], v[2:3]
	v_lshlrev_b32_e32 v2, 4, v5
	v_cndmask_b32_e64 v5, 0, 1, vcc_lo
	v_cmp_gt_i32_e32 vcc_lo, v4, v8
	s_delay_alu instid0(VALU_DEP_3) | instskip(NEXT) | instid1(VALU_DEP_3)
	v_add_nc_u64_e32 v[6:7], v[14:15], v[2:3]
	;; [unrolled: 5-line block ×3, first 2 shown]
	v_lshlrev_b32_e32 v2, 4, v5
	v_cndmask_b32_e64 v5, 0, 1, vcc_lo
	s_wait_dscnt 0x0
	v_cmp_gt_i32_e32 vcc_lo, v4, v10
	s_delay_alu instid0(VALU_DEP_3) | instskip(NEXT) | instid1(VALU_DEP_3)
	v_add_nc_u64_e32 v[6:7], v[6:7], v[2:3]
	v_lshlrev_b32_e32 v2, 4, v5
	v_cndmask_b32_e64 v5, 0, 1, vcc_lo
	v_cmp_gt_i32_e32 vcc_lo, v4, v11
	s_delay_alu instid0(VALU_DEP_3) | instskip(SKIP_4) | instid1(VALU_DEP_3)
	v_add_nc_u64_e32 v[14:15], v[6:7], v[2:3]
	ds_load_b128 v[6:9], v31 offset:64
	v_lshlrev_b32_e32 v2, 4, v5
	v_cndmask_b32_e64 v5, 0, 1, vcc_lo
	v_cmp_gt_i32_e32 vcc_lo, v4, v12
	v_add_nc_u64_e32 v[10:11], v[14:15], v[2:3]
	s_delay_alu instid0(VALU_DEP_3) | instskip(SKIP_2) | instid1(VALU_DEP_3)
	v_lshlrev_b32_e32 v2, 4, v5
	v_cndmask_b32_e64 v5, 0, 1, vcc_lo
	v_cmp_gt_i32_e32 vcc_lo, v4, v13
	v_add_nc_u64_e32 v[10:11], v[10:11], v[2:3]
	s_delay_alu instid0(VALU_DEP_3) | instskip(SKIP_1) | instid1(VALU_DEP_2)
	v_lshlrev_b32_e32 v2, 4, v5
	v_cndmask_b32_e64 v5, 0, 1, vcc_lo
	v_add_nc_u64_e32 v[14:15], v[10:11], v[2:3]
	ds_load_b128 v[10:13], v31 offset:80
	s_wait_dscnt 0x1
	v_cmp_gt_i32_e32 vcc_lo, v4, v6
	v_lshlrev_b32_e32 v2, 4, v5
	v_cndmask_b32_e64 v5, 0, 1, vcc_lo
	v_cmp_gt_i32_e32 vcc_lo, v4, v7
	s_delay_alu instid0(VALU_DEP_3) | instskip(NEXT) | instid1(VALU_DEP_3)
	v_add_nc_u64_e32 v[14:15], v[14:15], v[2:3]
	v_lshlrev_b32_e32 v2, 4, v5
	v_cndmask_b32_e64 v5, 0, 1, vcc_lo
	v_cmp_gt_i32_e32 vcc_lo, v4, v8
	s_delay_alu instid0(VALU_DEP_3) | instskip(NEXT) | instid1(VALU_DEP_3)
	v_add_nc_u64_e32 v[6:7], v[14:15], v[2:3]
	;; [unrolled: 5-line block ×3, first 2 shown]
	v_lshlrev_b32_e32 v2, 4, v5
	v_cndmask_b32_e64 v5, 0, 1, vcc_lo
	s_wait_dscnt 0x0
	v_cmp_gt_i32_e32 vcc_lo, v4, v10
	s_delay_alu instid0(VALU_DEP_3) | instskip(NEXT) | instid1(VALU_DEP_3)
	v_add_nc_u64_e32 v[6:7], v[6:7], v[2:3]
	v_lshlrev_b32_e32 v2, 4, v5
	v_cndmask_b32_e64 v5, 0, 1, vcc_lo
	v_cmp_gt_i32_e32 vcc_lo, v4, v11
	s_delay_alu instid0(VALU_DEP_3) | instskip(SKIP_4) | instid1(VALU_DEP_3)
	v_add_nc_u64_e32 v[14:15], v[6:7], v[2:3]
	ds_load_b128 v[6:9], v31 offset:96
	v_lshlrev_b32_e32 v2, 4, v5
	v_cndmask_b32_e64 v5, 0, 1, vcc_lo
	v_cmp_gt_i32_e32 vcc_lo, v4, v12
	v_add_nc_u64_e32 v[10:11], v[14:15], v[2:3]
	s_delay_alu instid0(VALU_DEP_3) | instskip(SKIP_2) | instid1(VALU_DEP_3)
	v_lshlrev_b32_e32 v2, 4, v5
	v_cndmask_b32_e64 v5, 0, 1, vcc_lo
	v_cmp_gt_i32_e32 vcc_lo, v4, v13
	v_add_nc_u64_e32 v[10:11], v[10:11], v[2:3]
	s_delay_alu instid0(VALU_DEP_3) | instskip(SKIP_1) | instid1(VALU_DEP_2)
	v_lshlrev_b32_e32 v2, 4, v5
	v_cndmask_b32_e64 v5, 0, 1, vcc_lo
	v_add_nc_u64_e32 v[14:15], v[10:11], v[2:3]
	ds_load_b128 v[10:13], v31 offset:112
	s_wait_dscnt 0x1
	v_cmp_gt_i32_e32 vcc_lo, v4, v6
	v_lshlrev_b32_e32 v2, 4, v5
	v_cndmask_b32_e64 v5, 0, 1, vcc_lo
	v_cmp_gt_i32_e32 vcc_lo, v4, v7
	s_delay_alu instid0(VALU_DEP_3) | instskip(NEXT) | instid1(VALU_DEP_3)
	v_add_nc_u64_e32 v[14:15], v[14:15], v[2:3]
	v_lshlrev_b32_e32 v2, 4, v5
	v_cndmask_b32_e64 v5, 0, 1, vcc_lo
	v_cmp_gt_i32_e32 vcc_lo, v4, v8
	s_delay_alu instid0(VALU_DEP_3) | instskip(NEXT) | instid1(VALU_DEP_3)
	v_add_nc_u64_e32 v[6:7], v[14:15], v[2:3]
	;; [unrolled: 5-line block ×3, first 2 shown]
	v_lshlrev_b32_e32 v2, 4, v5
	v_cndmask_b32_e64 v5, 0, 1, vcc_lo
	s_wait_dscnt 0x0
	v_cmp_gt_i32_e32 vcc_lo, v4, v10
	s_delay_alu instid0(VALU_DEP_3) | instskip(NEXT) | instid1(VALU_DEP_3)
	v_add_nc_u64_e32 v[6:7], v[6:7], v[2:3]
	v_lshlrev_b32_e32 v2, 4, v5
	v_cndmask_b32_e64 v5, 0, 1, vcc_lo
	v_cmp_gt_i32_e32 vcc_lo, v4, v11
	s_delay_alu instid0(VALU_DEP_3) | instskip(NEXT) | instid1(VALU_DEP_3)
	v_add_nc_u64_e32 v[6:7], v[6:7], v[2:3]
	v_lshlrev_b32_e32 v2, 4, v5
	v_cndmask_b32_e64 v5, 0, 1, vcc_lo
	;; [unrolled: 5-line block ×3, first 2 shown]
	v_cmp_gt_i32_e32 vcc_lo, v4, v13
	s_delay_alu instid0(VALU_DEP_3) | instskip(SKIP_3) | instid1(VALU_DEP_2)
	v_add_nc_u64_e32 v[10:11], v[6:7], v[2:3]
	ds_load_2addr_b64 v[6:9], v30 offset1:1
	v_lshlrev_b32_e32 v2, 4, v5
	v_cndmask_b32_e64 v12, 0, 1, vcc_lo
	v_add_nc_u64_e32 v[4:5], v[10:11], v[2:3]
	s_delay_alu instid0(VALU_DEP_2) | instskip(NEXT) | instid1(VALU_DEP_1)
	v_lshlrev_b32_e32 v2, 4, v12
	v_add_nc_u64_e32 v[4:5], v[4:5], v[2:3]
	s_wait_dscnt 0x0
	global_store_b128 v[4:5], v[6:9], off
	s_branch .LBB221_33
.LBB221_36:                             ;   in Loop: Header=BB221_38 Depth=1
	s_or_b32 exec_lo, exec_lo, s4
.LBB221_37:                             ;   in Loop: Header=BB221_38 Depth=1
	s_delay_alu instid0(SALU_CYCLE_1) | instskip(SKIP_4) | instid1(VALU_DEP_1)
	s_or_b32 exec_lo, exec_lo, s2
	s_wait_loadcnt 0x0
	v_mul_f64_e64 v[16:17], v[2:3], -v[4:5]
	v_mul_f64_e32 v[2:3], v[6:7], v[2:3]
	v_add_nc_u64_e32 v[12:13], 16, v[12:13]
	v_cmp_ge_i64_e32 vcc_lo, v[12:13], v[10:11]
	s_or_b32 s1, vcc_lo, s1
	s_delay_alu instid0(VALU_DEP_4) | instskip(NEXT) | instid1(VALU_DEP_4)
	v_fmac_f64_e32 v[16:17], v[6:7], v[0:1]
	v_fmac_f64_e32 v[2:3], v[4:5], v[0:1]
	v_lshl_add_u32 v0, v14, 4, v32
	ds_add_f64 v0, v[16:17]
	ds_add_f64 v0, v[2:3] offset:8
	s_and_not1_b32 exec_lo, exec_lo, s1
	s_cbranch_execz .LBB221_31
.LBB221_38:                             ; =>This Loop Header: Depth=1
                                        ;     Child Loop BB221_41 Depth 2
	v_lshl_add_u64 v[0:1], v[12:13], 2, s[6:7]
	s_mov_b32 s2, exec_lo
	global_load_b32 v14, v[0:1], off
	s_wait_xcnt 0x0
	v_lshl_add_u64 v[0:1], v[12:13], 4, s[8:9]
	global_load_b128 v[0:3], v[0:1], off
	s_wait_loadcnt 0x1
	v_subrev_nc_u32_e32 v15, s23, v14
	s_delay_alu instid0(VALU_DEP_1) | instskip(NEXT) | instid1(VALU_DEP_1)
	v_lshl_add_u32 v14, v15, 3, v15
	v_and_b32_e32 v14, 31, v14
	s_delay_alu instid0(VALU_DEP_1)
	v_lshl_add_u32 v16, v14, 2, v31
	ds_load_b32 v17, v16
	s_wait_dscnt 0x0
	s_wait_xcnt 0x0
	v_cmpx_ne_u32_e64 v17, v15
	s_cbranch_execz .LBB221_37
; %bb.39:                               ;   in Loop: Header=BB221_38 Depth=1
	s_mov_b32 s4, 0
	s_branch .LBB221_41
.LBB221_40:                             ;   in Loop: Header=BB221_41 Depth=2
	s_or_b32 exec_lo, exec_lo, s13
	s_delay_alu instid0(SALU_CYCLE_1) | instskip(NEXT) | instid1(SALU_CYCLE_1)
	s_and_b32 s5, exec_lo, s12
	s_or_b32 s4, s5, s4
	s_delay_alu instid0(SALU_CYCLE_1)
	s_and_not1_b32 exec_lo, exec_lo, s4
	s_cbranch_execz .LBB221_36
.LBB221_41:                             ;   Parent Loop BB221_38 Depth=1
                                        ; =>  This Inner Loop Header: Depth=2
	s_mov_b32 s5, 0
	s_mov_b32 s12, exec_lo
	v_cmpx_ne_u32_e64 s3, v17
	s_xor_b32 s12, exec_lo, s12
	s_cbranch_execz .LBB221_43
; %bb.42:                               ;   in Loop: Header=BB221_41 Depth=2
	v_add_nc_u32_e32 v14, 1, v14
	s_mov_b32 s5, exec_lo
                                        ; implicit-def: $vgpr16
	s_delay_alu instid0(VALU_DEP_1)
	v_and_b32_e32 v14, 31, v14
	s_and_not1_saveexec_b32 s12, s12
	s_cbranch_execz .LBB221_45
	s_branch .LBB221_44
.LBB221_43:                             ;   in Loop: Header=BB221_41 Depth=2
	s_and_not1_saveexec_b32 s12, s12
	s_cbranch_execz .LBB221_45
.LBB221_44:                             ;   in Loop: Header=BB221_41 Depth=2
	v_mov_b32_e32 v17, s3
	s_and_not1_b32 s5, s5, exec_lo
	ds_cmpstore_rtn_b32 v16, v16, v15, v17
	s_wait_dscnt 0x0
	v_cmp_ne_u32_e32 vcc_lo, s3, v16
	s_and_b32 s13, vcc_lo, exec_lo
	s_delay_alu instid0(SALU_CYCLE_1)
	s_or_b32 s5, s5, s13
.LBB221_45:                             ;   in Loop: Header=BB221_41 Depth=2
	s_or_b32 exec_lo, exec_lo, s12
	s_mov_b32 s12, -1
                                        ; implicit-def: $vgpr16
                                        ; implicit-def: $vgpr17
	s_and_saveexec_b32 s13, s5
	s_cbranch_execz .LBB221_40
; %bb.46:                               ;   in Loop: Header=BB221_41 Depth=2
	v_lshl_add_u32 v16, v14, 2, v31
	ds_load_b32 v17, v16
	s_wait_dscnt 0x0
	v_cmp_eq_u32_e32 vcc_lo, v17, v15
	s_or_not1_b32 s12, vcc_lo, exec_lo
	s_branch .LBB221_40
.LBB221_47:
	s_endpgm
	.section	.rodata,"a",@progbits
	.p2align	6, 0x0
	.amdhsa_kernel _ZN9rocsparseL38csrgemm_numeric_fill_wf_per_row_kernelILj256ELj16ELj32ELj137Eli21rocsparse_complex_numIdEEEvT4_S3_PKS3_S5_NS_24const_host_device_scalarIT5_EEPKT3_S5_PKS7_SB_S5_SD_S8_SB_S5_SD_SB_S5_PS7_21rocsparse_index_base_SF_SF_SF_bbb
		.amdhsa_group_segment_fixed_size 10240
		.amdhsa_private_segment_fixed_size 24
		.amdhsa_kernarg_size 172
		.amdhsa_user_sgpr_count 2
		.amdhsa_user_sgpr_dispatch_ptr 0
		.amdhsa_user_sgpr_queue_ptr 0
		.amdhsa_user_sgpr_kernarg_segment_ptr 1
		.amdhsa_user_sgpr_dispatch_id 0
		.amdhsa_user_sgpr_kernarg_preload_length 0
		.amdhsa_user_sgpr_kernarg_preload_offset 0
		.amdhsa_user_sgpr_private_segment_size 0
		.amdhsa_wavefront_size32 1
		.amdhsa_uses_dynamic_stack 0
		.amdhsa_enable_private_segment 1
		.amdhsa_system_sgpr_workgroup_id_x 1
		.amdhsa_system_sgpr_workgroup_id_y 0
		.amdhsa_system_sgpr_workgroup_id_z 0
		.amdhsa_system_sgpr_workgroup_info 0
		.amdhsa_system_vgpr_workitem_id 0
		.amdhsa_next_free_vgpr 36
		.amdhsa_next_free_sgpr 38
		.amdhsa_named_barrier_count 0
		.amdhsa_reserve_vcc 1
		.amdhsa_float_round_mode_32 0
		.amdhsa_float_round_mode_16_64 0
		.amdhsa_float_denorm_mode_32 3
		.amdhsa_float_denorm_mode_16_64 3
		.amdhsa_fp16_overflow 0
		.amdhsa_memory_ordered 1
		.amdhsa_forward_progress 1
		.amdhsa_inst_pref_size 23
		.amdhsa_round_robin_scheduling 0
		.amdhsa_exception_fp_ieee_invalid_op 0
		.amdhsa_exception_fp_denorm_src 0
		.amdhsa_exception_fp_ieee_div_zero 0
		.amdhsa_exception_fp_ieee_overflow 0
		.amdhsa_exception_fp_ieee_underflow 0
		.amdhsa_exception_fp_ieee_inexact 0
		.amdhsa_exception_int_div_zero 0
	.end_amdhsa_kernel
	.section	.text._ZN9rocsparseL38csrgemm_numeric_fill_wf_per_row_kernelILj256ELj16ELj32ELj137Eli21rocsparse_complex_numIdEEEvT4_S3_PKS3_S5_NS_24const_host_device_scalarIT5_EEPKT3_S5_PKS7_SB_S5_SD_S8_SB_S5_SD_SB_S5_PS7_21rocsparse_index_base_SF_SF_SF_bbb,"axG",@progbits,_ZN9rocsparseL38csrgemm_numeric_fill_wf_per_row_kernelILj256ELj16ELj32ELj137Eli21rocsparse_complex_numIdEEEvT4_S3_PKS3_S5_NS_24const_host_device_scalarIT5_EEPKT3_S5_PKS7_SB_S5_SD_S8_SB_S5_SD_SB_S5_PS7_21rocsparse_index_base_SF_SF_SF_bbb,comdat
.Lfunc_end221:
	.size	_ZN9rocsparseL38csrgemm_numeric_fill_wf_per_row_kernelILj256ELj16ELj32ELj137Eli21rocsparse_complex_numIdEEEvT4_S3_PKS3_S5_NS_24const_host_device_scalarIT5_EEPKT3_S5_PKS7_SB_S5_SD_S8_SB_S5_SD_SB_S5_PS7_21rocsparse_index_base_SF_SF_SF_bbb, .Lfunc_end221-_ZN9rocsparseL38csrgemm_numeric_fill_wf_per_row_kernelILj256ELj16ELj32ELj137Eli21rocsparse_complex_numIdEEEvT4_S3_PKS3_S5_NS_24const_host_device_scalarIT5_EEPKT3_S5_PKS7_SB_S5_SD_S8_SB_S5_SD_SB_S5_PS7_21rocsparse_index_base_SF_SF_SF_bbb
                                        ; -- End function
	.set _ZN9rocsparseL38csrgemm_numeric_fill_wf_per_row_kernelILj256ELj16ELj32ELj137Eli21rocsparse_complex_numIdEEEvT4_S3_PKS3_S5_NS_24const_host_device_scalarIT5_EEPKT3_S5_PKS7_SB_S5_SD_S8_SB_S5_SD_SB_S5_PS7_21rocsparse_index_base_SF_SF_SF_bbb.num_vgpr, 36
	.set _ZN9rocsparseL38csrgemm_numeric_fill_wf_per_row_kernelILj256ELj16ELj32ELj137Eli21rocsparse_complex_numIdEEEvT4_S3_PKS3_S5_NS_24const_host_device_scalarIT5_EEPKT3_S5_PKS7_SB_S5_SD_S8_SB_S5_SD_SB_S5_PS7_21rocsparse_index_base_SF_SF_SF_bbb.num_agpr, 0
	.set _ZN9rocsparseL38csrgemm_numeric_fill_wf_per_row_kernelILj256ELj16ELj32ELj137Eli21rocsparse_complex_numIdEEEvT4_S3_PKS3_S5_NS_24const_host_device_scalarIT5_EEPKT3_S5_PKS7_SB_S5_SD_S8_SB_S5_SD_SB_S5_PS7_21rocsparse_index_base_SF_SF_SF_bbb.numbered_sgpr, 38
	.set _ZN9rocsparseL38csrgemm_numeric_fill_wf_per_row_kernelILj256ELj16ELj32ELj137Eli21rocsparse_complex_numIdEEEvT4_S3_PKS3_S5_NS_24const_host_device_scalarIT5_EEPKT3_S5_PKS7_SB_S5_SD_S8_SB_S5_SD_SB_S5_PS7_21rocsparse_index_base_SF_SF_SF_bbb.num_named_barrier, 0
	.set _ZN9rocsparseL38csrgemm_numeric_fill_wf_per_row_kernelILj256ELj16ELj32ELj137Eli21rocsparse_complex_numIdEEEvT4_S3_PKS3_S5_NS_24const_host_device_scalarIT5_EEPKT3_S5_PKS7_SB_S5_SD_S8_SB_S5_SD_SB_S5_PS7_21rocsparse_index_base_SF_SF_SF_bbb.private_seg_size, 24
	.set _ZN9rocsparseL38csrgemm_numeric_fill_wf_per_row_kernelILj256ELj16ELj32ELj137Eli21rocsparse_complex_numIdEEEvT4_S3_PKS3_S5_NS_24const_host_device_scalarIT5_EEPKT3_S5_PKS7_SB_S5_SD_S8_SB_S5_SD_SB_S5_PS7_21rocsparse_index_base_SF_SF_SF_bbb.uses_vcc, 1
	.set _ZN9rocsparseL38csrgemm_numeric_fill_wf_per_row_kernelILj256ELj16ELj32ELj137Eli21rocsparse_complex_numIdEEEvT4_S3_PKS3_S5_NS_24const_host_device_scalarIT5_EEPKT3_S5_PKS7_SB_S5_SD_S8_SB_S5_SD_SB_S5_PS7_21rocsparse_index_base_SF_SF_SF_bbb.uses_flat_scratch, 1
	.set _ZN9rocsparseL38csrgemm_numeric_fill_wf_per_row_kernelILj256ELj16ELj32ELj137Eli21rocsparse_complex_numIdEEEvT4_S3_PKS3_S5_NS_24const_host_device_scalarIT5_EEPKT3_S5_PKS7_SB_S5_SD_S8_SB_S5_SD_SB_S5_PS7_21rocsparse_index_base_SF_SF_SF_bbb.has_dyn_sized_stack, 0
	.set _ZN9rocsparseL38csrgemm_numeric_fill_wf_per_row_kernelILj256ELj16ELj32ELj137Eli21rocsparse_complex_numIdEEEvT4_S3_PKS3_S5_NS_24const_host_device_scalarIT5_EEPKT3_S5_PKS7_SB_S5_SD_S8_SB_S5_SD_SB_S5_PS7_21rocsparse_index_base_SF_SF_SF_bbb.has_recursion, 0
	.set _ZN9rocsparseL38csrgemm_numeric_fill_wf_per_row_kernelILj256ELj16ELj32ELj137Eli21rocsparse_complex_numIdEEEvT4_S3_PKS3_S5_NS_24const_host_device_scalarIT5_EEPKT3_S5_PKS7_SB_S5_SD_S8_SB_S5_SD_SB_S5_PS7_21rocsparse_index_base_SF_SF_SF_bbb.has_indirect_call, 0
	.section	.AMDGPU.csdata,"",@progbits
; Kernel info:
; codeLenInByte = 2872
; TotalNumSgprs: 40
; NumVgprs: 36
; ScratchSize: 24
; MemoryBound: 0
; FloatMode: 240
; IeeeMode: 1
; LDSByteSize: 10240 bytes/workgroup (compile time only)
; SGPRBlocks: 0
; VGPRBlocks: 2
; NumSGPRsForWavesPerEU: 40
; NumVGPRsForWavesPerEU: 36
; NamedBarCnt: 0
; Occupancy: 16
; WaveLimiterHint : 1
; COMPUTE_PGM_RSRC2:SCRATCH_EN: 1
; COMPUTE_PGM_RSRC2:USER_SGPR: 2
; COMPUTE_PGM_RSRC2:TRAP_HANDLER: 0
; COMPUTE_PGM_RSRC2:TGID_X_EN: 1
; COMPUTE_PGM_RSRC2:TGID_Y_EN: 0
; COMPUTE_PGM_RSRC2:TGID_Z_EN: 0
; COMPUTE_PGM_RSRC2:TIDIG_COMP_CNT: 0
	.section	.text._ZN9rocsparseL41csrgemm_numeric_fill_block_per_row_kernelILj128ELj16ELj256ELj137ELj32Eli21rocsparse_complex_numIdEEEvT5_PKS3_S5_NS_24const_host_device_scalarIT6_EEPKT4_S5_PKS7_SB_S5_SD_S8_SB_S5_SD_SB_S5_PS7_21rocsparse_index_base_SF_SF_SF_bbb,"axG",@progbits,_ZN9rocsparseL41csrgemm_numeric_fill_block_per_row_kernelILj128ELj16ELj256ELj137ELj32Eli21rocsparse_complex_numIdEEEvT5_PKS3_S5_NS_24const_host_device_scalarIT6_EEPKT4_S5_PKS7_SB_S5_SD_S8_SB_S5_SD_SB_S5_PS7_21rocsparse_index_base_SF_SF_SF_bbb,comdat
	.globl	_ZN9rocsparseL41csrgemm_numeric_fill_block_per_row_kernelILj128ELj16ELj256ELj137ELj32Eli21rocsparse_complex_numIdEEEvT5_PKS3_S5_NS_24const_host_device_scalarIT6_EEPKT4_S5_PKS7_SB_S5_SD_S8_SB_S5_SD_SB_S5_PS7_21rocsparse_index_base_SF_SF_SF_bbb ; -- Begin function _ZN9rocsparseL41csrgemm_numeric_fill_block_per_row_kernelILj128ELj16ELj256ELj137ELj32Eli21rocsparse_complex_numIdEEEvT5_PKS3_S5_NS_24const_host_device_scalarIT6_EEPKT4_S5_PKS7_SB_S5_SD_S8_SB_S5_SD_SB_S5_PS7_21rocsparse_index_base_SF_SF_SF_bbb
	.p2align	8
	.type	_ZN9rocsparseL41csrgemm_numeric_fill_block_per_row_kernelILj128ELj16ELj256ELj137ELj32Eli21rocsparse_complex_numIdEEEvT5_PKS3_S5_NS_24const_host_device_scalarIT6_EEPKT4_S5_PKS7_SB_S5_SD_S8_SB_S5_SD_SB_S5_PS7_21rocsparse_index_base_SF_SF_SF_bbb,@function
_ZN9rocsparseL41csrgemm_numeric_fill_block_per_row_kernelILj128ELj16ELj256ELj137ELj32Eli21rocsparse_complex_numIdEEEvT5_PKS3_S5_NS_24const_host_device_scalarIT6_EEPKT4_S5_PKS7_SB_S5_SD_S8_SB_S5_SD_SB_S5_PS7_21rocsparse_index_base_SF_SF_SF_bbb: ; @_ZN9rocsparseL41csrgemm_numeric_fill_block_per_row_kernelILj128ELj16ELj256ELj137ELj32Eli21rocsparse_complex_numIdEEEvT5_PKS3_S5_NS_24const_host_device_scalarIT6_EEPKT4_S5_PKS7_SB_S5_SD_S8_SB_S5_SD_SB_S5_PS7_21rocsparse_index_base_SF_SF_SF_bbb
; %bb.0:
	s_clause 0x2
	s_load_b32 s13, s[0:1], 0xa8
	s_load_b128 s[8:11], s[0:1], 0x18
	s_load_b128 s[4:7], s[0:1], 0x58
	v_mov_b64_e32 v[6:7], 0
	v_mov_b64_e32 v[10:11], 0
	;; [unrolled: 1-line block ×3, first 2 shown]
	v_mbcnt_lo_u32_b32 v28, -1, 0
	s_wait_kmcnt 0x0
	s_bitcmp1_b32 s13, 0
	v_mov_b64_e32 v[2:3], s[8:9]
	s_cselect_b32 s36, -1, 0
	s_bitcmp1_b32 s13, 16
	v_mov_b64_e32 v[4:5], s[4:5]
	s_cselect_b32 s2, -1, 0
	s_clause 0x1
	scratch_store_b64 off, v[2:3], off offset:16
	scratch_store_b64 off, v[4:5], off offset:24
	s_xor_b32 s12, s2, -1
	s_bitcmp0_b32 s13, 0
	v_cndmask_b32_e64 v1, 0, 1, s12
	s_delay_alu instid0(VALU_DEP_1)
	v_cmp_ne_u32_e32 vcc_lo, 1, v1
	s_cbranch_scc1 .LBB222_3
; %bb.1:
	s_wait_xcnt 0x1
	v_dual_mov_b32 v2, 16 :: v_dual_lshlrev_b32 v3, 20, v28
	v_mov_b64_e32 v[12:13], s[10:11]
	s_and_b32 vcc_lo, exec_lo, vcc_lo
	s_delay_alu instid0(VALU_DEP_2) | instskip(NEXT) | instid1(VALU_DEP_1)
	v_add_nc_u64_e32 v[2:3], src_flat_scratch_base_lo, v[2:3]
	v_cndmask_b32_e64 v3, s9, v3, s2
	s_delay_alu instid0(VALU_DEP_2)
	v_cndmask_b32_e64 v2, s8, v2, s2
	flat_load_b64 v[10:11], v[2:3]
	s_cbranch_vccnz .LBB222_3
; %bb.2:
	v_mov_b32_e32 v1, 0
	flat_load_b64 v[12:13], v1, s[8:9] offset:8
.LBB222_3:
	s_load_b128 s[20:23], s[0:1], 0x98
	v_mov_b64_e32 v[8:9], 0
	s_bitcmp1_b32 s13, 8
	s_cselect_b32 s3, -1, 0
	s_bfe_u32 s8, s13, 0x10008
	s_delay_alu instid0(SALU_CYCLE_1)
	s_cmp_eq_u32 s8, 0
	s_cbranch_scc1 .LBB222_6
; %bb.4:
	v_dual_mov_b32 v2, 24 :: v_dual_lshlrev_b32 v3, 20, v28
	v_mov_b64_e32 v[6:7], s[6:7]
	s_and_not1_b32 vcc_lo, exec_lo, s12
	s_delay_alu instid0(VALU_DEP_2) | instskip(NEXT) | instid1(VALU_DEP_1)
	v_add_nc_u64_e32 v[2:3], src_flat_scratch_base_lo, v[2:3]
	v_cndmask_b32_e64 v3, s5, v3, s2
	s_delay_alu instid0(VALU_DEP_2)
	v_cndmask_b32_e64 v2, s4, v2, s2
	flat_load_b64 v[8:9], v[2:3]
	s_cbranch_vccnz .LBB222_6
; %bb.5:
	v_mov_b32_e32 v1, 0
	flat_load_b64 v[6:7], v1, s[4:5] offset:8
.LBB222_6:
	s_clause 0x1
	s_load_b128 s[28:31], s[0:1], 0x8
	s_load_b32 s33, s[0:1], 0x0
	v_cmp_gt_u32_e64 s2, 0x100, v0
	v_lshlrev_b32_e32 v29, 4, v0
	v_or_b32_e32 v26, 0xffffff80, v0
	v_lshl_add_u32 v27, v0, 2, 0
	s_and_saveexec_b32 s6, s2
	s_cbranch_execz .LBB222_9
; %bb.7:
	s_mov_b32 s4, 0
	v_add3_u32 v1, v29, 0, 0x400
	s_mov_b32 s5, s4
	s_mov_b32 s8, s4
	;; [unrolled: 1-line block ×3, first 2 shown]
	v_mov_b64_e32 v[2:3], s[4:5]
	v_mov_b64_e32 v[4:5], s[8:9]
	v_or_b32_e32 v14, 0xffffff80, v0
	v_lshl_add_u32 v15, v0, 2, 0
	s_wait_kmcnt 0x0
	v_mov_b32_e32 v16, s33
.LBB222_8:                              ; =>This Inner Loop Header: Depth=1
	s_delay_alu instid0(VALU_DEP_3)
	v_add_co_u32 v14, s5, 0x80, v14
	s_xor_b32 s5, s5, -1
	ds_store_b32 v15, v16
	ds_store_2addr_b64 v1, v[2:3], v[4:5] offset1:1
	v_add_nc_u32_e32 v1, 0x800, v1
	v_add_nc_u32_e32 v15, 0x200, v15
	s_and_b32 s5, exec_lo, s5
	s_delay_alu instid0(SALU_CYCLE_1) | instskip(NEXT) | instid1(SALU_CYCLE_1)
	s_or_b32 s4, s5, s4
	s_and_not1_b32 exec_lo, exec_lo, s4
	s_cbranch_execnz .LBB222_8
.LBB222_9:
	s_or_b32 exec_lo, exec_lo, s6
	s_clause 0x3
	s_load_b64 s[34:35], s[0:1], 0x90
	s_load_b256 s[4:11], s[0:1], 0x68
	s_load_b128 s[24:27], s[0:1], 0x48
	s_load_b256 s[12:19], s[0:1], 0x28
	s_wait_storecnt 0x0
	s_wait_loadcnt_dscnt 0x0
	s_barrier_signal -1
	s_barrier_wait -1
	s_wait_kmcnt 0x0
	s_load_b32 s0, s[28:29], 0x0
	s_bfe_u32 s1, ttmp6, 0x4000c
	s_wait_xcnt 0x0
	s_and_b32 s28, ttmp6, 15
	s_add_co_i32 s1, s1, 1
	s_getreg_b32 s29, hwreg(HW_REG_IB_STS2, 6, 4)
	s_mul_i32 s1, ttmp9, s1
	s_delay_alu instid0(SALU_CYCLE_1)
	s_add_co_i32 s28, s28, s1
	s_cmp_eq_u32 s29, 0
	s_cselect_b32 s1, ttmp9, s28
	s_and_b32 vcc_lo, exec_lo, s36
	s_wait_kmcnt 0x0
	s_add_co_i32 s0, s0, s1
	s_mov_b32 s1, 0
	s_load_b32 s28, s[30:31], s0 offset:0x0 scale_offset
	s_cbranch_vccz .LBB222_27
; %bb.10:
	s_wait_kmcnt 0x0
	s_ashr_i32 s29, s28, 31
	v_dual_mov_b32 v3, 0 :: v_dual_lshrrev_b32 v2, 4, v0
	s_lshl_b64 s[30:31], s[28:29], 3
	s_mov_b32 s0, s20
	s_add_nc_u64 s[12:13], s[12:13], s[30:31]
	s_mov_b32 s29, exec_lo
	s_load_b128 s[36:39], s[12:13], 0x0
	v_sub_nc_u64_e64 v[4:5], v[2:3], s[0:1]
	s_wait_kmcnt 0x0
	s_delay_alu instid0(VALU_DEP_1)
	v_add_nc_u64_e32 v[14:15], s[36:37], v[4:5]
	s_sub_nc_u64 s[0:1], s[38:39], s[0:1]
	s_delay_alu instid0(VALU_DEP_1) | instid1(SALU_CYCLE_1)
	v_cmpx_gt_i64_e64 s[0:1], v[14:15]
	s_cbranch_execz .LBB222_26
; %bb.11:
	v_and_b32_e32 v2, 15, v0
	s_mov_b32 s13, 0
	s_mov_b32 s12, s21
	;; [unrolled: 1-line block ×3, first 2 shown]
	s_delay_alu instid0(VALU_DEP_1)
	v_sub_nc_u64_e64 v[16:17], v[2:3], s[12:13]
	s_branch .LBB222_13
.LBB222_12:                             ;   in Loop: Header=BB222_13 Depth=1
	s_or_b32 exec_lo, exec_lo, s31
	v_add_nc_u64_e32 v[14:15], 8, v[14:15]
	s_delay_alu instid0(VALU_DEP_1) | instskip(SKIP_1) | instid1(SALU_CYCLE_1)
	v_cmp_le_i64_e32 vcc_lo, s[0:1], v[14:15]
	s_or_b32 s30, vcc_lo, s30
	s_and_not1_b32 exec_lo, exec_lo, s30
	s_cbranch_execz .LBB222_26
.LBB222_13:                             ; =>This Loop Header: Depth=1
                                        ;     Child Loop BB222_17 Depth 2
                                        ;       Child Loop BB222_20 Depth 3
	v_lshl_add_u64 v[2:3], v[14:15], 2, s[14:15]
	s_mov_b32 s31, exec_lo
	global_load_b32 v1, v[2:3], off
	s_wait_loadcnt 0x0
	s_wait_xcnt 0x0
	v_subrev_nc_u32_e32 v2, s20, v1
	s_delay_alu instid0(VALU_DEP_1) | instskip(NEXT) | instid1(VALU_DEP_1)
	v_ashrrev_i32_e32 v3, 31, v2
	v_lshl_add_u64 v[2:3], v[2:3], 3, s[18:19]
	global_load_b128 v[2:5], v[2:3], off
	s_wait_loadcnt 0x0
	v_sub_nc_u64_e64 v[18:19], v[4:5], s[12:13]
	v_add_nc_u64_e32 v[20:21], v[2:3], v[16:17]
	s_wait_xcnt 0x0
	s_delay_alu instid0(VALU_DEP_1)
	v_cmpx_lt_i64_e64 v[20:21], v[18:19]
	s_cbranch_execz .LBB222_12
; %bb.14:                               ;   in Loop: Header=BB222_13 Depth=1
	v_lshl_add_u64 v[2:3], v[14:15], 4, s[16:17]
	s_mov_b32 s36, 0
	global_load_b128 v[2:5], v[2:3], off
	s_wait_loadcnt 0x0
	v_mul_f64_e64 v[22:23], v[4:5], -v[12:13]
	v_mul_f64_e32 v[24:25], v[10:11], v[4:5]
	s_delay_alu instid0(VALU_DEP_2) | instskip(NEXT) | instid1(VALU_DEP_2)
	v_fmac_f64_e32 v[22:23], v[10:11], v[2:3]
	v_fmac_f64_e32 v[24:25], v[12:13], v[2:3]
	s_branch .LBB222_17
.LBB222_15:                             ;   in Loop: Header=BB222_17 Depth=2
	s_or_b32 exec_lo, exec_lo, s38
.LBB222_16:                             ;   in Loop: Header=BB222_17 Depth=2
	s_delay_alu instid0(SALU_CYCLE_1)
	s_or_b32 exec_lo, exec_lo, s37
	s_wait_loadcnt 0x0
	v_mul_f64_e64 v[30:31], v[4:5], -v[24:25]
	v_mul_f64_e32 v[4:5], v[22:23], v[4:5]
	v_lshl_add_u32 v1, v1, 4, 0
	v_add_nc_u64_e32 v[20:21], 16, v[20:21]
	s_delay_alu instid0(VALU_DEP_1)
	v_cmp_ge_i64_e32 vcc_lo, v[20:21], v[18:19]
	s_or_b32 s36, vcc_lo, s36
	v_fmac_f64_e32 v[30:31], v[22:23], v[2:3]
	v_fmac_f64_e32 v[4:5], v[24:25], v[2:3]
	ds_add_f64 v1, v[30:31] offset:1024
	ds_add_f64 v1, v[4:5] offset:1032
	s_and_not1_b32 exec_lo, exec_lo, s36
	s_cbranch_execz .LBB222_12
.LBB222_17:                             ;   Parent Loop BB222_13 Depth=1
                                        ; =>  This Loop Header: Depth=2
                                        ;       Child Loop BB222_20 Depth 3
	s_wait_xcnt 0x0
	v_lshl_add_u64 v[2:3], v[20:21], 2, s[24:25]
	s_mov_b32 s37, exec_lo
	global_load_b32 v1, v[2:3], off
	s_wait_xcnt 0x0
	v_lshl_add_u64 v[2:3], v[20:21], 4, s[26:27]
	global_load_b128 v[2:5], v[2:3], off
	s_wait_loadcnt 0x1
	v_subrev_nc_u32_e32 v30, s21, v1
	s_delay_alu instid0(VALU_DEP_1) | instskip(NEXT) | instid1(VALU_DEP_1)
	v_mul_lo_u32 v1, 0x89, v30
	v_and_b32_e32 v1, 0xff, v1
	s_delay_alu instid0(VALU_DEP_1)
	v_lshl_add_u32 v31, v1, 2, 0
	ds_load_b32 v32, v31
	s_wait_dscnt 0x0
	s_wait_xcnt 0x0
	v_cmpx_ne_u32_e64 v32, v30
	s_cbranch_execz .LBB222_16
; %bb.18:                               ;   in Loop: Header=BB222_17 Depth=2
	s_mov_b32 s38, 0
	s_branch .LBB222_20
.LBB222_19:                             ;   in Loop: Header=BB222_20 Depth=3
	s_or_b32 exec_lo, exec_lo, s41
	s_delay_alu instid0(SALU_CYCLE_1) | instskip(NEXT) | instid1(SALU_CYCLE_1)
	s_and_b32 s39, exec_lo, s40
	s_or_b32 s38, s39, s38
	s_delay_alu instid0(SALU_CYCLE_1)
	s_and_not1_b32 exec_lo, exec_lo, s38
	s_cbranch_execz .LBB222_15
.LBB222_20:                             ;   Parent Loop BB222_13 Depth=1
                                        ;     Parent Loop BB222_17 Depth=2
                                        ; =>    This Inner Loop Header: Depth=3
	s_mov_b32 s39, 0
	s_mov_b32 s40, exec_lo
	v_cmpx_ne_u32_e64 s33, v32
	s_xor_b32 s40, exec_lo, s40
	s_cbranch_execz .LBB222_22
; %bb.21:                               ;   in Loop: Header=BB222_20 Depth=3
	v_add_nc_u32_e32 v1, 1, v1
	s_mov_b32 s39, exec_lo
                                        ; implicit-def: $vgpr31
	s_delay_alu instid0(VALU_DEP_1)
	v_and_b32_e32 v1, 0xff, v1
	s_and_not1_saveexec_b32 s40, s40
	s_cbranch_execz .LBB222_24
	s_branch .LBB222_23
.LBB222_22:                             ;   in Loop: Header=BB222_20 Depth=3
	s_and_not1_saveexec_b32 s40, s40
	s_cbranch_execz .LBB222_24
.LBB222_23:                             ;   in Loop: Header=BB222_20 Depth=3
	v_mov_b32_e32 v32, s33
	s_and_not1_b32 s39, s39, exec_lo
	ds_cmpstore_rtn_b32 v31, v31, v30, v32
	s_wait_dscnt 0x0
	v_cmp_ne_u32_e32 vcc_lo, s33, v31
	s_and_b32 s41, vcc_lo, exec_lo
	s_delay_alu instid0(SALU_CYCLE_1)
	s_or_b32 s39, s39, s41
.LBB222_24:                             ;   in Loop: Header=BB222_20 Depth=3
	s_or_b32 exec_lo, exec_lo, s40
	s_mov_b32 s40, -1
                                        ; implicit-def: $vgpr31
                                        ; implicit-def: $vgpr32
	s_and_saveexec_b32 s41, s39
	s_cbranch_execz .LBB222_19
; %bb.25:                               ;   in Loop: Header=BB222_20 Depth=3
	v_lshl_add_u32 v31, v1, 2, 0
	ds_load_b32 v32, v31
	s_wait_dscnt 0x0
	v_cmp_eq_u32_e32 vcc_lo, v32, v30
	s_or_not1_b32 s40, vcc_lo, exec_lo
	s_branch .LBB222_19
.LBB222_26:
	s_or_b32 exec_lo, exec_lo, s29
.LBB222_27:
	s_delay_alu instid0(SALU_CYCLE_1)
	s_and_not1_b32 vcc_lo, exec_lo, s3
	s_cbranch_vccnz .LBB222_30
; %bb.28:
	s_wait_kmcnt 0x0
	s_ashr_i32 s29, s28, 31
	v_mov_b32_e32 v1, 0
	s_lshl_b64 s[0:1], s[28:29], 3
	s_delay_alu instid0(SALU_CYCLE_1) | instskip(SKIP_4) | instid1(SALU_CYCLE_1)
	s_add_nc_u64 s[0:1], s[4:5], s[0:1]
	s_load_b128 s[12:15], s[0:1], 0x0
	s_wait_xcnt 0x0
	s_mov_b32 s1, 0
	s_mov_b32 s0, s23
	v_sub_nc_u64_e64 v[2:3], v[0:1], s[0:1]
	s_wait_kmcnt 0x0
	s_delay_alu instid0(VALU_DEP_1) | instskip(SKIP_2) | instid1(VALU_DEP_1)
	v_add_nc_u64_e32 v[10:11], s[12:13], v[2:3]
	s_sub_nc_u64 s[4:5], s[14:15], s[0:1]
	s_mov_b32 s0, exec_lo
	v_cmpx_gt_i64_e64 s[4:5], v[10:11]
	s_cbranch_execnz .LBB222_45
.LBB222_29:
	s_or_b32 exec_lo, exec_lo, s0
.LBB222_30:
	s_wait_dscnt 0x0
	s_barrier_signal -1
	s_barrier_wait -1
	s_and_saveexec_b32 s4, s2
	s_cbranch_execz .LBB222_54
; %bb.31:
	v_dual_mov_b32 v1, 0 :: v_dual_lshrrev_b32 v2, 3, v0
	v_xor_b32_e32 v4, 31, v28
	s_wait_xcnt 0x0
	v_cmp_lt_u32_e64 s0, 31, v0
	v_cmp_lt_u32_e64 s1, 63, v0
	v_and_b32_e32 v5, 12, v2
	v_cmp_lt_u32_e64 s2, 0x5f, v0
	v_add3_u32 v3, v29, 0, 0x400
	v_lshrrev_b32_e64 v2, v4, -1
	s_mov_b32 s5, 0
	v_dual_mov_b32 v5, 0 :: v_dual_add_nc_u32 v4, 0, v5
	v_cmp_eq_u32_e32 vcc_lo, 0x7f, v0
	s_branch .LBB222_33
.LBB222_32:                             ;   in Loop: Header=BB222_33 Depth=1
	s_or_b32 exec_lo, exec_lo, s3
	s_wait_dscnt 0x0
	s_barrier_signal -1
	s_barrier_wait -1
	ds_load_b32 v6, v1 offset:5132
	v_add_co_u32 v26, s3, 0x80, v26
	s_xor_b32 s3, s3, -1
	v_add_nc_u32_e32 v3, 0x800, v3
	v_add_nc_u32_e32 v27, 0x200, v27
	s_and_b32 s3, exec_lo, s3
	s_delay_alu instid0(SALU_CYCLE_1)
	s_or_b32 s5, s3, s5
	s_wait_dscnt 0x0
	v_add_nc_u32_e32 v5, v6, v5
	s_and_not1_b32 exec_lo, exec_lo, s5
	s_cbranch_execz .LBB222_54
.LBB222_33:                             ; =>This Inner Loop Header: Depth=1
	ds_load_b32 v6, v27
	ds_load_2addr_b64 v[8:11], v3 offset1:1
	s_wait_dscnt 0x1
	v_cmp_gt_i32_e64 s3, s33, v6
	s_wait_dscnt 0x0
	scratch_store_b128 off, v[8:11], off
	s_wait_storecnt 0x0
	s_barrier_signal -1
	s_barrier_wait -1
	s_bcnt1_i32_b32 s6, s3
	s_wait_xcnt 0x0
	v_dual_mov_b32 v8, s6 :: v_dual_bitop2_b32 v7, s3, v2 bitop3:0x40
	s_delay_alu instid0(VALU_DEP_1)
	v_bcnt_u32_b32 v7, v7, 0
	ds_store_b32 v4, v8 offset:5120
	s_wait_dscnt 0x0
	s_barrier_signal -1
	s_barrier_wait -1
	s_and_saveexec_b32 s6, s0
	s_cbranch_execz .LBB222_38
; %bb.34:                               ;   in Loop: Header=BB222_33 Depth=1
	ds_load_b32 v8, v1 offset:5120
	s_wait_dscnt 0x0
	v_add_nc_u32_e32 v7, v8, v7
	s_or_b32 exec_lo, exec_lo, s6
	s_and_saveexec_b32 s6, s1
	s_cbranch_execnz .LBB222_39
.LBB222_35:                             ;   in Loop: Header=BB222_33 Depth=1
	s_or_b32 exec_lo, exec_lo, s6
	s_and_saveexec_b32 s6, s2
	s_cbranch_execz .LBB222_40
.LBB222_36:                             ;   in Loop: Header=BB222_33 Depth=1
	ds_load_b32 v8, v1 offset:5128
	s_wait_dscnt 0x0
	v_add_nc_u32_e32 v7, v8, v7
	s_or_b32 exec_lo, exec_lo, s6
	s_and_saveexec_b32 s6, s3
	s_cbranch_execnz .LBB222_41
.LBB222_37:                             ;   in Loop: Header=BB222_33 Depth=1
	s_or_b32 exec_lo, exec_lo, s6
	s_and_saveexec_b32 s3, vcc_lo
	s_cbranch_execz .LBB222_32
	s_branch .LBB222_42
.LBB222_38:                             ;   in Loop: Header=BB222_33 Depth=1
	s_or_b32 exec_lo, exec_lo, s6
	s_and_saveexec_b32 s6, s1
	s_cbranch_execz .LBB222_35
.LBB222_39:                             ;   in Loop: Header=BB222_33 Depth=1
	ds_load_b32 v8, v1 offset:5124
	s_wait_dscnt 0x0
	v_add_nc_u32_e32 v7, v8, v7
	s_or_b32 exec_lo, exec_lo, s6
	s_and_saveexec_b32 s6, s2
	s_cbranch_execnz .LBB222_36
.LBB222_40:                             ;   in Loop: Header=BB222_33 Depth=1
	s_or_b32 exec_lo, exec_lo, s6
	s_and_saveexec_b32 s6, s3
	s_cbranch_execz .LBB222_37
.LBB222_41:                             ;   in Loop: Header=BB222_33 Depth=1
	scratch_load_b128 v[8:11], off, off
	v_add3_u32 v12, v5, -1, v7
	v_add_nc_u32_e32 v13, v5, v7
	s_delay_alu instid0(VALU_DEP_2) | instskip(NEXT) | instid1(VALU_DEP_2)
	v_lshl_add_u32 v12, v12, 2, 0
	v_lshl_add_u32 v13, v13, 4, 0
	ds_store_b32 v12, v6
	s_wait_loadcnt 0x0
	ds_store_2addr_b64 v13, v[8:9], v[10:11] offset0:126 offset1:127
	s_or_b32 exec_lo, exec_lo, s6
	s_and_saveexec_b32 s3, vcc_lo
	s_cbranch_execz .LBB222_32
.LBB222_42:                             ;   in Loop: Header=BB222_33 Depth=1
	ds_store_b32 v1, v7 offset:5132
	s_branch .LBB222_32
.LBB222_43:                             ;   in Loop: Header=BB222_45 Depth=1
	s_or_b32 exec_lo, exec_lo, s12
.LBB222_44:                             ;   in Loop: Header=BB222_45 Depth=1
	s_delay_alu instid0(SALU_CYCLE_1)
	s_or_b32 exec_lo, exec_lo, s3
	s_wait_loadcnt 0x0
	v_mul_f64_e64 v[12:13], v[4:5], -v[6:7]
	v_mul_f64_e32 v[4:5], v[8:9], v[4:5]
	v_lshl_add_u32 v1, v1, 4, 0
	v_add_nc_u64_e32 v[10:11], 0x80, v[10:11]
	s_delay_alu instid0(VALU_DEP_1)
	v_cmp_le_i64_e32 vcc_lo, s[4:5], v[10:11]
	s_or_b32 s1, vcc_lo, s1
	v_fmac_f64_e32 v[12:13], v[8:9], v[2:3]
	v_fmac_f64_e32 v[4:5], v[6:7], v[2:3]
	ds_add_f64 v1, v[12:13] offset:1024
	ds_add_f64 v1, v[4:5] offset:1032
	s_and_not1_b32 exec_lo, exec_lo, s1
	s_cbranch_execz .LBB222_29
.LBB222_45:                             ; =>This Loop Header: Depth=1
                                        ;     Child Loop BB222_48 Depth 2
	v_lshl_add_u64 v[2:3], v[10:11], 2, s[6:7]
	s_mov_b32 s3, exec_lo
	global_load_b32 v1, v[2:3], off
	s_wait_xcnt 0x0
	v_lshl_add_u64 v[2:3], v[10:11], 4, s[8:9]
	global_load_b128 v[2:5], v[2:3], off
	s_wait_loadcnt 0x1
	v_subrev_nc_u32_e32 v12, s23, v1
	s_delay_alu instid0(VALU_DEP_1) | instskip(NEXT) | instid1(VALU_DEP_1)
	v_mul_lo_u32 v1, 0x89, v12
	v_and_b32_e32 v1, 0xff, v1
	s_delay_alu instid0(VALU_DEP_1)
	v_lshl_add_u32 v13, v1, 2, 0
	ds_load_b32 v14, v13
	s_wait_dscnt 0x0
	s_wait_xcnt 0x0
	v_cmpx_ne_u32_e64 v14, v12
	s_cbranch_execz .LBB222_44
; %bb.46:                               ;   in Loop: Header=BB222_45 Depth=1
	s_mov_b32 s12, 0
	s_branch .LBB222_48
.LBB222_47:                             ;   in Loop: Header=BB222_48 Depth=2
	s_or_b32 exec_lo, exec_lo, s15
	s_delay_alu instid0(SALU_CYCLE_1) | instskip(NEXT) | instid1(SALU_CYCLE_1)
	s_and_b32 s13, exec_lo, s14
	s_or_b32 s12, s13, s12
	s_delay_alu instid0(SALU_CYCLE_1)
	s_and_not1_b32 exec_lo, exec_lo, s12
	s_cbranch_execz .LBB222_43
.LBB222_48:                             ;   Parent Loop BB222_45 Depth=1
                                        ; =>  This Inner Loop Header: Depth=2
	s_mov_b32 s13, 0
	s_mov_b32 s14, exec_lo
	v_cmpx_ne_u32_e64 s33, v14
	s_xor_b32 s14, exec_lo, s14
	s_cbranch_execz .LBB222_50
; %bb.49:                               ;   in Loop: Header=BB222_48 Depth=2
	v_add_nc_u32_e32 v1, 1, v1
	s_mov_b32 s13, exec_lo
                                        ; implicit-def: $vgpr13
	s_delay_alu instid0(VALU_DEP_1)
	v_and_b32_e32 v1, 0xff, v1
	s_and_not1_saveexec_b32 s14, s14
	s_cbranch_execz .LBB222_52
	s_branch .LBB222_51
.LBB222_50:                             ;   in Loop: Header=BB222_48 Depth=2
	s_and_not1_saveexec_b32 s14, s14
	s_cbranch_execz .LBB222_52
.LBB222_51:                             ;   in Loop: Header=BB222_48 Depth=2
	v_mov_b32_e32 v14, s33
	s_and_not1_b32 s13, s13, exec_lo
	ds_cmpstore_rtn_b32 v13, v13, v12, v14
	s_wait_dscnt 0x0
	v_cmp_ne_u32_e32 vcc_lo, s33, v13
	s_and_b32 s15, vcc_lo, exec_lo
	s_delay_alu instid0(SALU_CYCLE_1)
	s_or_b32 s13, s13, s15
.LBB222_52:                             ;   in Loop: Header=BB222_48 Depth=2
	s_or_b32 exec_lo, exec_lo, s14
	s_mov_b32 s14, -1
                                        ; implicit-def: $vgpr13
                                        ; implicit-def: $vgpr14
	s_and_saveexec_b32 s15, s13
	s_cbranch_execz .LBB222_47
; %bb.53:                               ;   in Loop: Header=BB222_48 Depth=2
	v_lshl_add_u32 v13, v1, 2, 0
	ds_load_b32 v14, v13
	s_wait_dscnt 0x0
	v_cmp_eq_u32_e32 vcc_lo, v14, v12
	s_or_not1_b32 s14, vcc_lo, exec_lo
	s_branch .LBB222_47
.LBB222_54:
	s_or_b32 exec_lo, exec_lo, s4
	s_wait_kmcnt 0x0
	s_ashr_i32 s29, s28, 31
	s_delay_alu instid0(SALU_CYCLE_1) | instskip(NEXT) | instid1(SALU_CYCLE_1)
	s_lshl_b64 s[0:1], s[28:29], 3
	s_add_nc_u64 s[4:5], s[10:11], s[0:1]
	s_load_b128 s[0:3], s[4:5], 0x0
	s_wait_xcnt 0x0
	s_mov_b32 s4, exec_lo
	s_wait_kmcnt 0x0
	s_sub_co_i32 s3, s2, s0
	s_delay_alu instid0(SALU_CYCLE_1)
	v_cmpx_gt_i32_e64 s3, v0
	s_cbranch_execz .LBB222_64
; %bb.55:
	s_sub_co_i32 s4, s0, s2
	s_and_b32 s2, s3, 7
	s_cmp_lt_u32 s4, -7
	s_mov_b32 s23, 0
	s_cselect_b32 s4, -1, 0
	s_and_b32 s5, s3, -8
	s_cmp_lg_u32 s2, 0
	s_sub_nc_u64 s[0:1], s[0:1], s[22:23]
	s_cselect_b32 s6, -1, 0
	s_mov_b32 s7, 0
	s_branch .LBB222_57
.LBB222_56:                             ;   in Loop: Header=BB222_57 Depth=1
	v_mad_u32 v1, v0, 12, v1
	v_add_nc_u32_e32 v0, 0x80, v0
	s_delay_alu instid0(VALU_DEP_3) | instskip(NEXT) | instid1(VALU_DEP_2)
	v_lshl_add_u64 v[2:3], v[2:3], 4, s[34:35]
	v_cmp_le_i32_e32 vcc_lo, s3, v0
	s_or_b32 s7, vcc_lo, s7
	s_wait_dscnt 0x0
	ds_load_2addr_b64 v[4:7], v1 offset0:128 offset1:129
	s_wait_dscnt 0x0
	global_store_b128 v[2:3], v[4:7], off
	s_wait_xcnt 0x0
	s_and_not1_b32 exec_lo, exec_lo, s7
	s_cbranch_execz .LBB222_64
.LBB222_57:                             ; =>This Loop Header: Depth=1
                                        ;     Child Loop BB222_59 Depth 2
                                        ;     Child Loop BB222_63 Depth 2
	v_lshl_add_u32 v1, v0, 2, 0
	v_mov_b64_e32 v[2:3], s[0:1]
	s_and_not1_b32 vcc_lo, exec_lo, s4
	s_mov_b32 s8, 0
	ds_load_b32 v4, v1
	s_cbranch_vccnz .LBB222_61
; %bb.58:                               ;   in Loop: Header=BB222_57 Depth=1
	v_mov_b64_e32 v[2:3], s[0:1]
	s_mov_b32 s9, 0
.LBB222_59:                             ;   Parent Loop BB222_57 Depth=1
                                        ; =>  This Inner Loop Header: Depth=2
	s_delay_alu instid0(SALU_CYCLE_1)
	v_dual_mov_b32 v5, s9 :: v_dual_mov_b32 v11, s23
	v_mov_b32_e32 v17, s23
	s_add_co_i32 s8, s8, 8
	s_add_co_i32 s9, s9, 32
	ds_load_2addr_b32 v[6:7], v5 offset1:1
	ds_load_2addr_b32 v[8:9], v5 offset0:2 offset1:3
	ds_load_2addr_b32 v[12:13], v5 offset0:4 offset1:5
	;; [unrolled: 1-line block ×3, first 2 shown]
	s_cmp_eq_u32 s5, s8
	s_wait_dscnt 0x3
	v_cmp_gt_i32_e32 vcc_lo, v4, v6
	v_cndmask_b32_e64 v10, 0, 1, vcc_lo
	v_cmp_gt_i32_e32 vcc_lo, v4, v7
	v_mov_b32_e32 v7, s23
	s_delay_alu instid0(VALU_DEP_3) | instskip(SKIP_4) | instid1(VALU_DEP_3)
	v_add_nc_u64_e32 v[2:3], v[2:3], v[10:11]
	v_cndmask_b32_e64 v16, 0, 1, vcc_lo
	s_wait_dscnt 0x2
	v_cmp_gt_i32_e32 vcc_lo, v4, v8
	v_cndmask_b32_e64 v6, 0, 1, vcc_lo
	v_add_nc_u64_e32 v[2:3], v[2:3], v[16:17]
	v_cmp_gt_i32_e32 vcc_lo, v4, v9
	v_mov_b32_e32 v9, s23
	v_cndmask_b32_e64 v10, 0, 1, vcc_lo
	s_delay_alu instid0(VALU_DEP_4) | instskip(SKIP_3) | instid1(VALU_DEP_3)
	v_add_nc_u64_e32 v[2:3], v[2:3], v[6:7]
	s_wait_dscnt 0x1
	v_cmp_gt_i32_e32 vcc_lo, v4, v12
	v_cndmask_b32_e64 v6, 0, 1, vcc_lo
	v_add_nc_u64_e32 v[2:3], v[2:3], v[10:11]
	v_cmp_gt_i32_e32 vcc_lo, v4, v13
	v_cndmask_b32_e64 v8, 0, 1, vcc_lo
	s_delay_alu instid0(VALU_DEP_3) | instskip(SKIP_3) | instid1(VALU_DEP_3)
	v_add_nc_u64_e32 v[2:3], v[2:3], v[6:7]
	s_wait_dscnt 0x0
	v_cmp_gt_i32_e32 vcc_lo, v4, v14
	v_cndmask_b32_e64 v6, 0, 1, vcc_lo
	v_add_nc_u64_e32 v[2:3], v[2:3], v[8:9]
	v_cmp_gt_i32_e32 vcc_lo, v4, v15
	v_cndmask_b32_e64 v8, 0, 1, vcc_lo
	s_delay_alu instid0(VALU_DEP_3) | instskip(NEXT) | instid1(VALU_DEP_1)
	v_add_nc_u64_e32 v[2:3], v[2:3], v[6:7]
	v_add_nc_u64_e32 v[2:3], v[2:3], v[8:9]
	s_cbranch_scc0 .LBB222_59
; %bb.60:                               ;   in Loop: Header=BB222_57 Depth=1
	s_mov_b32 s8, s5
.LBB222_61:                             ;   in Loop: Header=BB222_57 Depth=1
	s_and_not1_b32 vcc_lo, exec_lo, s6
	s_cbranch_vccnz .LBB222_56
; %bb.62:                               ;   in Loop: Header=BB222_57 Depth=1
	s_lshl_b32 s8, s8, 2
	s_mov_b32 s9, s2
	s_add_co_i32 s8, s8, 0
.LBB222_63:                             ;   Parent Loop BB222_57 Depth=1
                                        ; =>  This Inner Loop Header: Depth=2
	s_delay_alu instid0(SALU_CYCLE_1)
	v_dual_mov_b32 v5, s8 :: v_dual_mov_b32 v7, s23
	s_add_co_i32 s9, s9, -1
	s_add_co_i32 s8, s8, 4
	s_cmp_lg_u32 s9, 0
	ds_load_b32 v5, v5
	s_wait_dscnt 0x0
	v_cmp_gt_i32_e32 vcc_lo, v4, v5
	v_cndmask_b32_e64 v6, 0, 1, vcc_lo
	s_delay_alu instid0(VALU_DEP_1)
	v_add_nc_u64_e32 v[2:3], v[2:3], v[6:7]
	s_cbranch_scc1 .LBB222_63
	s_branch .LBB222_56
.LBB222_64:
	s_endpgm
	.section	.rodata,"a",@progbits
	.p2align	6, 0x0
	.amdhsa_kernel _ZN9rocsparseL41csrgemm_numeric_fill_block_per_row_kernelILj128ELj16ELj256ELj137ELj32Eli21rocsparse_complex_numIdEEEvT5_PKS3_S5_NS_24const_host_device_scalarIT6_EEPKT4_S5_PKS7_SB_S5_SD_S8_SB_S5_SD_SB_S5_PS7_21rocsparse_index_base_SF_SF_SF_bbb
		.amdhsa_group_segment_fixed_size 0
		.amdhsa_private_segment_fixed_size 40
		.amdhsa_kernarg_size 172
		.amdhsa_user_sgpr_count 2
		.amdhsa_user_sgpr_dispatch_ptr 0
		.amdhsa_user_sgpr_queue_ptr 0
		.amdhsa_user_sgpr_kernarg_segment_ptr 1
		.amdhsa_user_sgpr_dispatch_id 0
		.amdhsa_user_sgpr_kernarg_preload_length 0
		.amdhsa_user_sgpr_kernarg_preload_offset 0
		.amdhsa_user_sgpr_private_segment_size 0
		.amdhsa_wavefront_size32 1
		.amdhsa_uses_dynamic_stack 0
		.amdhsa_enable_private_segment 1
		.amdhsa_system_sgpr_workgroup_id_x 1
		.amdhsa_system_sgpr_workgroup_id_y 0
		.amdhsa_system_sgpr_workgroup_id_z 0
		.amdhsa_system_sgpr_workgroup_info 0
		.amdhsa_system_vgpr_workitem_id 0
		.amdhsa_next_free_vgpr 33
		.amdhsa_next_free_sgpr 42
		.amdhsa_named_barrier_count 0
		.amdhsa_reserve_vcc 1
		.amdhsa_float_round_mode_32 0
		.amdhsa_float_round_mode_16_64 0
		.amdhsa_float_denorm_mode_32 3
		.amdhsa_float_denorm_mode_16_64 3
		.amdhsa_fp16_overflow 0
		.amdhsa_memory_ordered 1
		.amdhsa_forward_progress 1
		.amdhsa_inst_pref_size 23
		.amdhsa_round_robin_scheduling 0
		.amdhsa_exception_fp_ieee_invalid_op 0
		.amdhsa_exception_fp_denorm_src 0
		.amdhsa_exception_fp_ieee_div_zero 0
		.amdhsa_exception_fp_ieee_overflow 0
		.amdhsa_exception_fp_ieee_underflow 0
		.amdhsa_exception_fp_ieee_inexact 0
		.amdhsa_exception_int_div_zero 0
	.end_amdhsa_kernel
	.section	.text._ZN9rocsparseL41csrgemm_numeric_fill_block_per_row_kernelILj128ELj16ELj256ELj137ELj32Eli21rocsparse_complex_numIdEEEvT5_PKS3_S5_NS_24const_host_device_scalarIT6_EEPKT4_S5_PKS7_SB_S5_SD_S8_SB_S5_SD_SB_S5_PS7_21rocsparse_index_base_SF_SF_SF_bbb,"axG",@progbits,_ZN9rocsparseL41csrgemm_numeric_fill_block_per_row_kernelILj128ELj16ELj256ELj137ELj32Eli21rocsparse_complex_numIdEEEvT5_PKS3_S5_NS_24const_host_device_scalarIT6_EEPKT4_S5_PKS7_SB_S5_SD_S8_SB_S5_SD_SB_S5_PS7_21rocsparse_index_base_SF_SF_SF_bbb,comdat
.Lfunc_end222:
	.size	_ZN9rocsparseL41csrgemm_numeric_fill_block_per_row_kernelILj128ELj16ELj256ELj137ELj32Eli21rocsparse_complex_numIdEEEvT5_PKS3_S5_NS_24const_host_device_scalarIT6_EEPKT4_S5_PKS7_SB_S5_SD_S8_SB_S5_SD_SB_S5_PS7_21rocsparse_index_base_SF_SF_SF_bbb, .Lfunc_end222-_ZN9rocsparseL41csrgemm_numeric_fill_block_per_row_kernelILj128ELj16ELj256ELj137ELj32Eli21rocsparse_complex_numIdEEEvT5_PKS3_S5_NS_24const_host_device_scalarIT6_EEPKT4_S5_PKS7_SB_S5_SD_S8_SB_S5_SD_SB_S5_PS7_21rocsparse_index_base_SF_SF_SF_bbb
                                        ; -- End function
	.set _ZN9rocsparseL41csrgemm_numeric_fill_block_per_row_kernelILj128ELj16ELj256ELj137ELj32Eli21rocsparse_complex_numIdEEEvT5_PKS3_S5_NS_24const_host_device_scalarIT6_EEPKT4_S5_PKS7_SB_S5_SD_S8_SB_S5_SD_SB_S5_PS7_21rocsparse_index_base_SF_SF_SF_bbb.num_vgpr, 33
	.set _ZN9rocsparseL41csrgemm_numeric_fill_block_per_row_kernelILj128ELj16ELj256ELj137ELj32Eli21rocsparse_complex_numIdEEEvT5_PKS3_S5_NS_24const_host_device_scalarIT6_EEPKT4_S5_PKS7_SB_S5_SD_S8_SB_S5_SD_SB_S5_PS7_21rocsparse_index_base_SF_SF_SF_bbb.num_agpr, 0
	.set _ZN9rocsparseL41csrgemm_numeric_fill_block_per_row_kernelILj128ELj16ELj256ELj137ELj32Eli21rocsparse_complex_numIdEEEvT5_PKS3_S5_NS_24const_host_device_scalarIT6_EEPKT4_S5_PKS7_SB_S5_SD_S8_SB_S5_SD_SB_S5_PS7_21rocsparse_index_base_SF_SF_SF_bbb.numbered_sgpr, 42
	.set _ZN9rocsparseL41csrgemm_numeric_fill_block_per_row_kernelILj128ELj16ELj256ELj137ELj32Eli21rocsparse_complex_numIdEEEvT5_PKS3_S5_NS_24const_host_device_scalarIT6_EEPKT4_S5_PKS7_SB_S5_SD_S8_SB_S5_SD_SB_S5_PS7_21rocsparse_index_base_SF_SF_SF_bbb.num_named_barrier, 0
	.set _ZN9rocsparseL41csrgemm_numeric_fill_block_per_row_kernelILj128ELj16ELj256ELj137ELj32Eli21rocsparse_complex_numIdEEEvT5_PKS3_S5_NS_24const_host_device_scalarIT6_EEPKT4_S5_PKS7_SB_S5_SD_S8_SB_S5_SD_SB_S5_PS7_21rocsparse_index_base_SF_SF_SF_bbb.private_seg_size, 40
	.set _ZN9rocsparseL41csrgemm_numeric_fill_block_per_row_kernelILj128ELj16ELj256ELj137ELj32Eli21rocsparse_complex_numIdEEEvT5_PKS3_S5_NS_24const_host_device_scalarIT6_EEPKT4_S5_PKS7_SB_S5_SD_S8_SB_S5_SD_SB_S5_PS7_21rocsparse_index_base_SF_SF_SF_bbb.uses_vcc, 1
	.set _ZN9rocsparseL41csrgemm_numeric_fill_block_per_row_kernelILj128ELj16ELj256ELj137ELj32Eli21rocsparse_complex_numIdEEEvT5_PKS3_S5_NS_24const_host_device_scalarIT6_EEPKT4_S5_PKS7_SB_S5_SD_S8_SB_S5_SD_SB_S5_PS7_21rocsparse_index_base_SF_SF_SF_bbb.uses_flat_scratch, 1
	.set _ZN9rocsparseL41csrgemm_numeric_fill_block_per_row_kernelILj128ELj16ELj256ELj137ELj32Eli21rocsparse_complex_numIdEEEvT5_PKS3_S5_NS_24const_host_device_scalarIT6_EEPKT4_S5_PKS7_SB_S5_SD_S8_SB_S5_SD_SB_S5_PS7_21rocsparse_index_base_SF_SF_SF_bbb.has_dyn_sized_stack, 0
	.set _ZN9rocsparseL41csrgemm_numeric_fill_block_per_row_kernelILj128ELj16ELj256ELj137ELj32Eli21rocsparse_complex_numIdEEEvT5_PKS3_S5_NS_24const_host_device_scalarIT6_EEPKT4_S5_PKS7_SB_S5_SD_S8_SB_S5_SD_SB_S5_PS7_21rocsparse_index_base_SF_SF_SF_bbb.has_recursion, 0
	.set _ZN9rocsparseL41csrgemm_numeric_fill_block_per_row_kernelILj128ELj16ELj256ELj137ELj32Eli21rocsparse_complex_numIdEEEvT5_PKS3_S5_NS_24const_host_device_scalarIT6_EEPKT4_S5_PKS7_SB_S5_SD_S8_SB_S5_SD_SB_S5_PS7_21rocsparse_index_base_SF_SF_SF_bbb.has_indirect_call, 0
	.section	.AMDGPU.csdata,"",@progbits
; Kernel info:
; codeLenInByte = 2936
; TotalNumSgprs: 44
; NumVgprs: 33
; ScratchSize: 40
; MemoryBound: 0
; FloatMode: 240
; IeeeMode: 1
; LDSByteSize: 0 bytes/workgroup (compile time only)
; SGPRBlocks: 0
; VGPRBlocks: 2
; NumSGPRsForWavesPerEU: 44
; NumVGPRsForWavesPerEU: 33
; NamedBarCnt: 0
; Occupancy: 16
; WaveLimiterHint : 1
; COMPUTE_PGM_RSRC2:SCRATCH_EN: 1
; COMPUTE_PGM_RSRC2:USER_SGPR: 2
; COMPUTE_PGM_RSRC2:TRAP_HANDLER: 0
; COMPUTE_PGM_RSRC2:TGID_X_EN: 1
; COMPUTE_PGM_RSRC2:TGID_Y_EN: 0
; COMPUTE_PGM_RSRC2:TGID_Z_EN: 0
; COMPUTE_PGM_RSRC2:TIDIG_COMP_CNT: 0
	.section	.text._ZN9rocsparseL41csrgemm_numeric_fill_block_per_row_kernelILj128ELj16ELj256ELj137ELj64Eli21rocsparse_complex_numIdEEEvT5_PKS3_S5_NS_24const_host_device_scalarIT6_EEPKT4_S5_PKS7_SB_S5_SD_S8_SB_S5_SD_SB_S5_PS7_21rocsparse_index_base_SF_SF_SF_bbb,"axG",@progbits,_ZN9rocsparseL41csrgemm_numeric_fill_block_per_row_kernelILj128ELj16ELj256ELj137ELj64Eli21rocsparse_complex_numIdEEEvT5_PKS3_S5_NS_24const_host_device_scalarIT6_EEPKT4_S5_PKS7_SB_S5_SD_S8_SB_S5_SD_SB_S5_PS7_21rocsparse_index_base_SF_SF_SF_bbb,comdat
	.globl	_ZN9rocsparseL41csrgemm_numeric_fill_block_per_row_kernelILj128ELj16ELj256ELj137ELj64Eli21rocsparse_complex_numIdEEEvT5_PKS3_S5_NS_24const_host_device_scalarIT6_EEPKT4_S5_PKS7_SB_S5_SD_S8_SB_S5_SD_SB_S5_PS7_21rocsparse_index_base_SF_SF_SF_bbb ; -- Begin function _ZN9rocsparseL41csrgemm_numeric_fill_block_per_row_kernelILj128ELj16ELj256ELj137ELj64Eli21rocsparse_complex_numIdEEEvT5_PKS3_S5_NS_24const_host_device_scalarIT6_EEPKT4_S5_PKS7_SB_S5_SD_S8_SB_S5_SD_SB_S5_PS7_21rocsparse_index_base_SF_SF_SF_bbb
	.p2align	8
	.type	_ZN9rocsparseL41csrgemm_numeric_fill_block_per_row_kernelILj128ELj16ELj256ELj137ELj64Eli21rocsparse_complex_numIdEEEvT5_PKS3_S5_NS_24const_host_device_scalarIT6_EEPKT4_S5_PKS7_SB_S5_SD_S8_SB_S5_SD_SB_S5_PS7_21rocsparse_index_base_SF_SF_SF_bbb,@function
_ZN9rocsparseL41csrgemm_numeric_fill_block_per_row_kernelILj128ELj16ELj256ELj137ELj64Eli21rocsparse_complex_numIdEEEvT5_PKS3_S5_NS_24const_host_device_scalarIT6_EEPKT4_S5_PKS7_SB_S5_SD_S8_SB_S5_SD_SB_S5_PS7_21rocsparse_index_base_SF_SF_SF_bbb: ; @_ZN9rocsparseL41csrgemm_numeric_fill_block_per_row_kernelILj128ELj16ELj256ELj137ELj64Eli21rocsparse_complex_numIdEEEvT5_PKS3_S5_NS_24const_host_device_scalarIT6_EEPKT4_S5_PKS7_SB_S5_SD_S8_SB_S5_SD_SB_S5_PS7_21rocsparse_index_base_SF_SF_SF_bbb
; %bb.0:
	s_clause 0x2
	s_load_b32 s12, s[0:1], 0xa8
	s_load_b128 s[8:11], s[0:1], 0x18
	s_load_b128 s[4:7], s[0:1], 0x58
	v_mov_b64_e32 v[6:7], 0
	v_mov_b64_e32 v[12:13], 0
	;; [unrolled: 1-line block ×3, first 2 shown]
	v_mbcnt_lo_u32_b32 v30, -1, 0
	s_wait_kmcnt 0x0
	s_bitcmp1_b32 s12, 0
	v_mov_b64_e32 v[2:3], s[8:9]
	s_cselect_b32 s36, -1, 0
	s_bitcmp1_b32 s12, 16
	v_mov_b64_e32 v[4:5], s[4:5]
	s_cselect_b32 s2, -1, 0
	s_clause 0x1
	scratch_store_b64 off, v[2:3], off offset:16
	scratch_store_b64 off, v[4:5], off offset:24
	s_xor_b32 s3, s2, -1
	s_bitcmp0_b32 s12, 0
	v_cndmask_b32_e64 v1, 0, 1, s3
	s_delay_alu instid0(VALU_DEP_1)
	v_cmp_ne_u32_e32 vcc_lo, 1, v1
	s_cbranch_scc1 .LBB223_3
; %bb.1:
	s_wait_xcnt 0x1
	v_dual_mov_b32 v2, 16 :: v_dual_lshlrev_b32 v3, 20, v30
	v_mov_b64_e32 v[14:15], s[10:11]
	s_and_b32 vcc_lo, exec_lo, vcc_lo
	s_delay_alu instid0(VALU_DEP_2) | instskip(NEXT) | instid1(VALU_DEP_1)
	v_add_nc_u64_e32 v[2:3], src_flat_scratch_base_lo, v[2:3]
	v_cndmask_b32_e64 v3, s9, v3, s2
	s_delay_alu instid0(VALU_DEP_2)
	v_cndmask_b32_e64 v2, s8, v2, s2
	flat_load_b64 v[12:13], v[2:3]
	s_cbranch_vccnz .LBB223_3
; %bb.2:
	v_mov_b32_e32 v1, 0
	flat_load_b64 v[14:15], v1, s[8:9] offset:8
.LBB223_3:
	s_load_b128 s[20:23], s[0:1], 0x98
	v_mov_b64_e32 v[8:9], 0
	s_bitcmp1_b32 s12, 8
	s_cselect_b32 s33, -1, 0
	s_bfe_u32 s8, s12, 0x10008
	s_delay_alu instid0(SALU_CYCLE_1)
	s_cmp_eq_u32 s8, 0
	s_cbranch_scc1 .LBB223_6
; %bb.4:
	v_dual_mov_b32 v2, 24 :: v_dual_lshlrev_b32 v3, 20, v30
	v_mov_b64_e32 v[6:7], s[6:7]
	s_and_not1_b32 vcc_lo, exec_lo, s3
	s_delay_alu instid0(VALU_DEP_2) | instskip(NEXT) | instid1(VALU_DEP_1)
	v_add_nc_u64_e32 v[2:3], src_flat_scratch_base_lo, v[2:3]
	v_cndmask_b32_e64 v3, s5, v3, s2
	s_delay_alu instid0(VALU_DEP_2)
	v_cndmask_b32_e64 v2, s4, v2, s2
	flat_load_b64 v[8:9], v[2:3]
	s_cbranch_vccnz .LBB223_6
; %bb.5:
	v_mov_b32_e32 v1, 0
	flat_load_b64 v[6:7], v1, s[4:5] offset:8
.LBB223_6:
	s_clause 0x1
	s_load_b128 s[28:31], s[0:1], 0x8
	s_load_b32 s3, s[0:1], 0x0
	v_cmp_gt_u32_e64 s2, 0x100, v0
	v_lshlrev_b32_e32 v31, 4, v0
	v_or_b32_e32 v28, 0xffffff80, v0
	v_lshl_add_u32 v29, v0, 2, 0
	s_and_saveexec_b32 s6, s2
	s_cbranch_execz .LBB223_9
; %bb.7:
	s_mov_b32 s4, 0
	v_add3_u32 v1, v31, 0, 0x400
	s_mov_b32 s5, s4
	s_mov_b32 s8, s4
	;; [unrolled: 1-line block ×3, first 2 shown]
	v_mov_b64_e32 v[2:3], s[4:5]
	v_mov_b64_e32 v[4:5], s[8:9]
	v_or_b32_e32 v10, 0xffffff80, v0
	v_lshl_add_u32 v11, v0, 2, 0
	s_wait_kmcnt 0x0
	v_mov_b32_e32 v16, s3
.LBB223_8:                              ; =>This Inner Loop Header: Depth=1
	s_delay_alu instid0(VALU_DEP_3)
	v_add_co_u32 v10, s5, 0x80, v10
	s_xor_b32 s5, s5, -1
	ds_store_b32 v11, v16
	ds_store_2addr_b64 v1, v[2:3], v[4:5] offset1:1
	v_add_nc_u32_e32 v1, 0x800, v1
	v_add_nc_u32_e32 v11, 0x200, v11
	s_and_b32 s5, exec_lo, s5
	s_delay_alu instid0(SALU_CYCLE_1) | instskip(NEXT) | instid1(SALU_CYCLE_1)
	s_or_b32 s4, s5, s4
	s_and_not1_b32 exec_lo, exec_lo, s4
	s_cbranch_execnz .LBB223_8
.LBB223_9:
	s_or_b32 exec_lo, exec_lo, s6
	s_clause 0x3
	s_load_b64 s[34:35], s[0:1], 0x90
	s_load_b256 s[4:11], s[0:1], 0x68
	s_load_b128 s[24:27], s[0:1], 0x48
	s_load_b256 s[12:19], s[0:1], 0x28
	s_wait_storecnt 0x0
	s_wait_loadcnt_dscnt 0x0
	s_barrier_signal -1
	s_barrier_wait -1
	s_wait_kmcnt 0x0
	s_load_b32 s0, s[28:29], 0x0
	s_bfe_u32 s1, ttmp6, 0x4000c
	s_wait_xcnt 0x0
	s_and_b32 s28, ttmp6, 15
	s_add_co_i32 s1, s1, 1
	s_getreg_b32 s29, hwreg(HW_REG_IB_STS2, 6, 4)
	s_mul_i32 s1, ttmp9, s1
	v_lshrrev_b32_e32 v10, 4, v0
	s_add_co_i32 s28, s28, s1
	s_cmp_eq_u32 s29, 0
	s_cselect_b32 s1, ttmp9, s28
	s_and_b32 vcc_lo, exec_lo, s36
	s_wait_kmcnt 0x0
	s_add_co_i32 s0, s0, s1
	s_mov_b32 s1, 0
	s_load_b32 s28, s[30:31], s0 offset:0x0 scale_offset
	s_cbranch_vccz .LBB223_27
; %bb.10:
	s_wait_kmcnt 0x0
	s_ashr_i32 s29, s28, 31
	v_mov_b32_e32 v11, 0
	s_lshl_b64 s[30:31], s[28:29], 3
	s_mov_b32 s0, s20
	s_add_nc_u64 s[12:13], s[12:13], s[30:31]
	s_mov_b32 s29, exec_lo
	s_load_b128 s[36:39], s[12:13], 0x0
	v_sub_nc_u64_e64 v[2:3], v[10:11], s[0:1]
	s_wait_kmcnt 0x0
	s_delay_alu instid0(VALU_DEP_1)
	v_add_nc_u64_e32 v[16:17], s[36:37], v[2:3]
	s_sub_nc_u64 s[0:1], s[38:39], s[0:1]
	s_delay_alu instid0(VALU_DEP_1) | instid1(SALU_CYCLE_1)
	v_cmpx_gt_i64_e64 s[0:1], v[16:17]
	s_cbranch_execz .LBB223_26
; %bb.11:
	v_dual_mov_b32 v3, v11 :: v_dual_bitop2_b32 v2, 15, v0 bitop3:0x40
	s_mov_b32 s13, 0
	s_mov_b32 s12, s21
	;; [unrolled: 1-line block ×3, first 2 shown]
	s_delay_alu instid0(VALU_DEP_1)
	v_sub_nc_u64_e64 v[18:19], v[2:3], s[12:13]
	s_branch .LBB223_13
.LBB223_12:                             ;   in Loop: Header=BB223_13 Depth=1
	s_or_b32 exec_lo, exec_lo, s31
	v_add_nc_u64_e32 v[16:17], 8, v[16:17]
	s_delay_alu instid0(VALU_DEP_1) | instskip(SKIP_1) | instid1(SALU_CYCLE_1)
	v_cmp_le_i64_e32 vcc_lo, s[0:1], v[16:17]
	s_or_b32 s30, vcc_lo, s30
	s_and_not1_b32 exec_lo, exec_lo, s30
	s_cbranch_execz .LBB223_26
.LBB223_13:                             ; =>This Loop Header: Depth=1
                                        ;     Child Loop BB223_17 Depth 2
                                        ;       Child Loop BB223_20 Depth 3
	v_lshl_add_u64 v[2:3], v[16:17], 2, s[14:15]
	s_mov_b32 s31, exec_lo
	global_load_b32 v1, v[2:3], off
	s_wait_loadcnt 0x0
	s_wait_xcnt 0x0
	v_subrev_nc_u32_e32 v2, s20, v1
	s_delay_alu instid0(VALU_DEP_1) | instskip(NEXT) | instid1(VALU_DEP_1)
	v_ashrrev_i32_e32 v3, 31, v2
	v_lshl_add_u64 v[2:3], v[2:3], 3, s[18:19]
	global_load_b128 v[2:5], v[2:3], off
	s_wait_loadcnt 0x0
	v_sub_nc_u64_e64 v[20:21], v[4:5], s[12:13]
	v_add_nc_u64_e32 v[22:23], v[2:3], v[18:19]
	s_wait_xcnt 0x0
	s_delay_alu instid0(VALU_DEP_1)
	v_cmpx_lt_i64_e64 v[22:23], v[20:21]
	s_cbranch_execz .LBB223_12
; %bb.14:                               ;   in Loop: Header=BB223_13 Depth=1
	v_lshl_add_u64 v[2:3], v[16:17], 4, s[16:17]
	s_mov_b32 s36, 0
	global_load_b128 v[2:5], v[2:3], off
	s_wait_loadcnt 0x0
	v_mul_f64_e64 v[24:25], v[4:5], -v[14:15]
	v_mul_f64_e32 v[26:27], v[12:13], v[4:5]
	s_delay_alu instid0(VALU_DEP_2) | instskip(NEXT) | instid1(VALU_DEP_2)
	v_fmac_f64_e32 v[24:25], v[12:13], v[2:3]
	v_fmac_f64_e32 v[26:27], v[14:15], v[2:3]
	s_branch .LBB223_17
.LBB223_15:                             ;   in Loop: Header=BB223_17 Depth=2
	s_or_b32 exec_lo, exec_lo, s38
.LBB223_16:                             ;   in Loop: Header=BB223_17 Depth=2
	s_delay_alu instid0(SALU_CYCLE_1)
	s_or_b32 exec_lo, exec_lo, s37
	s_wait_loadcnt 0x0
	v_mul_f64_e64 v[32:33], v[4:5], -v[26:27]
	v_mul_f64_e32 v[4:5], v[24:25], v[4:5]
	v_lshl_add_u32 v1, v1, 4, 0
	v_add_nc_u64_e32 v[22:23], 16, v[22:23]
	s_delay_alu instid0(VALU_DEP_1)
	v_cmp_ge_i64_e32 vcc_lo, v[22:23], v[20:21]
	s_or_b32 s36, vcc_lo, s36
	v_fmac_f64_e32 v[32:33], v[24:25], v[2:3]
	v_fmac_f64_e32 v[4:5], v[26:27], v[2:3]
	ds_add_f64 v1, v[32:33] offset:1024
	ds_add_f64 v1, v[4:5] offset:1032
	s_and_not1_b32 exec_lo, exec_lo, s36
	s_cbranch_execz .LBB223_12
.LBB223_17:                             ;   Parent Loop BB223_13 Depth=1
                                        ; =>  This Loop Header: Depth=2
                                        ;       Child Loop BB223_20 Depth 3
	s_wait_xcnt 0x0
	v_lshl_add_u64 v[2:3], v[22:23], 2, s[24:25]
	s_mov_b32 s37, exec_lo
	global_load_b32 v1, v[2:3], off
	s_wait_xcnt 0x0
	v_lshl_add_u64 v[2:3], v[22:23], 4, s[26:27]
	global_load_b128 v[2:5], v[2:3], off
	s_wait_loadcnt 0x1
	v_subrev_nc_u32_e32 v11, s21, v1
	s_delay_alu instid0(VALU_DEP_1) | instskip(NEXT) | instid1(VALU_DEP_1)
	v_mul_lo_u32 v1, 0x89, v11
	v_and_b32_e32 v1, 0xff, v1
	s_delay_alu instid0(VALU_DEP_1)
	v_lshl_add_u32 v32, v1, 2, 0
	ds_load_b32 v33, v32
	s_wait_dscnt 0x0
	s_wait_xcnt 0x0
	v_cmpx_ne_u32_e64 v33, v11
	s_cbranch_execz .LBB223_16
; %bb.18:                               ;   in Loop: Header=BB223_17 Depth=2
	s_mov_b32 s38, 0
	s_branch .LBB223_20
.LBB223_19:                             ;   in Loop: Header=BB223_20 Depth=3
	s_or_b32 exec_lo, exec_lo, s41
	s_delay_alu instid0(SALU_CYCLE_1) | instskip(NEXT) | instid1(SALU_CYCLE_1)
	s_and_b32 s39, exec_lo, s40
	s_or_b32 s38, s39, s38
	s_delay_alu instid0(SALU_CYCLE_1)
	s_and_not1_b32 exec_lo, exec_lo, s38
	s_cbranch_execz .LBB223_15
.LBB223_20:                             ;   Parent Loop BB223_13 Depth=1
                                        ;     Parent Loop BB223_17 Depth=2
                                        ; =>    This Inner Loop Header: Depth=3
	s_mov_b32 s39, 0
	s_mov_b32 s40, exec_lo
	v_cmpx_ne_u32_e64 s3, v33
	s_xor_b32 s40, exec_lo, s40
	s_cbranch_execz .LBB223_22
; %bb.21:                               ;   in Loop: Header=BB223_20 Depth=3
	v_add_nc_u32_e32 v1, 1, v1
	s_mov_b32 s39, exec_lo
                                        ; implicit-def: $vgpr32
	s_delay_alu instid0(VALU_DEP_1)
	v_and_b32_e32 v1, 0xff, v1
	s_and_not1_saveexec_b32 s40, s40
	s_cbranch_execz .LBB223_24
	s_branch .LBB223_23
.LBB223_22:                             ;   in Loop: Header=BB223_20 Depth=3
	s_and_not1_saveexec_b32 s40, s40
	s_cbranch_execz .LBB223_24
.LBB223_23:                             ;   in Loop: Header=BB223_20 Depth=3
	v_mov_b32_e32 v33, s3
	s_and_not1_b32 s39, s39, exec_lo
	ds_cmpstore_rtn_b32 v32, v32, v11, v33
	s_wait_dscnt 0x0
	v_cmp_ne_u32_e32 vcc_lo, s3, v32
	s_and_b32 s41, vcc_lo, exec_lo
	s_delay_alu instid0(SALU_CYCLE_1)
	s_or_b32 s39, s39, s41
.LBB223_24:                             ;   in Loop: Header=BB223_20 Depth=3
	s_or_b32 exec_lo, exec_lo, s40
	s_mov_b32 s40, -1
                                        ; implicit-def: $vgpr32
                                        ; implicit-def: $vgpr33
	s_and_saveexec_b32 s41, s39
	s_cbranch_execz .LBB223_19
; %bb.25:                               ;   in Loop: Header=BB223_20 Depth=3
	v_lshl_add_u32 v32, v1, 2, 0
	ds_load_b32 v33, v32
	s_wait_dscnt 0x0
	v_cmp_eq_u32_e32 vcc_lo, v33, v11
	s_or_not1_b32 s40, vcc_lo, exec_lo
	s_branch .LBB223_19
.LBB223_26:
	s_or_b32 exec_lo, exec_lo, s29
.LBB223_27:
	s_delay_alu instid0(SALU_CYCLE_1)
	s_and_not1_b32 vcc_lo, exec_lo, s33
	s_cbranch_vccnz .LBB223_30
; %bb.28:
	s_wait_kmcnt 0x0
	s_ashr_i32 s29, s28, 31
	v_mov_b32_e32 v1, 0
	s_lshl_b64 s[0:1], s[28:29], 3
	s_delay_alu instid0(SALU_CYCLE_1) | instskip(SKIP_4) | instid1(SALU_CYCLE_1)
	s_add_nc_u64 s[0:1], s[4:5], s[0:1]
	s_load_b128 s[12:15], s[0:1], 0x0
	s_wait_xcnt 0x0
	s_mov_b32 s1, 0
	s_mov_b32 s0, s23
	v_sub_nc_u64_e64 v[2:3], v[0:1], s[0:1]
	s_wait_kmcnt 0x0
	s_delay_alu instid0(VALU_DEP_1) | instskip(SKIP_2) | instid1(VALU_DEP_1)
	v_add_nc_u64_e32 v[12:13], s[12:13], v[2:3]
	s_sub_nc_u64 s[4:5], s[14:15], s[0:1]
	s_mov_b32 s0, exec_lo
	v_cmpx_gt_i64_e64 s[4:5], v[12:13]
	s_cbranch_execnz .LBB223_41
.LBB223_29:
	s_or_b32 exec_lo, exec_lo, s0
.LBB223_30:
	s_wait_dscnt 0x0
	s_barrier_signal -1
	s_barrier_wait -1
	s_and_saveexec_b32 s4, s2
	s_cbranch_execz .LBB223_50
; %bb.31:
	v_dual_mov_b32 v1, 0 :: v_dual_bitop2_b32 v2, 31, v30 bitop3:0x14
	v_dual_mov_b32 v5, 0 :: v_dual_bitop2_b32 v3, 4, v10 bitop3:0x40
	s_wait_xcnt 0x0
	v_cmp_eq_u32_e64 s0, 0x7f, v0
	s_delay_alu instid0(VALU_DEP_3)
	v_lshrrev_b32_e64 v2, v2, -1
	v_add3_u32 v4, v31, 0, 0x400
	v_add_nc_u32_e32 v3, 0, v3
	s_mov_b32 s2, 0
	v_cmp_lt_u32_e32 vcc_lo, 63, v0
	s_branch .LBB223_33
.LBB223_32:                             ;   in Loop: Header=BB223_33 Depth=1
	s_or_b32 exec_lo, exec_lo, s1
	s_wait_dscnt 0x0
	s_barrier_signal -1
	s_barrier_wait -1
	ds_load_b32 v6, v1 offset:5124
	v_add_co_u32 v28, s1, 0x80, v28
	s_xor_b32 s1, s1, -1
	v_add_nc_u32_e32 v4, 0x800, v4
	v_add_nc_u32_e32 v29, 0x200, v29
	s_and_b32 s1, exec_lo, s1
	s_delay_alu instid0(SALU_CYCLE_1)
	s_or_b32 s2, s1, s2
	s_wait_dscnt 0x0
	v_add_nc_u32_e32 v5, v6, v5
	s_and_not1_b32 exec_lo, exec_lo, s2
	s_cbranch_execz .LBB223_50
.LBB223_33:                             ; =>This Inner Loop Header: Depth=1
	ds_load_b32 v6, v29
	ds_load_2addr_b64 v[8:11], v4 offset1:1
	s_wait_dscnt 0x1
	v_cmp_gt_i32_e64 s1, s3, v6
	s_wait_dscnt 0x0
	scratch_store_b128 off, v[8:11], off
	s_wait_storecnt 0x0
	s_barrier_signal -1
	s_barrier_wait -1
	s_bcnt1_i32_b32 s5, s1
	s_wait_xcnt 0x0
	v_dual_mov_b32 v8, s5 :: v_dual_bitop2_b32 v7, s1, v2 bitop3:0x40
	s_delay_alu instid0(VALU_DEP_1)
	v_bcnt_u32_b32 v7, v7, 0
	ds_store_b32 v3, v8 offset:5120
	s_wait_dscnt 0x0
	s_barrier_signal -1
	s_barrier_wait -1
	s_and_saveexec_b32 s5, vcc_lo
	s_cbranch_execz .LBB223_36
; %bb.34:                               ;   in Loop: Header=BB223_33 Depth=1
	ds_load_b32 v8, v1 offset:5120
	s_wait_dscnt 0x0
	v_add_nc_u32_e32 v7, v8, v7
	s_or_b32 exec_lo, exec_lo, s5
	s_and_saveexec_b32 s5, s1
	s_cbranch_execnz .LBB223_37
.LBB223_35:                             ;   in Loop: Header=BB223_33 Depth=1
	s_or_b32 exec_lo, exec_lo, s5
	s_and_saveexec_b32 s1, s0
	s_cbranch_execz .LBB223_32
	s_branch .LBB223_38
.LBB223_36:                             ;   in Loop: Header=BB223_33 Depth=1
	s_or_b32 exec_lo, exec_lo, s5
	s_and_saveexec_b32 s5, s1
	s_cbranch_execz .LBB223_35
.LBB223_37:                             ;   in Loop: Header=BB223_33 Depth=1
	scratch_load_b128 v[8:11], off, off
	v_add3_u32 v12, v5, -1, v7
	v_add_nc_u32_e32 v13, v5, v7
	s_delay_alu instid0(VALU_DEP_2) | instskip(NEXT) | instid1(VALU_DEP_2)
	v_lshl_add_u32 v12, v12, 2, 0
	v_lshl_add_u32 v13, v13, 4, 0
	ds_store_b32 v12, v6
	s_wait_loadcnt 0x0
	ds_store_2addr_b64 v13, v[8:9], v[10:11] offset0:126 offset1:127
	s_or_b32 exec_lo, exec_lo, s5
	s_and_saveexec_b32 s1, s0
	s_cbranch_execz .LBB223_32
.LBB223_38:                             ;   in Loop: Header=BB223_33 Depth=1
	ds_store_b32 v1, v7 offset:5124
	s_branch .LBB223_32
.LBB223_39:                             ;   in Loop: Header=BB223_41 Depth=1
	s_or_b32 exec_lo, exec_lo, s13
.LBB223_40:                             ;   in Loop: Header=BB223_41 Depth=1
	s_delay_alu instid0(SALU_CYCLE_1)
	s_or_b32 exec_lo, exec_lo, s12
	s_wait_loadcnt 0x0
	v_mul_f64_e64 v[14:15], v[4:5], -v[6:7]
	v_mul_f64_e32 v[4:5], v[8:9], v[4:5]
	v_lshl_add_u32 v1, v1, 4, 0
	v_add_nc_u64_e32 v[12:13], 0x80, v[12:13]
	s_delay_alu instid0(VALU_DEP_1)
	v_cmp_le_i64_e32 vcc_lo, s[4:5], v[12:13]
	s_or_b32 s1, vcc_lo, s1
	v_fmac_f64_e32 v[14:15], v[8:9], v[2:3]
	v_fmac_f64_e32 v[4:5], v[6:7], v[2:3]
	ds_add_f64 v1, v[14:15] offset:1024
	ds_add_f64 v1, v[4:5] offset:1032
	s_and_not1_b32 exec_lo, exec_lo, s1
	s_cbranch_execz .LBB223_29
.LBB223_41:                             ; =>This Loop Header: Depth=1
                                        ;     Child Loop BB223_44 Depth 2
	v_lshl_add_u64 v[2:3], v[12:13], 2, s[6:7]
	s_mov_b32 s12, exec_lo
	global_load_b32 v1, v[2:3], off
	s_wait_xcnt 0x0
	v_lshl_add_u64 v[2:3], v[12:13], 4, s[8:9]
	global_load_b128 v[2:5], v[2:3], off
	s_wait_loadcnt 0x1
	v_subrev_nc_u32_e32 v11, s23, v1
	s_delay_alu instid0(VALU_DEP_1) | instskip(NEXT) | instid1(VALU_DEP_1)
	v_mul_lo_u32 v1, 0x89, v11
	v_and_b32_e32 v1, 0xff, v1
	s_delay_alu instid0(VALU_DEP_1)
	v_lshl_add_u32 v14, v1, 2, 0
	ds_load_b32 v15, v14
	s_wait_dscnt 0x0
	s_wait_xcnt 0x0
	v_cmpx_ne_u32_e64 v15, v11
	s_cbranch_execz .LBB223_40
; %bb.42:                               ;   in Loop: Header=BB223_41 Depth=1
	s_mov_b32 s13, 0
	s_branch .LBB223_44
.LBB223_43:                             ;   in Loop: Header=BB223_44 Depth=2
	s_or_b32 exec_lo, exec_lo, s16
	s_delay_alu instid0(SALU_CYCLE_1) | instskip(NEXT) | instid1(SALU_CYCLE_1)
	s_and_b32 s14, exec_lo, s15
	s_or_b32 s13, s14, s13
	s_delay_alu instid0(SALU_CYCLE_1)
	s_and_not1_b32 exec_lo, exec_lo, s13
	s_cbranch_execz .LBB223_39
.LBB223_44:                             ;   Parent Loop BB223_41 Depth=1
                                        ; =>  This Inner Loop Header: Depth=2
	s_mov_b32 s14, 0
	s_mov_b32 s15, exec_lo
	v_cmpx_ne_u32_e64 s3, v15
	s_xor_b32 s15, exec_lo, s15
	s_cbranch_execz .LBB223_46
; %bb.45:                               ;   in Loop: Header=BB223_44 Depth=2
	v_add_nc_u32_e32 v1, 1, v1
	s_mov_b32 s14, exec_lo
                                        ; implicit-def: $vgpr14
	s_delay_alu instid0(VALU_DEP_1)
	v_and_b32_e32 v1, 0xff, v1
	s_and_not1_saveexec_b32 s15, s15
	s_cbranch_execz .LBB223_48
	s_branch .LBB223_47
.LBB223_46:                             ;   in Loop: Header=BB223_44 Depth=2
	s_and_not1_saveexec_b32 s15, s15
	s_cbranch_execz .LBB223_48
.LBB223_47:                             ;   in Loop: Header=BB223_44 Depth=2
	v_mov_b32_e32 v15, s3
	s_and_not1_b32 s14, s14, exec_lo
	ds_cmpstore_rtn_b32 v14, v14, v11, v15
	s_wait_dscnt 0x0
	v_cmp_ne_u32_e32 vcc_lo, s3, v14
	s_and_b32 s16, vcc_lo, exec_lo
	s_delay_alu instid0(SALU_CYCLE_1)
	s_or_b32 s14, s14, s16
.LBB223_48:                             ;   in Loop: Header=BB223_44 Depth=2
	s_or_b32 exec_lo, exec_lo, s15
	s_mov_b32 s15, -1
                                        ; implicit-def: $vgpr14
                                        ; implicit-def: $vgpr15
	s_and_saveexec_b32 s16, s14
	s_cbranch_execz .LBB223_43
; %bb.49:                               ;   in Loop: Header=BB223_44 Depth=2
	v_lshl_add_u32 v14, v1, 2, 0
	ds_load_b32 v15, v14
	s_wait_dscnt 0x0
	v_cmp_eq_u32_e32 vcc_lo, v15, v11
	s_or_not1_b32 s15, vcc_lo, exec_lo
	s_branch .LBB223_43
.LBB223_50:
	s_or_b32 exec_lo, exec_lo, s4
	s_wait_kmcnt 0x0
	s_ashr_i32 s29, s28, 31
	s_delay_alu instid0(SALU_CYCLE_1) | instskip(NEXT) | instid1(SALU_CYCLE_1)
	s_lshl_b64 s[0:1], s[28:29], 3
	s_add_nc_u64 s[4:5], s[10:11], s[0:1]
	s_load_b128 s[0:3], s[4:5], 0x0
	s_wait_xcnt 0x0
	s_mov_b32 s4, exec_lo
	s_wait_kmcnt 0x0
	s_sub_co_i32 s3, s2, s0
	s_delay_alu instid0(SALU_CYCLE_1)
	v_cmpx_gt_i32_e64 s3, v0
	s_cbranch_execz .LBB223_60
; %bb.51:
	s_sub_co_i32 s4, s0, s2
	s_and_b32 s2, s3, 7
	s_cmp_lt_u32 s4, -7
	s_mov_b32 s23, 0
	s_cselect_b32 s4, -1, 0
	s_and_b32 s5, s3, -8
	s_cmp_lg_u32 s2, 0
	s_sub_nc_u64 s[0:1], s[0:1], s[22:23]
	s_cselect_b32 s6, -1, 0
	s_mov_b32 s7, 0
	s_branch .LBB223_53
.LBB223_52:                             ;   in Loop: Header=BB223_53 Depth=1
	v_mad_u32 v1, v0, 12, v1
	v_add_nc_u32_e32 v0, 0x80, v0
	s_delay_alu instid0(VALU_DEP_3) | instskip(NEXT) | instid1(VALU_DEP_2)
	v_lshl_add_u64 v[2:3], v[2:3], 4, s[34:35]
	v_cmp_le_i32_e32 vcc_lo, s3, v0
	s_or_b32 s7, vcc_lo, s7
	s_wait_dscnt 0x0
	ds_load_2addr_b64 v[4:7], v1 offset0:128 offset1:129
	s_wait_dscnt 0x0
	global_store_b128 v[2:3], v[4:7], off
	s_wait_xcnt 0x0
	s_and_not1_b32 exec_lo, exec_lo, s7
	s_cbranch_execz .LBB223_60
.LBB223_53:                             ; =>This Loop Header: Depth=1
                                        ;     Child Loop BB223_55 Depth 2
                                        ;     Child Loop BB223_59 Depth 2
	v_lshl_add_u32 v1, v0, 2, 0
	v_mov_b64_e32 v[2:3], s[0:1]
	s_and_not1_b32 vcc_lo, exec_lo, s4
	s_mov_b32 s8, 0
	ds_load_b32 v4, v1
	s_cbranch_vccnz .LBB223_57
; %bb.54:                               ;   in Loop: Header=BB223_53 Depth=1
	v_mov_b64_e32 v[2:3], s[0:1]
	s_mov_b32 s9, 0
.LBB223_55:                             ;   Parent Loop BB223_53 Depth=1
                                        ; =>  This Inner Loop Header: Depth=2
	s_delay_alu instid0(SALU_CYCLE_1)
	v_dual_mov_b32 v5, s9 :: v_dual_mov_b32 v11, s23
	v_mov_b32_e32 v17, s23
	s_add_co_i32 s8, s8, 8
	s_add_co_i32 s9, s9, 32
	ds_load_2addr_b32 v[6:7], v5 offset1:1
	ds_load_2addr_b32 v[8:9], v5 offset0:2 offset1:3
	ds_load_2addr_b32 v[12:13], v5 offset0:4 offset1:5
	;; [unrolled: 1-line block ×3, first 2 shown]
	s_cmp_eq_u32 s5, s8
	s_wait_dscnt 0x3
	v_cmp_gt_i32_e32 vcc_lo, v4, v6
	v_cndmask_b32_e64 v10, 0, 1, vcc_lo
	v_cmp_gt_i32_e32 vcc_lo, v4, v7
	v_mov_b32_e32 v7, s23
	s_delay_alu instid0(VALU_DEP_3) | instskip(SKIP_4) | instid1(VALU_DEP_3)
	v_add_nc_u64_e32 v[2:3], v[2:3], v[10:11]
	v_cndmask_b32_e64 v16, 0, 1, vcc_lo
	s_wait_dscnt 0x2
	v_cmp_gt_i32_e32 vcc_lo, v4, v8
	v_cndmask_b32_e64 v6, 0, 1, vcc_lo
	v_add_nc_u64_e32 v[2:3], v[2:3], v[16:17]
	v_cmp_gt_i32_e32 vcc_lo, v4, v9
	v_mov_b32_e32 v9, s23
	v_cndmask_b32_e64 v10, 0, 1, vcc_lo
	s_delay_alu instid0(VALU_DEP_4) | instskip(SKIP_3) | instid1(VALU_DEP_3)
	v_add_nc_u64_e32 v[2:3], v[2:3], v[6:7]
	s_wait_dscnt 0x1
	v_cmp_gt_i32_e32 vcc_lo, v4, v12
	v_cndmask_b32_e64 v6, 0, 1, vcc_lo
	v_add_nc_u64_e32 v[2:3], v[2:3], v[10:11]
	v_cmp_gt_i32_e32 vcc_lo, v4, v13
	v_cndmask_b32_e64 v8, 0, 1, vcc_lo
	s_delay_alu instid0(VALU_DEP_3) | instskip(SKIP_3) | instid1(VALU_DEP_3)
	v_add_nc_u64_e32 v[2:3], v[2:3], v[6:7]
	s_wait_dscnt 0x0
	v_cmp_gt_i32_e32 vcc_lo, v4, v14
	v_cndmask_b32_e64 v6, 0, 1, vcc_lo
	v_add_nc_u64_e32 v[2:3], v[2:3], v[8:9]
	v_cmp_gt_i32_e32 vcc_lo, v4, v15
	v_cndmask_b32_e64 v8, 0, 1, vcc_lo
	s_delay_alu instid0(VALU_DEP_3) | instskip(NEXT) | instid1(VALU_DEP_1)
	v_add_nc_u64_e32 v[2:3], v[2:3], v[6:7]
	v_add_nc_u64_e32 v[2:3], v[2:3], v[8:9]
	s_cbranch_scc0 .LBB223_55
; %bb.56:                               ;   in Loop: Header=BB223_53 Depth=1
	s_mov_b32 s8, s5
.LBB223_57:                             ;   in Loop: Header=BB223_53 Depth=1
	s_and_not1_b32 vcc_lo, exec_lo, s6
	s_cbranch_vccnz .LBB223_52
; %bb.58:                               ;   in Loop: Header=BB223_53 Depth=1
	s_lshl_b32 s8, s8, 2
	s_mov_b32 s9, s2
	s_add_co_i32 s8, s8, 0
.LBB223_59:                             ;   Parent Loop BB223_53 Depth=1
                                        ; =>  This Inner Loop Header: Depth=2
	s_delay_alu instid0(SALU_CYCLE_1)
	v_dual_mov_b32 v5, s8 :: v_dual_mov_b32 v7, s23
	s_add_co_i32 s9, s9, -1
	s_add_co_i32 s8, s8, 4
	s_cmp_lg_u32 s9, 0
	ds_load_b32 v5, v5
	s_wait_dscnt 0x0
	v_cmp_gt_i32_e32 vcc_lo, v4, v5
	v_cndmask_b32_e64 v6, 0, 1, vcc_lo
	s_delay_alu instid0(VALU_DEP_1)
	v_add_nc_u64_e32 v[2:3], v[2:3], v[6:7]
	s_cbranch_scc1 .LBB223_59
	s_branch .LBB223_52
.LBB223_60:
	s_endpgm
	.section	.rodata,"a",@progbits
	.p2align	6, 0x0
	.amdhsa_kernel _ZN9rocsparseL41csrgemm_numeric_fill_block_per_row_kernelILj128ELj16ELj256ELj137ELj64Eli21rocsparse_complex_numIdEEEvT5_PKS3_S5_NS_24const_host_device_scalarIT6_EEPKT4_S5_PKS7_SB_S5_SD_S8_SB_S5_SD_SB_S5_PS7_21rocsparse_index_base_SF_SF_SF_bbb
		.amdhsa_group_segment_fixed_size 0
		.amdhsa_private_segment_fixed_size 40
		.amdhsa_kernarg_size 172
		.amdhsa_user_sgpr_count 2
		.amdhsa_user_sgpr_dispatch_ptr 0
		.amdhsa_user_sgpr_queue_ptr 0
		.amdhsa_user_sgpr_kernarg_segment_ptr 1
		.amdhsa_user_sgpr_dispatch_id 0
		.amdhsa_user_sgpr_kernarg_preload_length 0
		.amdhsa_user_sgpr_kernarg_preload_offset 0
		.amdhsa_user_sgpr_private_segment_size 0
		.amdhsa_wavefront_size32 1
		.amdhsa_uses_dynamic_stack 0
		.amdhsa_enable_private_segment 1
		.amdhsa_system_sgpr_workgroup_id_x 1
		.amdhsa_system_sgpr_workgroup_id_y 0
		.amdhsa_system_sgpr_workgroup_id_z 0
		.amdhsa_system_sgpr_workgroup_info 0
		.amdhsa_system_vgpr_workitem_id 0
		.amdhsa_next_free_vgpr 34
		.amdhsa_next_free_sgpr 42
		.amdhsa_named_barrier_count 0
		.amdhsa_reserve_vcc 1
		.amdhsa_float_round_mode_32 0
		.amdhsa_float_round_mode_16_64 0
		.amdhsa_float_denorm_mode_32 3
		.amdhsa_float_denorm_mode_16_64 3
		.amdhsa_fp16_overflow 0
		.amdhsa_memory_ordered 1
		.amdhsa_forward_progress 1
		.amdhsa_inst_pref_size 23
		.amdhsa_round_robin_scheduling 0
		.amdhsa_exception_fp_ieee_invalid_op 0
		.amdhsa_exception_fp_denorm_src 0
		.amdhsa_exception_fp_ieee_div_zero 0
		.amdhsa_exception_fp_ieee_overflow 0
		.amdhsa_exception_fp_ieee_underflow 0
		.amdhsa_exception_fp_ieee_inexact 0
		.amdhsa_exception_int_div_zero 0
	.end_amdhsa_kernel
	.section	.text._ZN9rocsparseL41csrgemm_numeric_fill_block_per_row_kernelILj128ELj16ELj256ELj137ELj64Eli21rocsparse_complex_numIdEEEvT5_PKS3_S5_NS_24const_host_device_scalarIT6_EEPKT4_S5_PKS7_SB_S5_SD_S8_SB_S5_SD_SB_S5_PS7_21rocsparse_index_base_SF_SF_SF_bbb,"axG",@progbits,_ZN9rocsparseL41csrgemm_numeric_fill_block_per_row_kernelILj128ELj16ELj256ELj137ELj64Eli21rocsparse_complex_numIdEEEvT5_PKS3_S5_NS_24const_host_device_scalarIT6_EEPKT4_S5_PKS7_SB_S5_SD_S8_SB_S5_SD_SB_S5_PS7_21rocsparse_index_base_SF_SF_SF_bbb,comdat
.Lfunc_end223:
	.size	_ZN9rocsparseL41csrgemm_numeric_fill_block_per_row_kernelILj128ELj16ELj256ELj137ELj64Eli21rocsparse_complex_numIdEEEvT5_PKS3_S5_NS_24const_host_device_scalarIT6_EEPKT4_S5_PKS7_SB_S5_SD_S8_SB_S5_SD_SB_S5_PS7_21rocsparse_index_base_SF_SF_SF_bbb, .Lfunc_end223-_ZN9rocsparseL41csrgemm_numeric_fill_block_per_row_kernelILj128ELj16ELj256ELj137ELj64Eli21rocsparse_complex_numIdEEEvT5_PKS3_S5_NS_24const_host_device_scalarIT6_EEPKT4_S5_PKS7_SB_S5_SD_S8_SB_S5_SD_SB_S5_PS7_21rocsparse_index_base_SF_SF_SF_bbb
                                        ; -- End function
	.set _ZN9rocsparseL41csrgemm_numeric_fill_block_per_row_kernelILj128ELj16ELj256ELj137ELj64Eli21rocsparse_complex_numIdEEEvT5_PKS3_S5_NS_24const_host_device_scalarIT6_EEPKT4_S5_PKS7_SB_S5_SD_S8_SB_S5_SD_SB_S5_PS7_21rocsparse_index_base_SF_SF_SF_bbb.num_vgpr, 34
	.set _ZN9rocsparseL41csrgemm_numeric_fill_block_per_row_kernelILj128ELj16ELj256ELj137ELj64Eli21rocsparse_complex_numIdEEEvT5_PKS3_S5_NS_24const_host_device_scalarIT6_EEPKT4_S5_PKS7_SB_S5_SD_S8_SB_S5_SD_SB_S5_PS7_21rocsparse_index_base_SF_SF_SF_bbb.num_agpr, 0
	.set _ZN9rocsparseL41csrgemm_numeric_fill_block_per_row_kernelILj128ELj16ELj256ELj137ELj64Eli21rocsparse_complex_numIdEEEvT5_PKS3_S5_NS_24const_host_device_scalarIT6_EEPKT4_S5_PKS7_SB_S5_SD_S8_SB_S5_SD_SB_S5_PS7_21rocsparse_index_base_SF_SF_SF_bbb.numbered_sgpr, 42
	.set _ZN9rocsparseL41csrgemm_numeric_fill_block_per_row_kernelILj128ELj16ELj256ELj137ELj64Eli21rocsparse_complex_numIdEEEvT5_PKS3_S5_NS_24const_host_device_scalarIT6_EEPKT4_S5_PKS7_SB_S5_SD_S8_SB_S5_SD_SB_S5_PS7_21rocsparse_index_base_SF_SF_SF_bbb.num_named_barrier, 0
	.set _ZN9rocsparseL41csrgemm_numeric_fill_block_per_row_kernelILj128ELj16ELj256ELj137ELj64Eli21rocsparse_complex_numIdEEEvT5_PKS3_S5_NS_24const_host_device_scalarIT6_EEPKT4_S5_PKS7_SB_S5_SD_S8_SB_S5_SD_SB_S5_PS7_21rocsparse_index_base_SF_SF_SF_bbb.private_seg_size, 40
	.set _ZN9rocsparseL41csrgemm_numeric_fill_block_per_row_kernelILj128ELj16ELj256ELj137ELj64Eli21rocsparse_complex_numIdEEEvT5_PKS3_S5_NS_24const_host_device_scalarIT6_EEPKT4_S5_PKS7_SB_S5_SD_S8_SB_S5_SD_SB_S5_PS7_21rocsparse_index_base_SF_SF_SF_bbb.uses_vcc, 1
	.set _ZN9rocsparseL41csrgemm_numeric_fill_block_per_row_kernelILj128ELj16ELj256ELj137ELj64Eli21rocsparse_complex_numIdEEEvT5_PKS3_S5_NS_24const_host_device_scalarIT6_EEPKT4_S5_PKS7_SB_S5_SD_S8_SB_S5_SD_SB_S5_PS7_21rocsparse_index_base_SF_SF_SF_bbb.uses_flat_scratch, 1
	.set _ZN9rocsparseL41csrgemm_numeric_fill_block_per_row_kernelILj128ELj16ELj256ELj137ELj64Eli21rocsparse_complex_numIdEEEvT5_PKS3_S5_NS_24const_host_device_scalarIT6_EEPKT4_S5_PKS7_SB_S5_SD_S8_SB_S5_SD_SB_S5_PS7_21rocsparse_index_base_SF_SF_SF_bbb.has_dyn_sized_stack, 0
	.set _ZN9rocsparseL41csrgemm_numeric_fill_block_per_row_kernelILj128ELj16ELj256ELj137ELj64Eli21rocsparse_complex_numIdEEEvT5_PKS3_S5_NS_24const_host_device_scalarIT6_EEPKT4_S5_PKS7_SB_S5_SD_S8_SB_S5_SD_SB_S5_PS7_21rocsparse_index_base_SF_SF_SF_bbb.has_recursion, 0
	.set _ZN9rocsparseL41csrgemm_numeric_fill_block_per_row_kernelILj128ELj16ELj256ELj137ELj64Eli21rocsparse_complex_numIdEEEvT5_PKS3_S5_NS_24const_host_device_scalarIT6_EEPKT4_S5_PKS7_SB_S5_SD_S8_SB_S5_SD_SB_S5_PS7_21rocsparse_index_base_SF_SF_SF_bbb.has_indirect_call, 0
	.section	.AMDGPU.csdata,"",@progbits
; Kernel info:
; codeLenInByte = 2848
; TotalNumSgprs: 44
; NumVgprs: 34
; ScratchSize: 40
; MemoryBound: 0
; FloatMode: 240
; IeeeMode: 1
; LDSByteSize: 0 bytes/workgroup (compile time only)
; SGPRBlocks: 0
; VGPRBlocks: 2
; NumSGPRsForWavesPerEU: 44
; NumVGPRsForWavesPerEU: 34
; NamedBarCnt: 0
; Occupancy: 16
; WaveLimiterHint : 1
; COMPUTE_PGM_RSRC2:SCRATCH_EN: 1
; COMPUTE_PGM_RSRC2:USER_SGPR: 2
; COMPUTE_PGM_RSRC2:TRAP_HANDLER: 0
; COMPUTE_PGM_RSRC2:TGID_X_EN: 1
; COMPUTE_PGM_RSRC2:TGID_Y_EN: 0
; COMPUTE_PGM_RSRC2:TGID_Z_EN: 0
; COMPUTE_PGM_RSRC2:TIDIG_COMP_CNT: 0
	.section	.text._ZN9rocsparseL41csrgemm_numeric_fill_block_per_row_kernelILj256ELj32ELj512ELj137ELj32Eli21rocsparse_complex_numIdEEEvT5_PKS3_S5_NS_24const_host_device_scalarIT6_EEPKT4_S5_PKS7_SB_S5_SD_S8_SB_S5_SD_SB_S5_PS7_21rocsparse_index_base_SF_SF_SF_bbb,"axG",@progbits,_ZN9rocsparseL41csrgemm_numeric_fill_block_per_row_kernelILj256ELj32ELj512ELj137ELj32Eli21rocsparse_complex_numIdEEEvT5_PKS3_S5_NS_24const_host_device_scalarIT6_EEPKT4_S5_PKS7_SB_S5_SD_S8_SB_S5_SD_SB_S5_PS7_21rocsparse_index_base_SF_SF_SF_bbb,comdat
	.globl	_ZN9rocsparseL41csrgemm_numeric_fill_block_per_row_kernelILj256ELj32ELj512ELj137ELj32Eli21rocsparse_complex_numIdEEEvT5_PKS3_S5_NS_24const_host_device_scalarIT6_EEPKT4_S5_PKS7_SB_S5_SD_S8_SB_S5_SD_SB_S5_PS7_21rocsparse_index_base_SF_SF_SF_bbb ; -- Begin function _ZN9rocsparseL41csrgemm_numeric_fill_block_per_row_kernelILj256ELj32ELj512ELj137ELj32Eli21rocsparse_complex_numIdEEEvT5_PKS3_S5_NS_24const_host_device_scalarIT6_EEPKT4_S5_PKS7_SB_S5_SD_S8_SB_S5_SD_SB_S5_PS7_21rocsparse_index_base_SF_SF_SF_bbb
	.p2align	8
	.type	_ZN9rocsparseL41csrgemm_numeric_fill_block_per_row_kernelILj256ELj32ELj512ELj137ELj32Eli21rocsparse_complex_numIdEEEvT5_PKS3_S5_NS_24const_host_device_scalarIT6_EEPKT4_S5_PKS7_SB_S5_SD_S8_SB_S5_SD_SB_S5_PS7_21rocsparse_index_base_SF_SF_SF_bbb,@function
_ZN9rocsparseL41csrgemm_numeric_fill_block_per_row_kernelILj256ELj32ELj512ELj137ELj32Eli21rocsparse_complex_numIdEEEvT5_PKS3_S5_NS_24const_host_device_scalarIT6_EEPKT4_S5_PKS7_SB_S5_SD_S8_SB_S5_SD_SB_S5_PS7_21rocsparse_index_base_SF_SF_SF_bbb: ; @_ZN9rocsparseL41csrgemm_numeric_fill_block_per_row_kernelILj256ELj32ELj512ELj137ELj32Eli21rocsparse_complex_numIdEEEvT5_PKS3_S5_NS_24const_host_device_scalarIT6_EEPKT4_S5_PKS7_SB_S5_SD_S8_SB_S5_SD_SB_S5_PS7_21rocsparse_index_base_SF_SF_SF_bbb
; %bb.0:
	s_clause 0x2
	s_load_b32 s13, s[0:1], 0xa8
	s_load_b128 s[8:11], s[0:1], 0x18
	s_load_b128 s[4:7], s[0:1], 0x58
	v_mov_b64_e32 v[6:7], 0
	v_mov_b64_e32 v[12:13], 0
	;; [unrolled: 1-line block ×3, first 2 shown]
	v_mbcnt_lo_u32_b32 v30, -1, 0
	s_wait_kmcnt 0x0
	s_bitcmp1_b32 s13, 0
	v_mov_b64_e32 v[2:3], s[8:9]
	s_cselect_b32 s36, -1, 0
	s_bitcmp1_b32 s13, 16
	v_mov_b64_e32 v[4:5], s[4:5]
	s_cselect_b32 s2, -1, 0
	s_clause 0x1
	scratch_store_b64 off, v[2:3], off offset:16
	scratch_store_b64 off, v[4:5], off offset:24
	s_xor_b32 s12, s2, -1
	s_bitcmp0_b32 s13, 0
	v_cndmask_b32_e64 v1, 0, 1, s12
	s_delay_alu instid0(VALU_DEP_1)
	v_cmp_ne_u32_e32 vcc_lo, 1, v1
	s_cbranch_scc1 .LBB224_3
; %bb.1:
	s_wait_xcnt 0x1
	v_dual_mov_b32 v2, 16 :: v_dual_lshlrev_b32 v3, 20, v30
	v_mov_b64_e32 v[14:15], s[10:11]
	s_and_b32 vcc_lo, exec_lo, vcc_lo
	s_delay_alu instid0(VALU_DEP_2) | instskip(NEXT) | instid1(VALU_DEP_1)
	v_add_nc_u64_e32 v[2:3], src_flat_scratch_base_lo, v[2:3]
	v_cndmask_b32_e64 v3, s9, v3, s2
	s_delay_alu instid0(VALU_DEP_2)
	v_cndmask_b32_e64 v2, s8, v2, s2
	flat_load_b64 v[12:13], v[2:3]
	s_cbranch_vccnz .LBB224_3
; %bb.2:
	v_mov_b32_e32 v1, 0
	flat_load_b64 v[14:15], v1, s[8:9] offset:8
.LBB224_3:
	s_load_b128 s[20:23], s[0:1], 0x98
	v_mov_b64_e32 v[8:9], 0
	s_bitcmp1_b32 s13, 8
	s_cselect_b32 s3, -1, 0
	s_bfe_u32 s8, s13, 0x10008
	s_delay_alu instid0(SALU_CYCLE_1)
	s_cmp_eq_u32 s8, 0
	s_cbranch_scc1 .LBB224_6
; %bb.4:
	v_dual_mov_b32 v2, 24 :: v_dual_lshlrev_b32 v3, 20, v30
	v_mov_b64_e32 v[6:7], s[6:7]
	s_and_not1_b32 vcc_lo, exec_lo, s12
	s_delay_alu instid0(VALU_DEP_2) | instskip(NEXT) | instid1(VALU_DEP_1)
	v_add_nc_u64_e32 v[2:3], src_flat_scratch_base_lo, v[2:3]
	v_cndmask_b32_e64 v3, s5, v3, s2
	s_delay_alu instid0(VALU_DEP_2)
	v_cndmask_b32_e64 v2, s4, v2, s2
	flat_load_b64 v[8:9], v[2:3]
	s_cbranch_vccnz .LBB224_6
; %bb.5:
	v_mov_b32_e32 v1, 0
	flat_load_b64 v[6:7], v1, s[4:5] offset:8
.LBB224_6:
	s_clause 0x1
	s_load_b128 s[28:31], s[0:1], 0x8
	s_load_b32 s33, s[0:1], 0x0
	v_cmp_gt_u32_e64 s2, 0x200, v0
	v_lshlrev_b32_e32 v31, 4, v0
	v_or_b32_e32 v28, 0xffffff00, v0
	v_lshl_add_u32 v29, v0, 2, 0
	s_and_saveexec_b32 s6, s2
	s_cbranch_execz .LBB224_9
; %bb.7:
	s_mov_b32 s4, 0
	v_add3_u32 v1, v31, 0, 0x800
	s_mov_b32 s5, s4
	s_mov_b32 s8, s4
	;; [unrolled: 1-line block ×3, first 2 shown]
	v_mov_b64_e32 v[2:3], s[4:5]
	v_mov_b64_e32 v[4:5], s[8:9]
	v_or_b32_e32 v10, 0xffffff00, v0
	v_lshl_add_u32 v11, v0, 2, 0
	s_wait_kmcnt 0x0
	v_mov_b32_e32 v16, s33
.LBB224_8:                              ; =>This Inner Loop Header: Depth=1
	s_delay_alu instid0(VALU_DEP_3)
	v_add_co_u32 v10, s5, 0x100, v10
	s_xor_b32 s5, s5, -1
	ds_store_b32 v11, v16
	ds_store_2addr_b64 v1, v[2:3], v[4:5] offset1:1
	v_add_nc_u32_e32 v1, 0x1000, v1
	v_add_nc_u32_e32 v11, 0x400, v11
	s_and_b32 s5, exec_lo, s5
	s_delay_alu instid0(SALU_CYCLE_1) | instskip(NEXT) | instid1(SALU_CYCLE_1)
	s_or_b32 s4, s5, s4
	s_and_not1_b32 exec_lo, exec_lo, s4
	s_cbranch_execnz .LBB224_8
.LBB224_9:
	s_or_b32 exec_lo, exec_lo, s6
	s_clause 0x3
	s_load_b64 s[34:35], s[0:1], 0x90
	s_load_b256 s[4:11], s[0:1], 0x68
	s_load_b128 s[24:27], s[0:1], 0x48
	s_load_b256 s[12:19], s[0:1], 0x28
	s_wait_storecnt 0x0
	s_wait_loadcnt_dscnt 0x0
	s_barrier_signal -1
	s_barrier_wait -1
	s_wait_kmcnt 0x0
	s_load_b32 s0, s[28:29], 0x0
	s_bfe_u32 s1, ttmp6, 0x4000c
	s_wait_xcnt 0x0
	s_and_b32 s28, ttmp6, 15
	s_add_co_i32 s1, s1, 1
	s_getreg_b32 s29, hwreg(HW_REG_IB_STS2, 6, 4)
	s_mul_i32 s1, ttmp9, s1
	v_lshrrev_b32_e32 v10, 5, v0
	s_add_co_i32 s28, s28, s1
	s_cmp_eq_u32 s29, 0
	s_cselect_b32 s1, ttmp9, s28
	s_and_b32 vcc_lo, exec_lo, s36
	s_wait_kmcnt 0x0
	s_add_co_i32 s0, s0, s1
	s_mov_b32 s1, 0
	s_load_b32 s28, s[30:31], s0 offset:0x0 scale_offset
	s_cbranch_vccz .LBB224_27
; %bb.10:
	s_wait_kmcnt 0x0
	s_ashr_i32 s29, s28, 31
	v_mov_b32_e32 v11, 0
	s_lshl_b64 s[30:31], s[28:29], 3
	s_mov_b32 s0, s20
	s_add_nc_u64 s[12:13], s[12:13], s[30:31]
	s_mov_b32 s29, exec_lo
	s_load_b128 s[36:39], s[12:13], 0x0
	v_sub_nc_u64_e64 v[2:3], v[10:11], s[0:1]
	s_wait_kmcnt 0x0
	s_delay_alu instid0(VALU_DEP_1)
	v_add_nc_u64_e32 v[16:17], s[36:37], v[2:3]
	s_sub_nc_u64 s[0:1], s[38:39], s[0:1]
	s_delay_alu instid0(VALU_DEP_1) | instid1(SALU_CYCLE_1)
	v_cmpx_gt_i64_e64 s[0:1], v[16:17]
	s_cbranch_execz .LBB224_26
; %bb.11:
	v_dual_mov_b32 v3, v11 :: v_dual_bitop2_b32 v2, 31, v0 bitop3:0x40
	s_mov_b32 s13, 0
	s_mov_b32 s12, s21
	;; [unrolled: 1-line block ×3, first 2 shown]
	s_delay_alu instid0(VALU_DEP_1)
	v_sub_nc_u64_e64 v[18:19], v[2:3], s[12:13]
	s_branch .LBB224_13
.LBB224_12:                             ;   in Loop: Header=BB224_13 Depth=1
	s_or_b32 exec_lo, exec_lo, s31
	v_add_nc_u64_e32 v[16:17], 8, v[16:17]
	s_delay_alu instid0(VALU_DEP_1) | instskip(SKIP_1) | instid1(SALU_CYCLE_1)
	v_cmp_le_i64_e32 vcc_lo, s[0:1], v[16:17]
	s_or_b32 s30, vcc_lo, s30
	s_and_not1_b32 exec_lo, exec_lo, s30
	s_cbranch_execz .LBB224_26
.LBB224_13:                             ; =>This Loop Header: Depth=1
                                        ;     Child Loop BB224_17 Depth 2
                                        ;       Child Loop BB224_20 Depth 3
	v_lshl_add_u64 v[2:3], v[16:17], 2, s[14:15]
	s_mov_b32 s31, exec_lo
	global_load_b32 v1, v[2:3], off
	s_wait_loadcnt 0x0
	s_wait_xcnt 0x0
	v_subrev_nc_u32_e32 v2, s20, v1
	s_delay_alu instid0(VALU_DEP_1) | instskip(NEXT) | instid1(VALU_DEP_1)
	v_ashrrev_i32_e32 v3, 31, v2
	v_lshl_add_u64 v[2:3], v[2:3], 3, s[18:19]
	global_load_b128 v[2:5], v[2:3], off
	s_wait_loadcnt 0x0
	v_sub_nc_u64_e64 v[20:21], v[4:5], s[12:13]
	v_add_nc_u64_e32 v[22:23], v[2:3], v[18:19]
	s_wait_xcnt 0x0
	s_delay_alu instid0(VALU_DEP_1)
	v_cmpx_lt_i64_e64 v[22:23], v[20:21]
	s_cbranch_execz .LBB224_12
; %bb.14:                               ;   in Loop: Header=BB224_13 Depth=1
	v_lshl_add_u64 v[2:3], v[16:17], 4, s[16:17]
	s_mov_b32 s36, 0
	global_load_b128 v[2:5], v[2:3], off
	s_wait_loadcnt 0x0
	v_mul_f64_e64 v[24:25], v[4:5], -v[14:15]
	v_mul_f64_e32 v[26:27], v[12:13], v[4:5]
	s_delay_alu instid0(VALU_DEP_2) | instskip(NEXT) | instid1(VALU_DEP_2)
	v_fmac_f64_e32 v[24:25], v[12:13], v[2:3]
	v_fmac_f64_e32 v[26:27], v[14:15], v[2:3]
	s_branch .LBB224_17
.LBB224_15:                             ;   in Loop: Header=BB224_17 Depth=2
	s_or_b32 exec_lo, exec_lo, s38
.LBB224_16:                             ;   in Loop: Header=BB224_17 Depth=2
	s_delay_alu instid0(SALU_CYCLE_1)
	s_or_b32 exec_lo, exec_lo, s37
	s_wait_loadcnt 0x0
	v_mul_f64_e64 v[32:33], v[4:5], -v[26:27]
	v_mul_f64_e32 v[4:5], v[24:25], v[4:5]
	v_lshl_add_u32 v1, v1, 4, 0
	v_add_nc_u64_e32 v[22:23], 32, v[22:23]
	s_delay_alu instid0(VALU_DEP_1)
	v_cmp_ge_i64_e32 vcc_lo, v[22:23], v[20:21]
	s_or_b32 s36, vcc_lo, s36
	v_fmac_f64_e32 v[32:33], v[24:25], v[2:3]
	v_fmac_f64_e32 v[4:5], v[26:27], v[2:3]
	ds_add_f64 v1, v[32:33] offset:2048
	ds_add_f64 v1, v[4:5] offset:2056
	s_and_not1_b32 exec_lo, exec_lo, s36
	s_cbranch_execz .LBB224_12
.LBB224_17:                             ;   Parent Loop BB224_13 Depth=1
                                        ; =>  This Loop Header: Depth=2
                                        ;       Child Loop BB224_20 Depth 3
	s_wait_xcnt 0x0
	v_lshl_add_u64 v[2:3], v[22:23], 2, s[24:25]
	s_mov_b32 s37, exec_lo
	global_load_b32 v1, v[2:3], off
	s_wait_xcnt 0x0
	v_lshl_add_u64 v[2:3], v[22:23], 4, s[26:27]
	global_load_b128 v[2:5], v[2:3], off
	s_wait_loadcnt 0x1
	v_subrev_nc_u32_e32 v11, s21, v1
	s_delay_alu instid0(VALU_DEP_1) | instskip(NEXT) | instid1(VALU_DEP_1)
	v_mul_lo_u32 v1, 0x89, v11
	v_and_b32_e32 v1, 0x1ff, v1
	s_delay_alu instid0(VALU_DEP_1)
	v_lshl_add_u32 v32, v1, 2, 0
	ds_load_b32 v33, v32
	s_wait_dscnt 0x0
	s_wait_xcnt 0x0
	v_cmpx_ne_u32_e64 v33, v11
	s_cbranch_execz .LBB224_16
; %bb.18:                               ;   in Loop: Header=BB224_17 Depth=2
	s_mov_b32 s38, 0
	s_branch .LBB224_20
.LBB224_19:                             ;   in Loop: Header=BB224_20 Depth=3
	s_or_b32 exec_lo, exec_lo, s41
	s_delay_alu instid0(SALU_CYCLE_1) | instskip(NEXT) | instid1(SALU_CYCLE_1)
	s_and_b32 s39, exec_lo, s40
	s_or_b32 s38, s39, s38
	s_delay_alu instid0(SALU_CYCLE_1)
	s_and_not1_b32 exec_lo, exec_lo, s38
	s_cbranch_execz .LBB224_15
.LBB224_20:                             ;   Parent Loop BB224_13 Depth=1
                                        ;     Parent Loop BB224_17 Depth=2
                                        ; =>    This Inner Loop Header: Depth=3
	s_mov_b32 s39, 0
	s_mov_b32 s40, exec_lo
	v_cmpx_ne_u32_e64 s33, v33
	s_xor_b32 s40, exec_lo, s40
	s_cbranch_execz .LBB224_22
; %bb.21:                               ;   in Loop: Header=BB224_20 Depth=3
	v_add_nc_u32_e32 v1, 1, v1
	s_mov_b32 s39, exec_lo
                                        ; implicit-def: $vgpr32
	s_delay_alu instid0(VALU_DEP_1)
	v_and_b32_e32 v1, 0x1ff, v1
	s_and_not1_saveexec_b32 s40, s40
	s_cbranch_execz .LBB224_24
	s_branch .LBB224_23
.LBB224_22:                             ;   in Loop: Header=BB224_20 Depth=3
	s_and_not1_saveexec_b32 s40, s40
	s_cbranch_execz .LBB224_24
.LBB224_23:                             ;   in Loop: Header=BB224_20 Depth=3
	v_mov_b32_e32 v33, s33
	s_and_not1_b32 s39, s39, exec_lo
	ds_cmpstore_rtn_b32 v32, v32, v11, v33
	s_wait_dscnt 0x0
	v_cmp_ne_u32_e32 vcc_lo, s33, v32
	s_and_b32 s41, vcc_lo, exec_lo
	s_delay_alu instid0(SALU_CYCLE_1)
	s_or_b32 s39, s39, s41
.LBB224_24:                             ;   in Loop: Header=BB224_20 Depth=3
	s_or_b32 exec_lo, exec_lo, s40
	s_mov_b32 s40, -1
                                        ; implicit-def: $vgpr32
                                        ; implicit-def: $vgpr33
	s_and_saveexec_b32 s41, s39
	s_cbranch_execz .LBB224_19
; %bb.25:                               ;   in Loop: Header=BB224_20 Depth=3
	v_lshl_add_u32 v32, v1, 2, 0
	ds_load_b32 v33, v32
	s_wait_dscnt 0x0
	v_cmp_eq_u32_e32 vcc_lo, v33, v11
	s_or_not1_b32 s40, vcc_lo, exec_lo
	s_branch .LBB224_19
.LBB224_26:
	s_or_b32 exec_lo, exec_lo, s29
.LBB224_27:
	s_delay_alu instid0(SALU_CYCLE_1)
	s_and_not1_b32 vcc_lo, exec_lo, s3
	s_cbranch_vccnz .LBB224_30
; %bb.28:
	s_wait_kmcnt 0x0
	s_ashr_i32 s29, s28, 31
	v_mov_b32_e32 v1, 0
	s_lshl_b64 s[0:1], s[28:29], 3
	s_delay_alu instid0(SALU_CYCLE_1) | instskip(SKIP_4) | instid1(SALU_CYCLE_1)
	s_add_nc_u64 s[0:1], s[4:5], s[0:1]
	s_load_b128 s[12:15], s[0:1], 0x0
	s_wait_xcnt 0x0
	s_mov_b32 s1, 0
	s_mov_b32 s0, s23
	v_sub_nc_u64_e64 v[2:3], v[0:1], s[0:1]
	s_wait_kmcnt 0x0
	s_delay_alu instid0(VALU_DEP_1) | instskip(SKIP_2) | instid1(VALU_DEP_1)
	v_add_nc_u64_e32 v[12:13], s[12:13], v[2:3]
	s_sub_nc_u64 s[4:5], s[14:15], s[0:1]
	s_mov_b32 s0, exec_lo
	v_cmpx_gt_i64_e64 s[4:5], v[12:13]
	s_cbranch_execnz .LBB224_53
.LBB224_29:
	s_or_b32 exec_lo, exec_lo, s0
.LBB224_30:
	s_wait_dscnt 0x0
	s_barrier_signal -1
	s_barrier_wait -1
	s_and_saveexec_b32 s8, s2
	s_cbranch_execz .LBB224_62
; %bb.31:
	v_dual_mov_b32 v1, 0 :: v_dual_bitop2_b32 v2, 31, v30 bitop3:0x14
	v_lshl_add_u32 v3, v10, 2, 0
	s_wait_xcnt 0x0
	v_cmp_lt_u32_e64 s0, 31, v0
	v_cmp_lt_u32_e64 s1, 63, v0
	v_lshrrev_b32_e64 v2, v2, -1
	v_cmp_lt_u32_e64 s2, 0x5f, v0
	v_cmp_lt_u32_e64 s3, 0x7f, v0
	;; [unrolled: 1-line block ×5, first 2 shown]
	v_add3_u32 v4, v31, 0, 0x800
	v_mov_b32_e32 v5, 0
	s_mov_b32 s9, 0
	v_cmp_eq_u32_e32 vcc_lo, 0xff, v0
	s_branch .LBB224_33
.LBB224_32:                             ;   in Loop: Header=BB224_33 Depth=1
	s_or_b32 exec_lo, exec_lo, s7
	s_wait_dscnt 0x0
	s_barrier_signal -1
	s_barrier_wait -1
	ds_load_b32 v6, v1 offset:10268
	v_add_co_u32 v28, s7, 0x100, v28
	s_xor_b32 s7, s7, -1
	v_add_nc_u32_e32 v4, 0x1000, v4
	v_add_nc_u32_e32 v29, 0x400, v29
	s_and_b32 s7, exec_lo, s7
	s_delay_alu instid0(SALU_CYCLE_1)
	s_or_b32 s9, s7, s9
	s_wait_dscnt 0x0
	v_add_nc_u32_e32 v5, v6, v5
	s_and_not1_b32 exec_lo, exec_lo, s9
	s_cbranch_execz .LBB224_62
.LBB224_33:                             ; =>This Inner Loop Header: Depth=1
	ds_load_b32 v6, v29
	ds_load_2addr_b64 v[8:11], v4 offset1:1
	s_wait_dscnt 0x1
	v_cmp_gt_i32_e64 s7, s33, v6
	s_wait_dscnt 0x0
	scratch_store_b128 off, v[8:11], off
	s_wait_storecnt 0x0
	s_barrier_signal -1
	s_barrier_wait -1
	s_bcnt1_i32_b32 s12, s7
	s_wait_xcnt 0x0
	v_dual_mov_b32 v8, s12 :: v_dual_bitop2_b32 v7, s7, v2 bitop3:0x40
	s_delay_alu instid0(VALU_DEP_1)
	v_bcnt_u32_b32 v7, v7, 0
	ds_store_b32 v3, v8 offset:10240
	s_wait_dscnt 0x0
	s_barrier_signal -1
	s_barrier_wait -1
	s_and_saveexec_b32 s12, s0
	s_cbranch_execz .LBB224_42
; %bb.34:                               ;   in Loop: Header=BB224_33 Depth=1
	ds_load_b32 v8, v1 offset:10240
	s_wait_dscnt 0x0
	v_add_nc_u32_e32 v7, v8, v7
	s_or_b32 exec_lo, exec_lo, s12
	s_and_saveexec_b32 s12, s1
	s_cbranch_execnz .LBB224_43
.LBB224_35:                             ;   in Loop: Header=BB224_33 Depth=1
	s_or_b32 exec_lo, exec_lo, s12
	s_and_saveexec_b32 s12, s2
	s_cbranch_execz .LBB224_44
.LBB224_36:                             ;   in Loop: Header=BB224_33 Depth=1
	ds_load_b32 v8, v1 offset:10248
	s_wait_dscnt 0x0
	v_add_nc_u32_e32 v7, v8, v7
	s_or_b32 exec_lo, exec_lo, s12
	s_and_saveexec_b32 s12, s3
	s_cbranch_execnz .LBB224_45
.LBB224_37:                             ;   in Loop: Header=BB224_33 Depth=1
	s_or_b32 exec_lo, exec_lo, s12
	s_and_saveexec_b32 s12, s4
	s_cbranch_execz .LBB224_46
.LBB224_38:                             ;   in Loop: Header=BB224_33 Depth=1
	ds_load_b32 v8, v1 offset:10256
	s_wait_dscnt 0x0
	v_add_nc_u32_e32 v7, v8, v7
	s_or_b32 exec_lo, exec_lo, s12
	s_and_saveexec_b32 s12, s5
	s_cbranch_execnz .LBB224_47
.LBB224_39:                             ;   in Loop: Header=BB224_33 Depth=1
	s_or_b32 exec_lo, exec_lo, s12
	s_and_saveexec_b32 s12, s6
	s_cbranch_execz .LBB224_48
.LBB224_40:                             ;   in Loop: Header=BB224_33 Depth=1
	ds_load_b32 v8, v1 offset:10264
	s_wait_dscnt 0x0
	v_add_nc_u32_e32 v7, v8, v7
	s_or_b32 exec_lo, exec_lo, s12
	s_and_saveexec_b32 s12, s7
	s_cbranch_execnz .LBB224_49
.LBB224_41:                             ;   in Loop: Header=BB224_33 Depth=1
	s_or_b32 exec_lo, exec_lo, s12
	s_and_saveexec_b32 s7, vcc_lo
	s_cbranch_execz .LBB224_32
	s_branch .LBB224_50
.LBB224_42:                             ;   in Loop: Header=BB224_33 Depth=1
	s_or_b32 exec_lo, exec_lo, s12
	s_and_saveexec_b32 s12, s1
	s_cbranch_execz .LBB224_35
.LBB224_43:                             ;   in Loop: Header=BB224_33 Depth=1
	ds_load_b32 v8, v1 offset:10244
	s_wait_dscnt 0x0
	v_add_nc_u32_e32 v7, v8, v7
	s_or_b32 exec_lo, exec_lo, s12
	s_and_saveexec_b32 s12, s2
	s_cbranch_execnz .LBB224_36
.LBB224_44:                             ;   in Loop: Header=BB224_33 Depth=1
	s_or_b32 exec_lo, exec_lo, s12
	s_and_saveexec_b32 s12, s3
	s_cbranch_execz .LBB224_37
.LBB224_45:                             ;   in Loop: Header=BB224_33 Depth=1
	ds_load_b32 v8, v1 offset:10252
	s_wait_dscnt 0x0
	v_add_nc_u32_e32 v7, v8, v7
	s_or_b32 exec_lo, exec_lo, s12
	s_and_saveexec_b32 s12, s4
	s_cbranch_execnz .LBB224_38
.LBB224_46:                             ;   in Loop: Header=BB224_33 Depth=1
	s_or_b32 exec_lo, exec_lo, s12
	s_and_saveexec_b32 s12, s5
	s_cbranch_execz .LBB224_39
.LBB224_47:                             ;   in Loop: Header=BB224_33 Depth=1
	ds_load_b32 v8, v1 offset:10260
	s_wait_dscnt 0x0
	v_add_nc_u32_e32 v7, v8, v7
	s_or_b32 exec_lo, exec_lo, s12
	s_and_saveexec_b32 s12, s6
	s_cbranch_execnz .LBB224_40
.LBB224_48:                             ;   in Loop: Header=BB224_33 Depth=1
	s_or_b32 exec_lo, exec_lo, s12
	s_and_saveexec_b32 s12, s7
	s_cbranch_execz .LBB224_41
.LBB224_49:                             ;   in Loop: Header=BB224_33 Depth=1
	scratch_load_b128 v[8:11], off, off
	v_add3_u32 v12, v5, -1, v7
	v_add_nc_u32_e32 v13, v5, v7
	s_delay_alu instid0(VALU_DEP_2) | instskip(NEXT) | instid1(VALU_DEP_2)
	v_lshl_add_u32 v12, v12, 2, 0
	v_lshl_add_u32 v13, v13, 4, 0
	ds_store_b32 v12, v6
	s_wait_loadcnt 0x0
	ds_store_2addr_b64 v13, v[8:9], v[10:11] offset0:254 offset1:255
	s_or_b32 exec_lo, exec_lo, s12
	s_and_saveexec_b32 s7, vcc_lo
	s_cbranch_execz .LBB224_32
.LBB224_50:                             ;   in Loop: Header=BB224_33 Depth=1
	ds_store_b32 v1, v7 offset:10268
	s_branch .LBB224_32
.LBB224_51:                             ;   in Loop: Header=BB224_53 Depth=1
	s_or_b32 exec_lo, exec_lo, s12
.LBB224_52:                             ;   in Loop: Header=BB224_53 Depth=1
	s_delay_alu instid0(SALU_CYCLE_1)
	s_or_b32 exec_lo, exec_lo, s3
	s_wait_loadcnt 0x0
	v_mul_f64_e64 v[14:15], v[4:5], -v[6:7]
	v_mul_f64_e32 v[4:5], v[8:9], v[4:5]
	v_lshl_add_u32 v1, v1, 4, 0
	v_add_nc_u64_e32 v[12:13], 0x100, v[12:13]
	s_delay_alu instid0(VALU_DEP_1)
	v_cmp_le_i64_e32 vcc_lo, s[4:5], v[12:13]
	s_or_b32 s1, vcc_lo, s1
	v_fmac_f64_e32 v[14:15], v[8:9], v[2:3]
	v_fmac_f64_e32 v[4:5], v[6:7], v[2:3]
	ds_add_f64 v1, v[14:15] offset:2048
	ds_add_f64 v1, v[4:5] offset:2056
	s_and_not1_b32 exec_lo, exec_lo, s1
	s_cbranch_execz .LBB224_29
.LBB224_53:                             ; =>This Loop Header: Depth=1
                                        ;     Child Loop BB224_56 Depth 2
	v_lshl_add_u64 v[2:3], v[12:13], 2, s[6:7]
	s_mov_b32 s3, exec_lo
	global_load_b32 v1, v[2:3], off
	s_wait_xcnt 0x0
	v_lshl_add_u64 v[2:3], v[12:13], 4, s[8:9]
	global_load_b128 v[2:5], v[2:3], off
	s_wait_loadcnt 0x1
	v_subrev_nc_u32_e32 v11, s23, v1
	s_delay_alu instid0(VALU_DEP_1) | instskip(NEXT) | instid1(VALU_DEP_1)
	v_mul_lo_u32 v1, 0x89, v11
	v_and_b32_e32 v1, 0x1ff, v1
	s_delay_alu instid0(VALU_DEP_1)
	v_lshl_add_u32 v14, v1, 2, 0
	ds_load_b32 v15, v14
	s_wait_dscnt 0x0
	s_wait_xcnt 0x0
	v_cmpx_ne_u32_e64 v15, v11
	s_cbranch_execz .LBB224_52
; %bb.54:                               ;   in Loop: Header=BB224_53 Depth=1
	s_mov_b32 s12, 0
	s_branch .LBB224_56
.LBB224_55:                             ;   in Loop: Header=BB224_56 Depth=2
	s_or_b32 exec_lo, exec_lo, s15
	s_delay_alu instid0(SALU_CYCLE_1) | instskip(NEXT) | instid1(SALU_CYCLE_1)
	s_and_b32 s13, exec_lo, s14
	s_or_b32 s12, s13, s12
	s_delay_alu instid0(SALU_CYCLE_1)
	s_and_not1_b32 exec_lo, exec_lo, s12
	s_cbranch_execz .LBB224_51
.LBB224_56:                             ;   Parent Loop BB224_53 Depth=1
                                        ; =>  This Inner Loop Header: Depth=2
	s_mov_b32 s13, 0
	s_mov_b32 s14, exec_lo
	v_cmpx_ne_u32_e64 s33, v15
	s_xor_b32 s14, exec_lo, s14
	s_cbranch_execz .LBB224_58
; %bb.57:                               ;   in Loop: Header=BB224_56 Depth=2
	v_add_nc_u32_e32 v1, 1, v1
	s_mov_b32 s13, exec_lo
                                        ; implicit-def: $vgpr14
	s_delay_alu instid0(VALU_DEP_1)
	v_and_b32_e32 v1, 0x1ff, v1
	s_and_not1_saveexec_b32 s14, s14
	s_cbranch_execz .LBB224_60
	s_branch .LBB224_59
.LBB224_58:                             ;   in Loop: Header=BB224_56 Depth=2
	s_and_not1_saveexec_b32 s14, s14
	s_cbranch_execz .LBB224_60
.LBB224_59:                             ;   in Loop: Header=BB224_56 Depth=2
	v_mov_b32_e32 v15, s33
	s_and_not1_b32 s13, s13, exec_lo
	ds_cmpstore_rtn_b32 v14, v14, v11, v15
	s_wait_dscnt 0x0
	v_cmp_ne_u32_e32 vcc_lo, s33, v14
	s_and_b32 s15, vcc_lo, exec_lo
	s_delay_alu instid0(SALU_CYCLE_1)
	s_or_b32 s13, s13, s15
.LBB224_60:                             ;   in Loop: Header=BB224_56 Depth=2
	s_or_b32 exec_lo, exec_lo, s14
	s_mov_b32 s14, -1
                                        ; implicit-def: $vgpr14
                                        ; implicit-def: $vgpr15
	s_and_saveexec_b32 s15, s13
	s_cbranch_execz .LBB224_55
; %bb.61:                               ;   in Loop: Header=BB224_56 Depth=2
	v_lshl_add_u32 v14, v1, 2, 0
	ds_load_b32 v15, v14
	s_wait_dscnt 0x0
	v_cmp_eq_u32_e32 vcc_lo, v15, v11
	s_or_not1_b32 s14, vcc_lo, exec_lo
	s_branch .LBB224_55
.LBB224_62:
	s_or_b32 exec_lo, exec_lo, s8
	s_wait_kmcnt 0x0
	s_ashr_i32 s29, s28, 31
	s_delay_alu instid0(SALU_CYCLE_1) | instskip(NEXT) | instid1(SALU_CYCLE_1)
	s_lshl_b64 s[0:1], s[28:29], 3
	s_add_nc_u64 s[4:5], s[10:11], s[0:1]
	s_load_b128 s[0:3], s[4:5], 0x0
	s_wait_xcnt 0x0
	s_mov_b32 s4, exec_lo
	s_wait_kmcnt 0x0
	s_sub_co_i32 s3, s2, s0
	s_delay_alu instid0(SALU_CYCLE_1)
	v_cmpx_gt_i32_e64 s3, v0
	s_cbranch_execz .LBB224_72
; %bb.63:
	s_sub_co_i32 s4, s0, s2
	s_and_b32 s2, s3, 7
	s_cmp_lt_u32 s4, -7
	s_mov_b32 s23, 0
	s_cselect_b32 s4, -1, 0
	s_and_b32 s5, s3, -8
	s_cmp_lg_u32 s2, 0
	s_sub_nc_u64 s[0:1], s[0:1], s[22:23]
	s_cselect_b32 s6, -1, 0
	s_mov_b32 s7, 0
	s_branch .LBB224_65
.LBB224_64:                             ;   in Loop: Header=BB224_65 Depth=1
	s_wait_dscnt 0x0
	v_mul_lo_u32 v4, v0, 12
	v_add_nc_u32_e32 v0, 0x100, v0
	s_delay_alu instid0(VALU_DEP_3) | instskip(NEXT) | instid1(VALU_DEP_2)
	v_lshl_add_u64 v[2:3], v[2:3], 4, s[34:35]
	v_cmp_le_i32_e32 vcc_lo, s3, v0
	s_or_b32 s7, vcc_lo, s7
	s_delay_alu instid0(VALU_DEP_4)
	v_add3_u32 v1, v1, v4, 0x800
	ds_load_2addr_b64 v[4:7], v1 offset1:1
	s_wait_dscnt 0x0
	global_store_b128 v[2:3], v[4:7], off
	s_wait_xcnt 0x0
	s_and_not1_b32 exec_lo, exec_lo, s7
	s_cbranch_execz .LBB224_72
.LBB224_65:                             ; =>This Loop Header: Depth=1
                                        ;     Child Loop BB224_67 Depth 2
                                        ;     Child Loop BB224_71 Depth 2
	v_lshl_add_u32 v1, v0, 2, 0
	v_mov_b64_e32 v[2:3], s[0:1]
	s_and_not1_b32 vcc_lo, exec_lo, s4
	s_mov_b32 s8, 0
	ds_load_b32 v4, v1
	s_cbranch_vccnz .LBB224_69
; %bb.66:                               ;   in Loop: Header=BB224_65 Depth=1
	v_mov_b64_e32 v[2:3], s[0:1]
	s_mov_b32 s9, 0
.LBB224_67:                             ;   Parent Loop BB224_65 Depth=1
                                        ; =>  This Inner Loop Header: Depth=2
	s_delay_alu instid0(SALU_CYCLE_1)
	v_dual_mov_b32 v5, s9 :: v_dual_mov_b32 v11, s23
	v_mov_b32_e32 v17, s23
	s_add_co_i32 s8, s8, 8
	s_add_co_i32 s9, s9, 32
	ds_load_2addr_b32 v[6:7], v5 offset1:1
	ds_load_2addr_b32 v[8:9], v5 offset0:2 offset1:3
	ds_load_2addr_b32 v[12:13], v5 offset0:4 offset1:5
	;; [unrolled: 1-line block ×3, first 2 shown]
	s_cmp_eq_u32 s5, s8
	s_wait_dscnt 0x3
	v_cmp_gt_i32_e32 vcc_lo, v4, v6
	v_cndmask_b32_e64 v10, 0, 1, vcc_lo
	v_cmp_gt_i32_e32 vcc_lo, v4, v7
	v_mov_b32_e32 v7, s23
	s_delay_alu instid0(VALU_DEP_3) | instskip(SKIP_4) | instid1(VALU_DEP_3)
	v_add_nc_u64_e32 v[2:3], v[2:3], v[10:11]
	v_cndmask_b32_e64 v16, 0, 1, vcc_lo
	s_wait_dscnt 0x2
	v_cmp_gt_i32_e32 vcc_lo, v4, v8
	v_cndmask_b32_e64 v6, 0, 1, vcc_lo
	v_add_nc_u64_e32 v[2:3], v[2:3], v[16:17]
	v_cmp_gt_i32_e32 vcc_lo, v4, v9
	v_mov_b32_e32 v9, s23
	v_cndmask_b32_e64 v10, 0, 1, vcc_lo
	s_delay_alu instid0(VALU_DEP_4) | instskip(SKIP_3) | instid1(VALU_DEP_3)
	v_add_nc_u64_e32 v[2:3], v[2:3], v[6:7]
	s_wait_dscnt 0x1
	v_cmp_gt_i32_e32 vcc_lo, v4, v12
	v_cndmask_b32_e64 v6, 0, 1, vcc_lo
	v_add_nc_u64_e32 v[2:3], v[2:3], v[10:11]
	v_cmp_gt_i32_e32 vcc_lo, v4, v13
	v_cndmask_b32_e64 v8, 0, 1, vcc_lo
	s_delay_alu instid0(VALU_DEP_3) | instskip(SKIP_3) | instid1(VALU_DEP_3)
	v_add_nc_u64_e32 v[2:3], v[2:3], v[6:7]
	s_wait_dscnt 0x0
	v_cmp_gt_i32_e32 vcc_lo, v4, v14
	v_cndmask_b32_e64 v6, 0, 1, vcc_lo
	v_add_nc_u64_e32 v[2:3], v[2:3], v[8:9]
	v_cmp_gt_i32_e32 vcc_lo, v4, v15
	v_cndmask_b32_e64 v8, 0, 1, vcc_lo
	s_delay_alu instid0(VALU_DEP_3) | instskip(NEXT) | instid1(VALU_DEP_1)
	v_add_nc_u64_e32 v[2:3], v[2:3], v[6:7]
	v_add_nc_u64_e32 v[2:3], v[2:3], v[8:9]
	s_cbranch_scc0 .LBB224_67
; %bb.68:                               ;   in Loop: Header=BB224_65 Depth=1
	s_mov_b32 s8, s5
.LBB224_69:                             ;   in Loop: Header=BB224_65 Depth=1
	s_and_not1_b32 vcc_lo, exec_lo, s6
	s_cbranch_vccnz .LBB224_64
; %bb.70:                               ;   in Loop: Header=BB224_65 Depth=1
	s_lshl_b32 s8, s8, 2
	s_mov_b32 s9, s2
	s_add_co_i32 s8, s8, 0
.LBB224_71:                             ;   Parent Loop BB224_65 Depth=1
                                        ; =>  This Inner Loop Header: Depth=2
	s_delay_alu instid0(SALU_CYCLE_1)
	v_dual_mov_b32 v5, s8 :: v_dual_mov_b32 v7, s23
	s_add_co_i32 s9, s9, -1
	s_add_co_i32 s8, s8, 4
	s_cmp_lg_u32 s9, 0
	ds_load_b32 v5, v5
	s_wait_dscnt 0x0
	v_cmp_gt_i32_e32 vcc_lo, v4, v5
	v_cndmask_b32_e64 v6, 0, 1, vcc_lo
	s_delay_alu instid0(VALU_DEP_1)
	v_add_nc_u64_e32 v[2:3], v[2:3], v[6:7]
	s_cbranch_scc1 .LBB224_71
	s_branch .LBB224_64
.LBB224_72:
	s_endpgm
	.section	.rodata,"a",@progbits
	.p2align	6, 0x0
	.amdhsa_kernel _ZN9rocsparseL41csrgemm_numeric_fill_block_per_row_kernelILj256ELj32ELj512ELj137ELj32Eli21rocsparse_complex_numIdEEEvT5_PKS3_S5_NS_24const_host_device_scalarIT6_EEPKT4_S5_PKS7_SB_S5_SD_S8_SB_S5_SD_SB_S5_PS7_21rocsparse_index_base_SF_SF_SF_bbb
		.amdhsa_group_segment_fixed_size 0
		.amdhsa_private_segment_fixed_size 40
		.amdhsa_kernarg_size 172
		.amdhsa_user_sgpr_count 2
		.amdhsa_user_sgpr_dispatch_ptr 0
		.amdhsa_user_sgpr_queue_ptr 0
		.amdhsa_user_sgpr_kernarg_segment_ptr 1
		.amdhsa_user_sgpr_dispatch_id 0
		.amdhsa_user_sgpr_kernarg_preload_length 0
		.amdhsa_user_sgpr_kernarg_preload_offset 0
		.amdhsa_user_sgpr_private_segment_size 0
		.amdhsa_wavefront_size32 1
		.amdhsa_uses_dynamic_stack 0
		.amdhsa_enable_private_segment 1
		.amdhsa_system_sgpr_workgroup_id_x 1
		.amdhsa_system_sgpr_workgroup_id_y 0
		.amdhsa_system_sgpr_workgroup_id_z 0
		.amdhsa_system_sgpr_workgroup_info 0
		.amdhsa_system_vgpr_workitem_id 0
		.amdhsa_next_free_vgpr 34
		.amdhsa_next_free_sgpr 42
		.amdhsa_named_barrier_count 0
		.amdhsa_reserve_vcc 1
		.amdhsa_float_round_mode_32 0
		.amdhsa_float_round_mode_16_64 0
		.amdhsa_float_denorm_mode_32 3
		.amdhsa_float_denorm_mode_16_64 3
		.amdhsa_fp16_overflow 0
		.amdhsa_memory_ordered 1
		.amdhsa_forward_progress 1
		.amdhsa_inst_pref_size 25
		.amdhsa_round_robin_scheduling 0
		.amdhsa_exception_fp_ieee_invalid_op 0
		.amdhsa_exception_fp_denorm_src 0
		.amdhsa_exception_fp_ieee_div_zero 0
		.amdhsa_exception_fp_ieee_overflow 0
		.amdhsa_exception_fp_ieee_underflow 0
		.amdhsa_exception_fp_ieee_inexact 0
		.amdhsa_exception_int_div_zero 0
	.end_amdhsa_kernel
	.section	.text._ZN9rocsparseL41csrgemm_numeric_fill_block_per_row_kernelILj256ELj32ELj512ELj137ELj32Eli21rocsparse_complex_numIdEEEvT5_PKS3_S5_NS_24const_host_device_scalarIT6_EEPKT4_S5_PKS7_SB_S5_SD_S8_SB_S5_SD_SB_S5_PS7_21rocsparse_index_base_SF_SF_SF_bbb,"axG",@progbits,_ZN9rocsparseL41csrgemm_numeric_fill_block_per_row_kernelILj256ELj32ELj512ELj137ELj32Eli21rocsparse_complex_numIdEEEvT5_PKS3_S5_NS_24const_host_device_scalarIT6_EEPKT4_S5_PKS7_SB_S5_SD_S8_SB_S5_SD_SB_S5_PS7_21rocsparse_index_base_SF_SF_SF_bbb,comdat
.Lfunc_end224:
	.size	_ZN9rocsparseL41csrgemm_numeric_fill_block_per_row_kernelILj256ELj32ELj512ELj137ELj32Eli21rocsparse_complex_numIdEEEvT5_PKS3_S5_NS_24const_host_device_scalarIT6_EEPKT4_S5_PKS7_SB_S5_SD_S8_SB_S5_SD_SB_S5_PS7_21rocsparse_index_base_SF_SF_SF_bbb, .Lfunc_end224-_ZN9rocsparseL41csrgemm_numeric_fill_block_per_row_kernelILj256ELj32ELj512ELj137ELj32Eli21rocsparse_complex_numIdEEEvT5_PKS3_S5_NS_24const_host_device_scalarIT6_EEPKT4_S5_PKS7_SB_S5_SD_S8_SB_S5_SD_SB_S5_PS7_21rocsparse_index_base_SF_SF_SF_bbb
                                        ; -- End function
	.set _ZN9rocsparseL41csrgemm_numeric_fill_block_per_row_kernelILj256ELj32ELj512ELj137ELj32Eli21rocsparse_complex_numIdEEEvT5_PKS3_S5_NS_24const_host_device_scalarIT6_EEPKT4_S5_PKS7_SB_S5_SD_S8_SB_S5_SD_SB_S5_PS7_21rocsparse_index_base_SF_SF_SF_bbb.num_vgpr, 34
	.set _ZN9rocsparseL41csrgemm_numeric_fill_block_per_row_kernelILj256ELj32ELj512ELj137ELj32Eli21rocsparse_complex_numIdEEEvT5_PKS3_S5_NS_24const_host_device_scalarIT6_EEPKT4_S5_PKS7_SB_S5_SD_S8_SB_S5_SD_SB_S5_PS7_21rocsparse_index_base_SF_SF_SF_bbb.num_agpr, 0
	.set _ZN9rocsparseL41csrgemm_numeric_fill_block_per_row_kernelILj256ELj32ELj512ELj137ELj32Eli21rocsparse_complex_numIdEEEvT5_PKS3_S5_NS_24const_host_device_scalarIT6_EEPKT4_S5_PKS7_SB_S5_SD_S8_SB_S5_SD_SB_S5_PS7_21rocsparse_index_base_SF_SF_SF_bbb.numbered_sgpr, 42
	.set _ZN9rocsparseL41csrgemm_numeric_fill_block_per_row_kernelILj256ELj32ELj512ELj137ELj32Eli21rocsparse_complex_numIdEEEvT5_PKS3_S5_NS_24const_host_device_scalarIT6_EEPKT4_S5_PKS7_SB_S5_SD_S8_SB_S5_SD_SB_S5_PS7_21rocsparse_index_base_SF_SF_SF_bbb.num_named_barrier, 0
	.set _ZN9rocsparseL41csrgemm_numeric_fill_block_per_row_kernelILj256ELj32ELj512ELj137ELj32Eli21rocsparse_complex_numIdEEEvT5_PKS3_S5_NS_24const_host_device_scalarIT6_EEPKT4_S5_PKS7_SB_S5_SD_S8_SB_S5_SD_SB_S5_PS7_21rocsparse_index_base_SF_SF_SF_bbb.private_seg_size, 40
	.set _ZN9rocsparseL41csrgemm_numeric_fill_block_per_row_kernelILj256ELj32ELj512ELj137ELj32Eli21rocsparse_complex_numIdEEEvT5_PKS3_S5_NS_24const_host_device_scalarIT6_EEPKT4_S5_PKS7_SB_S5_SD_S8_SB_S5_SD_SB_S5_PS7_21rocsparse_index_base_SF_SF_SF_bbb.uses_vcc, 1
	.set _ZN9rocsparseL41csrgemm_numeric_fill_block_per_row_kernelILj256ELj32ELj512ELj137ELj32Eli21rocsparse_complex_numIdEEEvT5_PKS3_S5_NS_24const_host_device_scalarIT6_EEPKT4_S5_PKS7_SB_S5_SD_S8_SB_S5_SD_SB_S5_PS7_21rocsparse_index_base_SF_SF_SF_bbb.uses_flat_scratch, 1
	.set _ZN9rocsparseL41csrgemm_numeric_fill_block_per_row_kernelILj256ELj32ELj512ELj137ELj32Eli21rocsparse_complex_numIdEEEvT5_PKS3_S5_NS_24const_host_device_scalarIT6_EEPKT4_S5_PKS7_SB_S5_SD_S8_SB_S5_SD_SB_S5_PS7_21rocsparse_index_base_SF_SF_SF_bbb.has_dyn_sized_stack, 0
	.set _ZN9rocsparseL41csrgemm_numeric_fill_block_per_row_kernelILj256ELj32ELj512ELj137ELj32Eli21rocsparse_complex_numIdEEEvT5_PKS3_S5_NS_24const_host_device_scalarIT6_EEPKT4_S5_PKS7_SB_S5_SD_S8_SB_S5_SD_SB_S5_PS7_21rocsparse_index_base_SF_SF_SF_bbb.has_recursion, 0
	.set _ZN9rocsparseL41csrgemm_numeric_fill_block_per_row_kernelILj256ELj32ELj512ELj137ELj32Eli21rocsparse_complex_numIdEEEvT5_PKS3_S5_NS_24const_host_device_scalarIT6_EEPKT4_S5_PKS7_SB_S5_SD_S8_SB_S5_SD_SB_S5_PS7_21rocsparse_index_base_SF_SF_SF_bbb.has_indirect_call, 0
	.section	.AMDGPU.csdata,"",@progbits
; Kernel info:
; codeLenInByte = 3164
; TotalNumSgprs: 44
; NumVgprs: 34
; ScratchSize: 40
; MemoryBound: 0
; FloatMode: 240
; IeeeMode: 1
; LDSByteSize: 0 bytes/workgroup (compile time only)
; SGPRBlocks: 0
; VGPRBlocks: 2
; NumSGPRsForWavesPerEU: 44
; NumVGPRsForWavesPerEU: 34
; NamedBarCnt: 0
; Occupancy: 16
; WaveLimiterHint : 1
; COMPUTE_PGM_RSRC2:SCRATCH_EN: 1
; COMPUTE_PGM_RSRC2:USER_SGPR: 2
; COMPUTE_PGM_RSRC2:TRAP_HANDLER: 0
; COMPUTE_PGM_RSRC2:TGID_X_EN: 1
; COMPUTE_PGM_RSRC2:TGID_Y_EN: 0
; COMPUTE_PGM_RSRC2:TGID_Z_EN: 0
; COMPUTE_PGM_RSRC2:TIDIG_COMP_CNT: 0
	.section	.text._ZN9rocsparseL41csrgemm_numeric_fill_block_per_row_kernelILj256ELj32ELj512ELj137ELj64Eli21rocsparse_complex_numIdEEEvT5_PKS3_S5_NS_24const_host_device_scalarIT6_EEPKT4_S5_PKS7_SB_S5_SD_S8_SB_S5_SD_SB_S5_PS7_21rocsparse_index_base_SF_SF_SF_bbb,"axG",@progbits,_ZN9rocsparseL41csrgemm_numeric_fill_block_per_row_kernelILj256ELj32ELj512ELj137ELj64Eli21rocsparse_complex_numIdEEEvT5_PKS3_S5_NS_24const_host_device_scalarIT6_EEPKT4_S5_PKS7_SB_S5_SD_S8_SB_S5_SD_SB_S5_PS7_21rocsparse_index_base_SF_SF_SF_bbb,comdat
	.globl	_ZN9rocsparseL41csrgemm_numeric_fill_block_per_row_kernelILj256ELj32ELj512ELj137ELj64Eli21rocsparse_complex_numIdEEEvT5_PKS3_S5_NS_24const_host_device_scalarIT6_EEPKT4_S5_PKS7_SB_S5_SD_S8_SB_S5_SD_SB_S5_PS7_21rocsparse_index_base_SF_SF_SF_bbb ; -- Begin function _ZN9rocsparseL41csrgemm_numeric_fill_block_per_row_kernelILj256ELj32ELj512ELj137ELj64Eli21rocsparse_complex_numIdEEEvT5_PKS3_S5_NS_24const_host_device_scalarIT6_EEPKT4_S5_PKS7_SB_S5_SD_S8_SB_S5_SD_SB_S5_PS7_21rocsparse_index_base_SF_SF_SF_bbb
	.p2align	8
	.type	_ZN9rocsparseL41csrgemm_numeric_fill_block_per_row_kernelILj256ELj32ELj512ELj137ELj64Eli21rocsparse_complex_numIdEEEvT5_PKS3_S5_NS_24const_host_device_scalarIT6_EEPKT4_S5_PKS7_SB_S5_SD_S8_SB_S5_SD_SB_S5_PS7_21rocsparse_index_base_SF_SF_SF_bbb,@function
_ZN9rocsparseL41csrgemm_numeric_fill_block_per_row_kernelILj256ELj32ELj512ELj137ELj64Eli21rocsparse_complex_numIdEEEvT5_PKS3_S5_NS_24const_host_device_scalarIT6_EEPKT4_S5_PKS7_SB_S5_SD_S8_SB_S5_SD_SB_S5_PS7_21rocsparse_index_base_SF_SF_SF_bbb: ; @_ZN9rocsparseL41csrgemm_numeric_fill_block_per_row_kernelILj256ELj32ELj512ELj137ELj64Eli21rocsparse_complex_numIdEEEvT5_PKS3_S5_NS_24const_host_device_scalarIT6_EEPKT4_S5_PKS7_SB_S5_SD_S8_SB_S5_SD_SB_S5_PS7_21rocsparse_index_base_SF_SF_SF_bbb
; %bb.0:
	s_clause 0x2
	s_load_b32 s13, s[0:1], 0xa8
	s_load_b128 s[8:11], s[0:1], 0x18
	s_load_b128 s[4:7], s[0:1], 0x58
	v_mov_b64_e32 v[6:7], 0
	v_mov_b64_e32 v[10:11], 0
	;; [unrolled: 1-line block ×3, first 2 shown]
	v_mbcnt_lo_u32_b32 v28, -1, 0
	s_wait_kmcnt 0x0
	s_bitcmp1_b32 s13, 0
	v_mov_b64_e32 v[2:3], s[8:9]
	s_cselect_b32 s36, -1, 0
	s_bitcmp1_b32 s13, 16
	v_mov_b64_e32 v[4:5], s[4:5]
	s_cselect_b32 s2, -1, 0
	s_clause 0x1
	scratch_store_b64 off, v[2:3], off offset:16
	scratch_store_b64 off, v[4:5], off offset:24
	s_xor_b32 s12, s2, -1
	s_bitcmp0_b32 s13, 0
	v_cndmask_b32_e64 v1, 0, 1, s12
	s_delay_alu instid0(VALU_DEP_1)
	v_cmp_ne_u32_e32 vcc_lo, 1, v1
	s_cbranch_scc1 .LBB225_3
; %bb.1:
	s_wait_xcnt 0x1
	v_dual_mov_b32 v2, 16 :: v_dual_lshlrev_b32 v3, 20, v28
	v_mov_b64_e32 v[12:13], s[10:11]
	s_and_b32 vcc_lo, exec_lo, vcc_lo
	s_delay_alu instid0(VALU_DEP_2) | instskip(NEXT) | instid1(VALU_DEP_1)
	v_add_nc_u64_e32 v[2:3], src_flat_scratch_base_lo, v[2:3]
	v_cndmask_b32_e64 v3, s9, v3, s2
	s_delay_alu instid0(VALU_DEP_2)
	v_cndmask_b32_e64 v2, s8, v2, s2
	flat_load_b64 v[10:11], v[2:3]
	s_cbranch_vccnz .LBB225_3
; %bb.2:
	v_mov_b32_e32 v1, 0
	flat_load_b64 v[12:13], v1, s[8:9] offset:8
.LBB225_3:
	s_load_b128 s[20:23], s[0:1], 0x98
	v_mov_b64_e32 v[8:9], 0
	s_bitcmp1_b32 s13, 8
	s_cselect_b32 s3, -1, 0
	s_bfe_u32 s8, s13, 0x10008
	s_delay_alu instid0(SALU_CYCLE_1)
	s_cmp_eq_u32 s8, 0
	s_cbranch_scc1 .LBB225_6
; %bb.4:
	v_dual_mov_b32 v2, 24 :: v_dual_lshlrev_b32 v3, 20, v28
	v_mov_b64_e32 v[6:7], s[6:7]
	s_and_not1_b32 vcc_lo, exec_lo, s12
	s_delay_alu instid0(VALU_DEP_2) | instskip(NEXT) | instid1(VALU_DEP_1)
	v_add_nc_u64_e32 v[2:3], src_flat_scratch_base_lo, v[2:3]
	v_cndmask_b32_e64 v3, s5, v3, s2
	s_delay_alu instid0(VALU_DEP_2)
	v_cndmask_b32_e64 v2, s4, v2, s2
	flat_load_b64 v[8:9], v[2:3]
	s_cbranch_vccnz .LBB225_6
; %bb.5:
	v_mov_b32_e32 v1, 0
	flat_load_b64 v[6:7], v1, s[4:5] offset:8
.LBB225_6:
	s_clause 0x1
	s_load_b128 s[28:31], s[0:1], 0x8
	s_load_b32 s33, s[0:1], 0x0
	v_cmp_gt_u32_e64 s2, 0x200, v0
	v_lshlrev_b32_e32 v29, 4, v0
	v_or_b32_e32 v26, 0xffffff00, v0
	v_lshl_add_u32 v27, v0, 2, 0
	s_and_saveexec_b32 s6, s2
	s_cbranch_execz .LBB225_9
; %bb.7:
	s_mov_b32 s4, 0
	v_add3_u32 v1, v29, 0, 0x800
	s_mov_b32 s5, s4
	s_mov_b32 s8, s4
	;; [unrolled: 1-line block ×3, first 2 shown]
	v_mov_b64_e32 v[2:3], s[4:5]
	v_mov_b64_e32 v[4:5], s[8:9]
	v_or_b32_e32 v14, 0xffffff00, v0
	v_lshl_add_u32 v15, v0, 2, 0
	s_wait_kmcnt 0x0
	v_mov_b32_e32 v16, s33
.LBB225_8:                              ; =>This Inner Loop Header: Depth=1
	s_delay_alu instid0(VALU_DEP_3)
	v_add_co_u32 v14, s5, 0x100, v14
	s_xor_b32 s5, s5, -1
	ds_store_b32 v15, v16
	ds_store_2addr_b64 v1, v[2:3], v[4:5] offset1:1
	v_add_nc_u32_e32 v1, 0x1000, v1
	v_add_nc_u32_e32 v15, 0x400, v15
	s_and_b32 s5, exec_lo, s5
	s_delay_alu instid0(SALU_CYCLE_1) | instskip(NEXT) | instid1(SALU_CYCLE_1)
	s_or_b32 s4, s5, s4
	s_and_not1_b32 exec_lo, exec_lo, s4
	s_cbranch_execnz .LBB225_8
.LBB225_9:
	s_or_b32 exec_lo, exec_lo, s6
	s_clause 0x3
	s_load_b64 s[34:35], s[0:1], 0x90
	s_load_b256 s[4:11], s[0:1], 0x68
	s_load_b128 s[24:27], s[0:1], 0x48
	s_load_b256 s[12:19], s[0:1], 0x28
	s_wait_storecnt 0x0
	s_wait_loadcnt_dscnt 0x0
	s_barrier_signal -1
	s_barrier_wait -1
	s_wait_kmcnt 0x0
	s_load_b32 s0, s[28:29], 0x0
	s_bfe_u32 s1, ttmp6, 0x4000c
	s_wait_xcnt 0x0
	s_and_b32 s28, ttmp6, 15
	s_add_co_i32 s1, s1, 1
	s_getreg_b32 s29, hwreg(HW_REG_IB_STS2, 6, 4)
	s_mul_i32 s1, ttmp9, s1
	s_delay_alu instid0(SALU_CYCLE_1)
	s_add_co_i32 s28, s28, s1
	s_cmp_eq_u32 s29, 0
	s_cselect_b32 s1, ttmp9, s28
	s_and_b32 vcc_lo, exec_lo, s36
	s_wait_kmcnt 0x0
	s_add_co_i32 s0, s0, s1
	s_mov_b32 s1, 0
	s_load_b32 s28, s[30:31], s0 offset:0x0 scale_offset
	s_cbranch_vccz .LBB225_27
; %bb.10:
	s_wait_kmcnt 0x0
	s_ashr_i32 s29, s28, 31
	v_dual_mov_b32 v3, 0 :: v_dual_lshrrev_b32 v2, 5, v0
	s_lshl_b64 s[30:31], s[28:29], 3
	s_mov_b32 s0, s20
	s_add_nc_u64 s[12:13], s[12:13], s[30:31]
	s_mov_b32 s29, exec_lo
	s_load_b128 s[36:39], s[12:13], 0x0
	v_sub_nc_u64_e64 v[4:5], v[2:3], s[0:1]
	s_wait_kmcnt 0x0
	s_delay_alu instid0(VALU_DEP_1)
	v_add_nc_u64_e32 v[14:15], s[36:37], v[4:5]
	s_sub_nc_u64 s[0:1], s[38:39], s[0:1]
	s_delay_alu instid0(VALU_DEP_1) | instid1(SALU_CYCLE_1)
	v_cmpx_gt_i64_e64 s[0:1], v[14:15]
	s_cbranch_execz .LBB225_26
; %bb.11:
	v_and_b32_e32 v2, 31, v0
	s_mov_b32 s13, 0
	s_mov_b32 s12, s21
	;; [unrolled: 1-line block ×3, first 2 shown]
	s_delay_alu instid0(VALU_DEP_1)
	v_sub_nc_u64_e64 v[16:17], v[2:3], s[12:13]
	s_branch .LBB225_13
.LBB225_12:                             ;   in Loop: Header=BB225_13 Depth=1
	s_or_b32 exec_lo, exec_lo, s31
	v_add_nc_u64_e32 v[14:15], 8, v[14:15]
	s_delay_alu instid0(VALU_DEP_1) | instskip(SKIP_1) | instid1(SALU_CYCLE_1)
	v_cmp_le_i64_e32 vcc_lo, s[0:1], v[14:15]
	s_or_b32 s30, vcc_lo, s30
	s_and_not1_b32 exec_lo, exec_lo, s30
	s_cbranch_execz .LBB225_26
.LBB225_13:                             ; =>This Loop Header: Depth=1
                                        ;     Child Loop BB225_17 Depth 2
                                        ;       Child Loop BB225_20 Depth 3
	v_lshl_add_u64 v[2:3], v[14:15], 2, s[14:15]
	s_mov_b32 s31, exec_lo
	global_load_b32 v1, v[2:3], off
	s_wait_loadcnt 0x0
	s_wait_xcnt 0x0
	v_subrev_nc_u32_e32 v2, s20, v1
	s_delay_alu instid0(VALU_DEP_1) | instskip(NEXT) | instid1(VALU_DEP_1)
	v_ashrrev_i32_e32 v3, 31, v2
	v_lshl_add_u64 v[2:3], v[2:3], 3, s[18:19]
	global_load_b128 v[2:5], v[2:3], off
	s_wait_loadcnt 0x0
	v_sub_nc_u64_e64 v[18:19], v[4:5], s[12:13]
	v_add_nc_u64_e32 v[20:21], v[2:3], v[16:17]
	s_wait_xcnt 0x0
	s_delay_alu instid0(VALU_DEP_1)
	v_cmpx_lt_i64_e64 v[20:21], v[18:19]
	s_cbranch_execz .LBB225_12
; %bb.14:                               ;   in Loop: Header=BB225_13 Depth=1
	v_lshl_add_u64 v[2:3], v[14:15], 4, s[16:17]
	s_mov_b32 s36, 0
	global_load_b128 v[2:5], v[2:3], off
	s_wait_loadcnt 0x0
	v_mul_f64_e64 v[22:23], v[4:5], -v[12:13]
	v_mul_f64_e32 v[24:25], v[10:11], v[4:5]
	s_delay_alu instid0(VALU_DEP_2) | instskip(NEXT) | instid1(VALU_DEP_2)
	v_fmac_f64_e32 v[22:23], v[10:11], v[2:3]
	v_fmac_f64_e32 v[24:25], v[12:13], v[2:3]
	s_branch .LBB225_17
.LBB225_15:                             ;   in Loop: Header=BB225_17 Depth=2
	s_or_b32 exec_lo, exec_lo, s38
.LBB225_16:                             ;   in Loop: Header=BB225_17 Depth=2
	s_delay_alu instid0(SALU_CYCLE_1)
	s_or_b32 exec_lo, exec_lo, s37
	s_wait_loadcnt 0x0
	v_mul_f64_e64 v[30:31], v[4:5], -v[24:25]
	v_mul_f64_e32 v[4:5], v[22:23], v[4:5]
	v_lshl_add_u32 v1, v1, 4, 0
	v_add_nc_u64_e32 v[20:21], 32, v[20:21]
	s_delay_alu instid0(VALU_DEP_1)
	v_cmp_ge_i64_e32 vcc_lo, v[20:21], v[18:19]
	s_or_b32 s36, vcc_lo, s36
	v_fmac_f64_e32 v[30:31], v[22:23], v[2:3]
	v_fmac_f64_e32 v[4:5], v[24:25], v[2:3]
	ds_add_f64 v1, v[30:31] offset:2048
	ds_add_f64 v1, v[4:5] offset:2056
	s_and_not1_b32 exec_lo, exec_lo, s36
	s_cbranch_execz .LBB225_12
.LBB225_17:                             ;   Parent Loop BB225_13 Depth=1
                                        ; =>  This Loop Header: Depth=2
                                        ;       Child Loop BB225_20 Depth 3
	s_wait_xcnt 0x0
	v_lshl_add_u64 v[2:3], v[20:21], 2, s[24:25]
	s_mov_b32 s37, exec_lo
	global_load_b32 v1, v[2:3], off
	s_wait_xcnt 0x0
	v_lshl_add_u64 v[2:3], v[20:21], 4, s[26:27]
	global_load_b128 v[2:5], v[2:3], off
	s_wait_loadcnt 0x1
	v_subrev_nc_u32_e32 v30, s21, v1
	s_delay_alu instid0(VALU_DEP_1) | instskip(NEXT) | instid1(VALU_DEP_1)
	v_mul_lo_u32 v1, 0x89, v30
	v_and_b32_e32 v1, 0x1ff, v1
	s_delay_alu instid0(VALU_DEP_1)
	v_lshl_add_u32 v31, v1, 2, 0
	ds_load_b32 v32, v31
	s_wait_dscnt 0x0
	s_wait_xcnt 0x0
	v_cmpx_ne_u32_e64 v32, v30
	s_cbranch_execz .LBB225_16
; %bb.18:                               ;   in Loop: Header=BB225_17 Depth=2
	s_mov_b32 s38, 0
	s_branch .LBB225_20
.LBB225_19:                             ;   in Loop: Header=BB225_20 Depth=3
	s_or_b32 exec_lo, exec_lo, s41
	s_delay_alu instid0(SALU_CYCLE_1) | instskip(NEXT) | instid1(SALU_CYCLE_1)
	s_and_b32 s39, exec_lo, s40
	s_or_b32 s38, s39, s38
	s_delay_alu instid0(SALU_CYCLE_1)
	s_and_not1_b32 exec_lo, exec_lo, s38
	s_cbranch_execz .LBB225_15
.LBB225_20:                             ;   Parent Loop BB225_13 Depth=1
                                        ;     Parent Loop BB225_17 Depth=2
                                        ; =>    This Inner Loop Header: Depth=3
	s_mov_b32 s39, 0
	s_mov_b32 s40, exec_lo
	v_cmpx_ne_u32_e64 s33, v32
	s_xor_b32 s40, exec_lo, s40
	s_cbranch_execz .LBB225_22
; %bb.21:                               ;   in Loop: Header=BB225_20 Depth=3
	v_add_nc_u32_e32 v1, 1, v1
	s_mov_b32 s39, exec_lo
                                        ; implicit-def: $vgpr31
	s_delay_alu instid0(VALU_DEP_1)
	v_and_b32_e32 v1, 0x1ff, v1
	s_and_not1_saveexec_b32 s40, s40
	s_cbranch_execz .LBB225_24
	s_branch .LBB225_23
.LBB225_22:                             ;   in Loop: Header=BB225_20 Depth=3
	s_and_not1_saveexec_b32 s40, s40
	s_cbranch_execz .LBB225_24
.LBB225_23:                             ;   in Loop: Header=BB225_20 Depth=3
	v_mov_b32_e32 v32, s33
	s_and_not1_b32 s39, s39, exec_lo
	ds_cmpstore_rtn_b32 v31, v31, v30, v32
	s_wait_dscnt 0x0
	v_cmp_ne_u32_e32 vcc_lo, s33, v31
	s_and_b32 s41, vcc_lo, exec_lo
	s_delay_alu instid0(SALU_CYCLE_1)
	s_or_b32 s39, s39, s41
.LBB225_24:                             ;   in Loop: Header=BB225_20 Depth=3
	s_or_b32 exec_lo, exec_lo, s40
	s_mov_b32 s40, -1
                                        ; implicit-def: $vgpr31
                                        ; implicit-def: $vgpr32
	s_and_saveexec_b32 s41, s39
	s_cbranch_execz .LBB225_19
; %bb.25:                               ;   in Loop: Header=BB225_20 Depth=3
	v_lshl_add_u32 v31, v1, 2, 0
	ds_load_b32 v32, v31
	s_wait_dscnt 0x0
	v_cmp_eq_u32_e32 vcc_lo, v32, v30
	s_or_not1_b32 s40, vcc_lo, exec_lo
	s_branch .LBB225_19
.LBB225_26:
	s_or_b32 exec_lo, exec_lo, s29
.LBB225_27:
	s_delay_alu instid0(SALU_CYCLE_1)
	s_and_not1_b32 vcc_lo, exec_lo, s3
	s_cbranch_vccnz .LBB225_30
; %bb.28:
	s_wait_kmcnt 0x0
	s_ashr_i32 s29, s28, 31
	v_mov_b32_e32 v1, 0
	s_lshl_b64 s[0:1], s[28:29], 3
	s_delay_alu instid0(SALU_CYCLE_1) | instskip(SKIP_4) | instid1(SALU_CYCLE_1)
	s_add_nc_u64 s[0:1], s[4:5], s[0:1]
	s_load_b128 s[12:15], s[0:1], 0x0
	s_wait_xcnt 0x0
	s_mov_b32 s1, 0
	s_mov_b32 s0, s23
	v_sub_nc_u64_e64 v[2:3], v[0:1], s[0:1]
	s_wait_kmcnt 0x0
	s_delay_alu instid0(VALU_DEP_1) | instskip(SKIP_2) | instid1(VALU_DEP_1)
	v_add_nc_u64_e32 v[10:11], s[12:13], v[2:3]
	s_sub_nc_u64 s[4:5], s[14:15], s[0:1]
	s_mov_b32 s0, exec_lo
	v_cmpx_gt_i64_e64 s[4:5], v[10:11]
	s_cbranch_execnz .LBB225_45
.LBB225_29:
	s_or_b32 exec_lo, exec_lo, s0
.LBB225_30:
	s_wait_dscnt 0x0
	s_barrier_signal -1
	s_barrier_wait -1
	s_and_saveexec_b32 s4, s2
	s_cbranch_execz .LBB225_54
; %bb.31:
	v_dual_mov_b32 v1, 0 :: v_dual_lshrrev_b32 v2, 4, v0
	v_xor_b32_e32 v4, 31, v28
	s_wait_xcnt 0x0
	v_cmp_lt_u32_e64 s0, 63, v0
	v_cmp_lt_u32_e64 s1, 0x7f, v0
	v_and_b32_e32 v5, 12, v2
	v_cmp_lt_u32_e64 s2, 0xbf, v0
	v_add3_u32 v3, v29, 0, 0x800
	v_lshrrev_b32_e64 v2, v4, -1
	s_mov_b32 s5, 0
	v_dual_mov_b32 v5, 0 :: v_dual_add_nc_u32 v4, 0, v5
	v_cmp_eq_u32_e32 vcc_lo, 0xff, v0
	s_branch .LBB225_33
.LBB225_32:                             ;   in Loop: Header=BB225_33 Depth=1
	s_or_b32 exec_lo, exec_lo, s3
	s_wait_dscnt 0x0
	s_barrier_signal -1
	s_barrier_wait -1
	ds_load_b32 v6, v1 offset:10252
	v_add_co_u32 v26, s3, 0x100, v26
	s_xor_b32 s3, s3, -1
	v_add_nc_u32_e32 v3, 0x1000, v3
	v_add_nc_u32_e32 v27, 0x400, v27
	s_and_b32 s3, exec_lo, s3
	s_delay_alu instid0(SALU_CYCLE_1)
	s_or_b32 s5, s3, s5
	s_wait_dscnt 0x0
	v_add_nc_u32_e32 v5, v6, v5
	s_and_not1_b32 exec_lo, exec_lo, s5
	s_cbranch_execz .LBB225_54
.LBB225_33:                             ; =>This Inner Loop Header: Depth=1
	ds_load_b32 v6, v27
	ds_load_2addr_b64 v[8:11], v3 offset1:1
	s_wait_dscnt 0x1
	v_cmp_gt_i32_e64 s3, s33, v6
	s_wait_dscnt 0x0
	scratch_store_b128 off, v[8:11], off
	s_wait_storecnt 0x0
	s_barrier_signal -1
	s_barrier_wait -1
	s_bcnt1_i32_b32 s6, s3
	s_wait_xcnt 0x0
	v_dual_mov_b32 v8, s6 :: v_dual_bitop2_b32 v7, s3, v2 bitop3:0x40
	s_delay_alu instid0(VALU_DEP_1)
	v_bcnt_u32_b32 v7, v7, 0
	ds_store_b32 v4, v8 offset:10240
	s_wait_dscnt 0x0
	s_barrier_signal -1
	s_barrier_wait -1
	s_and_saveexec_b32 s6, s0
	s_cbranch_execz .LBB225_38
; %bb.34:                               ;   in Loop: Header=BB225_33 Depth=1
	ds_load_b32 v8, v1 offset:10240
	s_wait_dscnt 0x0
	v_add_nc_u32_e32 v7, v8, v7
	s_or_b32 exec_lo, exec_lo, s6
	s_and_saveexec_b32 s6, s1
	s_cbranch_execnz .LBB225_39
.LBB225_35:                             ;   in Loop: Header=BB225_33 Depth=1
	s_or_b32 exec_lo, exec_lo, s6
	s_and_saveexec_b32 s6, s2
	s_cbranch_execz .LBB225_40
.LBB225_36:                             ;   in Loop: Header=BB225_33 Depth=1
	ds_load_b32 v8, v1 offset:10248
	s_wait_dscnt 0x0
	v_add_nc_u32_e32 v7, v8, v7
	s_or_b32 exec_lo, exec_lo, s6
	s_and_saveexec_b32 s6, s3
	s_cbranch_execnz .LBB225_41
.LBB225_37:                             ;   in Loop: Header=BB225_33 Depth=1
	s_or_b32 exec_lo, exec_lo, s6
	s_and_saveexec_b32 s3, vcc_lo
	s_cbranch_execz .LBB225_32
	s_branch .LBB225_42
.LBB225_38:                             ;   in Loop: Header=BB225_33 Depth=1
	s_or_b32 exec_lo, exec_lo, s6
	s_and_saveexec_b32 s6, s1
	s_cbranch_execz .LBB225_35
.LBB225_39:                             ;   in Loop: Header=BB225_33 Depth=1
	ds_load_b32 v8, v1 offset:10244
	s_wait_dscnt 0x0
	v_add_nc_u32_e32 v7, v8, v7
	s_or_b32 exec_lo, exec_lo, s6
	s_and_saveexec_b32 s6, s2
	s_cbranch_execnz .LBB225_36
.LBB225_40:                             ;   in Loop: Header=BB225_33 Depth=1
	s_or_b32 exec_lo, exec_lo, s6
	s_and_saveexec_b32 s6, s3
	s_cbranch_execz .LBB225_37
.LBB225_41:                             ;   in Loop: Header=BB225_33 Depth=1
	scratch_load_b128 v[8:11], off, off
	v_add3_u32 v12, v5, -1, v7
	v_add_nc_u32_e32 v13, v5, v7
	s_delay_alu instid0(VALU_DEP_2) | instskip(NEXT) | instid1(VALU_DEP_2)
	v_lshl_add_u32 v12, v12, 2, 0
	v_lshl_add_u32 v13, v13, 4, 0
	ds_store_b32 v12, v6
	s_wait_loadcnt 0x0
	ds_store_2addr_b64 v13, v[8:9], v[10:11] offset0:254 offset1:255
	s_or_b32 exec_lo, exec_lo, s6
	s_and_saveexec_b32 s3, vcc_lo
	s_cbranch_execz .LBB225_32
.LBB225_42:                             ;   in Loop: Header=BB225_33 Depth=1
	ds_store_b32 v1, v7 offset:10252
	s_branch .LBB225_32
.LBB225_43:                             ;   in Loop: Header=BB225_45 Depth=1
	s_or_b32 exec_lo, exec_lo, s12
.LBB225_44:                             ;   in Loop: Header=BB225_45 Depth=1
	s_delay_alu instid0(SALU_CYCLE_1)
	s_or_b32 exec_lo, exec_lo, s3
	s_wait_loadcnt 0x0
	v_mul_f64_e64 v[12:13], v[4:5], -v[6:7]
	v_mul_f64_e32 v[4:5], v[8:9], v[4:5]
	v_lshl_add_u32 v1, v1, 4, 0
	v_add_nc_u64_e32 v[10:11], 0x100, v[10:11]
	s_delay_alu instid0(VALU_DEP_1)
	v_cmp_le_i64_e32 vcc_lo, s[4:5], v[10:11]
	s_or_b32 s1, vcc_lo, s1
	v_fmac_f64_e32 v[12:13], v[8:9], v[2:3]
	v_fmac_f64_e32 v[4:5], v[6:7], v[2:3]
	ds_add_f64 v1, v[12:13] offset:2048
	ds_add_f64 v1, v[4:5] offset:2056
	s_and_not1_b32 exec_lo, exec_lo, s1
	s_cbranch_execz .LBB225_29
.LBB225_45:                             ; =>This Loop Header: Depth=1
                                        ;     Child Loop BB225_48 Depth 2
	v_lshl_add_u64 v[2:3], v[10:11], 2, s[6:7]
	s_mov_b32 s3, exec_lo
	global_load_b32 v1, v[2:3], off
	s_wait_xcnt 0x0
	v_lshl_add_u64 v[2:3], v[10:11], 4, s[8:9]
	global_load_b128 v[2:5], v[2:3], off
	s_wait_loadcnt 0x1
	v_subrev_nc_u32_e32 v12, s23, v1
	s_delay_alu instid0(VALU_DEP_1) | instskip(NEXT) | instid1(VALU_DEP_1)
	v_mul_lo_u32 v1, 0x89, v12
	v_and_b32_e32 v1, 0x1ff, v1
	s_delay_alu instid0(VALU_DEP_1)
	v_lshl_add_u32 v13, v1, 2, 0
	ds_load_b32 v14, v13
	s_wait_dscnt 0x0
	s_wait_xcnt 0x0
	v_cmpx_ne_u32_e64 v14, v12
	s_cbranch_execz .LBB225_44
; %bb.46:                               ;   in Loop: Header=BB225_45 Depth=1
	s_mov_b32 s12, 0
	s_branch .LBB225_48
.LBB225_47:                             ;   in Loop: Header=BB225_48 Depth=2
	s_or_b32 exec_lo, exec_lo, s15
	s_delay_alu instid0(SALU_CYCLE_1) | instskip(NEXT) | instid1(SALU_CYCLE_1)
	s_and_b32 s13, exec_lo, s14
	s_or_b32 s12, s13, s12
	s_delay_alu instid0(SALU_CYCLE_1)
	s_and_not1_b32 exec_lo, exec_lo, s12
	s_cbranch_execz .LBB225_43
.LBB225_48:                             ;   Parent Loop BB225_45 Depth=1
                                        ; =>  This Inner Loop Header: Depth=2
	s_mov_b32 s13, 0
	s_mov_b32 s14, exec_lo
	v_cmpx_ne_u32_e64 s33, v14
	s_xor_b32 s14, exec_lo, s14
	s_cbranch_execz .LBB225_50
; %bb.49:                               ;   in Loop: Header=BB225_48 Depth=2
	v_add_nc_u32_e32 v1, 1, v1
	s_mov_b32 s13, exec_lo
                                        ; implicit-def: $vgpr13
	s_delay_alu instid0(VALU_DEP_1)
	v_and_b32_e32 v1, 0x1ff, v1
	s_and_not1_saveexec_b32 s14, s14
	s_cbranch_execz .LBB225_52
	s_branch .LBB225_51
.LBB225_50:                             ;   in Loop: Header=BB225_48 Depth=2
	s_and_not1_saveexec_b32 s14, s14
	s_cbranch_execz .LBB225_52
.LBB225_51:                             ;   in Loop: Header=BB225_48 Depth=2
	v_mov_b32_e32 v14, s33
	s_and_not1_b32 s13, s13, exec_lo
	ds_cmpstore_rtn_b32 v13, v13, v12, v14
	s_wait_dscnt 0x0
	v_cmp_ne_u32_e32 vcc_lo, s33, v13
	s_and_b32 s15, vcc_lo, exec_lo
	s_delay_alu instid0(SALU_CYCLE_1)
	s_or_b32 s13, s13, s15
.LBB225_52:                             ;   in Loop: Header=BB225_48 Depth=2
	s_or_b32 exec_lo, exec_lo, s14
	s_mov_b32 s14, -1
                                        ; implicit-def: $vgpr13
                                        ; implicit-def: $vgpr14
	s_and_saveexec_b32 s15, s13
	s_cbranch_execz .LBB225_47
; %bb.53:                               ;   in Loop: Header=BB225_48 Depth=2
	v_lshl_add_u32 v13, v1, 2, 0
	ds_load_b32 v14, v13
	s_wait_dscnt 0x0
	v_cmp_eq_u32_e32 vcc_lo, v14, v12
	s_or_not1_b32 s14, vcc_lo, exec_lo
	s_branch .LBB225_47
.LBB225_54:
	s_or_b32 exec_lo, exec_lo, s4
	s_wait_kmcnt 0x0
	s_ashr_i32 s29, s28, 31
	s_delay_alu instid0(SALU_CYCLE_1) | instskip(NEXT) | instid1(SALU_CYCLE_1)
	s_lshl_b64 s[0:1], s[28:29], 3
	s_add_nc_u64 s[4:5], s[10:11], s[0:1]
	s_load_b128 s[0:3], s[4:5], 0x0
	s_wait_xcnt 0x0
	s_mov_b32 s4, exec_lo
	s_wait_kmcnt 0x0
	s_sub_co_i32 s3, s2, s0
	s_delay_alu instid0(SALU_CYCLE_1)
	v_cmpx_gt_i32_e64 s3, v0
	s_cbranch_execz .LBB225_64
; %bb.55:
	s_sub_co_i32 s4, s0, s2
	s_and_b32 s2, s3, 7
	s_cmp_lt_u32 s4, -7
	s_mov_b32 s23, 0
	s_cselect_b32 s4, -1, 0
	s_and_b32 s5, s3, -8
	s_cmp_lg_u32 s2, 0
	s_sub_nc_u64 s[0:1], s[0:1], s[22:23]
	s_cselect_b32 s6, -1, 0
	s_mov_b32 s7, 0
	s_branch .LBB225_57
.LBB225_56:                             ;   in Loop: Header=BB225_57 Depth=1
	s_wait_dscnt 0x0
	v_mul_lo_u32 v4, v0, 12
	v_add_nc_u32_e32 v0, 0x100, v0
	s_delay_alu instid0(VALU_DEP_3) | instskip(NEXT) | instid1(VALU_DEP_2)
	v_lshl_add_u64 v[2:3], v[2:3], 4, s[34:35]
	v_cmp_le_i32_e32 vcc_lo, s3, v0
	s_or_b32 s7, vcc_lo, s7
	s_delay_alu instid0(VALU_DEP_4)
	v_add3_u32 v1, v1, v4, 0x800
	ds_load_2addr_b64 v[4:7], v1 offset1:1
	s_wait_dscnt 0x0
	global_store_b128 v[2:3], v[4:7], off
	s_wait_xcnt 0x0
	s_and_not1_b32 exec_lo, exec_lo, s7
	s_cbranch_execz .LBB225_64
.LBB225_57:                             ; =>This Loop Header: Depth=1
                                        ;     Child Loop BB225_59 Depth 2
                                        ;     Child Loop BB225_63 Depth 2
	v_lshl_add_u32 v1, v0, 2, 0
	v_mov_b64_e32 v[2:3], s[0:1]
	s_and_not1_b32 vcc_lo, exec_lo, s4
	s_mov_b32 s8, 0
	ds_load_b32 v4, v1
	s_cbranch_vccnz .LBB225_61
; %bb.58:                               ;   in Loop: Header=BB225_57 Depth=1
	v_mov_b64_e32 v[2:3], s[0:1]
	s_mov_b32 s9, 0
.LBB225_59:                             ;   Parent Loop BB225_57 Depth=1
                                        ; =>  This Inner Loop Header: Depth=2
	s_delay_alu instid0(SALU_CYCLE_1)
	v_dual_mov_b32 v5, s9 :: v_dual_mov_b32 v11, s23
	v_mov_b32_e32 v17, s23
	s_add_co_i32 s8, s8, 8
	s_add_co_i32 s9, s9, 32
	ds_load_2addr_b32 v[6:7], v5 offset1:1
	ds_load_2addr_b32 v[8:9], v5 offset0:2 offset1:3
	ds_load_2addr_b32 v[12:13], v5 offset0:4 offset1:5
	ds_load_2addr_b32 v[14:15], v5 offset0:6 offset1:7
	s_cmp_eq_u32 s5, s8
	s_wait_dscnt 0x3
	v_cmp_gt_i32_e32 vcc_lo, v4, v6
	v_cndmask_b32_e64 v10, 0, 1, vcc_lo
	v_cmp_gt_i32_e32 vcc_lo, v4, v7
	v_mov_b32_e32 v7, s23
	s_delay_alu instid0(VALU_DEP_3) | instskip(SKIP_4) | instid1(VALU_DEP_3)
	v_add_nc_u64_e32 v[2:3], v[2:3], v[10:11]
	v_cndmask_b32_e64 v16, 0, 1, vcc_lo
	s_wait_dscnt 0x2
	v_cmp_gt_i32_e32 vcc_lo, v4, v8
	v_cndmask_b32_e64 v6, 0, 1, vcc_lo
	v_add_nc_u64_e32 v[2:3], v[2:3], v[16:17]
	v_cmp_gt_i32_e32 vcc_lo, v4, v9
	v_mov_b32_e32 v9, s23
	v_cndmask_b32_e64 v10, 0, 1, vcc_lo
	s_delay_alu instid0(VALU_DEP_4) | instskip(SKIP_3) | instid1(VALU_DEP_3)
	v_add_nc_u64_e32 v[2:3], v[2:3], v[6:7]
	s_wait_dscnt 0x1
	v_cmp_gt_i32_e32 vcc_lo, v4, v12
	v_cndmask_b32_e64 v6, 0, 1, vcc_lo
	v_add_nc_u64_e32 v[2:3], v[2:3], v[10:11]
	v_cmp_gt_i32_e32 vcc_lo, v4, v13
	v_cndmask_b32_e64 v8, 0, 1, vcc_lo
	s_delay_alu instid0(VALU_DEP_3) | instskip(SKIP_3) | instid1(VALU_DEP_3)
	v_add_nc_u64_e32 v[2:3], v[2:3], v[6:7]
	s_wait_dscnt 0x0
	v_cmp_gt_i32_e32 vcc_lo, v4, v14
	v_cndmask_b32_e64 v6, 0, 1, vcc_lo
	v_add_nc_u64_e32 v[2:3], v[2:3], v[8:9]
	v_cmp_gt_i32_e32 vcc_lo, v4, v15
	v_cndmask_b32_e64 v8, 0, 1, vcc_lo
	s_delay_alu instid0(VALU_DEP_3) | instskip(NEXT) | instid1(VALU_DEP_1)
	v_add_nc_u64_e32 v[2:3], v[2:3], v[6:7]
	v_add_nc_u64_e32 v[2:3], v[2:3], v[8:9]
	s_cbranch_scc0 .LBB225_59
; %bb.60:                               ;   in Loop: Header=BB225_57 Depth=1
	s_mov_b32 s8, s5
.LBB225_61:                             ;   in Loop: Header=BB225_57 Depth=1
	s_and_not1_b32 vcc_lo, exec_lo, s6
	s_cbranch_vccnz .LBB225_56
; %bb.62:                               ;   in Loop: Header=BB225_57 Depth=1
	s_lshl_b32 s8, s8, 2
	s_mov_b32 s9, s2
	s_add_co_i32 s8, s8, 0
.LBB225_63:                             ;   Parent Loop BB225_57 Depth=1
                                        ; =>  This Inner Loop Header: Depth=2
	s_delay_alu instid0(SALU_CYCLE_1)
	v_dual_mov_b32 v5, s8 :: v_dual_mov_b32 v7, s23
	s_add_co_i32 s9, s9, -1
	s_add_co_i32 s8, s8, 4
	s_cmp_lg_u32 s9, 0
	ds_load_b32 v5, v5
	s_wait_dscnt 0x0
	v_cmp_gt_i32_e32 vcc_lo, v4, v5
	v_cndmask_b32_e64 v6, 0, 1, vcc_lo
	s_delay_alu instid0(VALU_DEP_1)
	v_add_nc_u64_e32 v[2:3], v[2:3], v[6:7]
	s_cbranch_scc1 .LBB225_63
	s_branch .LBB225_56
.LBB225_64:
	s_endpgm
	.section	.rodata,"a",@progbits
	.p2align	6, 0x0
	.amdhsa_kernel _ZN9rocsparseL41csrgemm_numeric_fill_block_per_row_kernelILj256ELj32ELj512ELj137ELj64Eli21rocsparse_complex_numIdEEEvT5_PKS3_S5_NS_24const_host_device_scalarIT6_EEPKT4_S5_PKS7_SB_S5_SD_S8_SB_S5_SD_SB_S5_PS7_21rocsparse_index_base_SF_SF_SF_bbb
		.amdhsa_group_segment_fixed_size 0
		.amdhsa_private_segment_fixed_size 40
		.amdhsa_kernarg_size 172
		.amdhsa_user_sgpr_count 2
		.amdhsa_user_sgpr_dispatch_ptr 0
		.amdhsa_user_sgpr_queue_ptr 0
		.amdhsa_user_sgpr_kernarg_segment_ptr 1
		.amdhsa_user_sgpr_dispatch_id 0
		.amdhsa_user_sgpr_kernarg_preload_length 0
		.amdhsa_user_sgpr_kernarg_preload_offset 0
		.amdhsa_user_sgpr_private_segment_size 0
		.amdhsa_wavefront_size32 1
		.amdhsa_uses_dynamic_stack 0
		.amdhsa_enable_private_segment 1
		.amdhsa_system_sgpr_workgroup_id_x 1
		.amdhsa_system_sgpr_workgroup_id_y 0
		.amdhsa_system_sgpr_workgroup_id_z 0
		.amdhsa_system_sgpr_workgroup_info 0
		.amdhsa_system_vgpr_workitem_id 0
		.amdhsa_next_free_vgpr 33
		.amdhsa_next_free_sgpr 42
		.amdhsa_named_barrier_count 0
		.amdhsa_reserve_vcc 1
		.amdhsa_float_round_mode_32 0
		.amdhsa_float_round_mode_16_64 0
		.amdhsa_float_denorm_mode_32 3
		.amdhsa_float_denorm_mode_16_64 3
		.amdhsa_fp16_overflow 0
		.amdhsa_memory_ordered 1
		.amdhsa_forward_progress 1
		.amdhsa_inst_pref_size 24
		.amdhsa_round_robin_scheduling 0
		.amdhsa_exception_fp_ieee_invalid_op 0
		.amdhsa_exception_fp_denorm_src 0
		.amdhsa_exception_fp_ieee_div_zero 0
		.amdhsa_exception_fp_ieee_overflow 0
		.amdhsa_exception_fp_ieee_underflow 0
		.amdhsa_exception_fp_ieee_inexact 0
		.amdhsa_exception_int_div_zero 0
	.end_amdhsa_kernel
	.section	.text._ZN9rocsparseL41csrgemm_numeric_fill_block_per_row_kernelILj256ELj32ELj512ELj137ELj64Eli21rocsparse_complex_numIdEEEvT5_PKS3_S5_NS_24const_host_device_scalarIT6_EEPKT4_S5_PKS7_SB_S5_SD_S8_SB_S5_SD_SB_S5_PS7_21rocsparse_index_base_SF_SF_SF_bbb,"axG",@progbits,_ZN9rocsparseL41csrgemm_numeric_fill_block_per_row_kernelILj256ELj32ELj512ELj137ELj64Eli21rocsparse_complex_numIdEEEvT5_PKS3_S5_NS_24const_host_device_scalarIT6_EEPKT4_S5_PKS7_SB_S5_SD_S8_SB_S5_SD_SB_S5_PS7_21rocsparse_index_base_SF_SF_SF_bbb,comdat
.Lfunc_end225:
	.size	_ZN9rocsparseL41csrgemm_numeric_fill_block_per_row_kernelILj256ELj32ELj512ELj137ELj64Eli21rocsparse_complex_numIdEEEvT5_PKS3_S5_NS_24const_host_device_scalarIT6_EEPKT4_S5_PKS7_SB_S5_SD_S8_SB_S5_SD_SB_S5_PS7_21rocsparse_index_base_SF_SF_SF_bbb, .Lfunc_end225-_ZN9rocsparseL41csrgemm_numeric_fill_block_per_row_kernelILj256ELj32ELj512ELj137ELj64Eli21rocsparse_complex_numIdEEEvT5_PKS3_S5_NS_24const_host_device_scalarIT6_EEPKT4_S5_PKS7_SB_S5_SD_S8_SB_S5_SD_SB_S5_PS7_21rocsparse_index_base_SF_SF_SF_bbb
                                        ; -- End function
	.set _ZN9rocsparseL41csrgemm_numeric_fill_block_per_row_kernelILj256ELj32ELj512ELj137ELj64Eli21rocsparse_complex_numIdEEEvT5_PKS3_S5_NS_24const_host_device_scalarIT6_EEPKT4_S5_PKS7_SB_S5_SD_S8_SB_S5_SD_SB_S5_PS7_21rocsparse_index_base_SF_SF_SF_bbb.num_vgpr, 33
	.set _ZN9rocsparseL41csrgemm_numeric_fill_block_per_row_kernelILj256ELj32ELj512ELj137ELj64Eli21rocsparse_complex_numIdEEEvT5_PKS3_S5_NS_24const_host_device_scalarIT6_EEPKT4_S5_PKS7_SB_S5_SD_S8_SB_S5_SD_SB_S5_PS7_21rocsparse_index_base_SF_SF_SF_bbb.num_agpr, 0
	.set _ZN9rocsparseL41csrgemm_numeric_fill_block_per_row_kernelILj256ELj32ELj512ELj137ELj64Eli21rocsparse_complex_numIdEEEvT5_PKS3_S5_NS_24const_host_device_scalarIT6_EEPKT4_S5_PKS7_SB_S5_SD_S8_SB_S5_SD_SB_S5_PS7_21rocsparse_index_base_SF_SF_SF_bbb.numbered_sgpr, 42
	.set _ZN9rocsparseL41csrgemm_numeric_fill_block_per_row_kernelILj256ELj32ELj512ELj137ELj64Eli21rocsparse_complex_numIdEEEvT5_PKS3_S5_NS_24const_host_device_scalarIT6_EEPKT4_S5_PKS7_SB_S5_SD_S8_SB_S5_SD_SB_S5_PS7_21rocsparse_index_base_SF_SF_SF_bbb.num_named_barrier, 0
	.set _ZN9rocsparseL41csrgemm_numeric_fill_block_per_row_kernelILj256ELj32ELj512ELj137ELj64Eli21rocsparse_complex_numIdEEEvT5_PKS3_S5_NS_24const_host_device_scalarIT6_EEPKT4_S5_PKS7_SB_S5_SD_S8_SB_S5_SD_SB_S5_PS7_21rocsparse_index_base_SF_SF_SF_bbb.private_seg_size, 40
	.set _ZN9rocsparseL41csrgemm_numeric_fill_block_per_row_kernelILj256ELj32ELj512ELj137ELj64Eli21rocsparse_complex_numIdEEEvT5_PKS3_S5_NS_24const_host_device_scalarIT6_EEPKT4_S5_PKS7_SB_S5_SD_S8_SB_S5_SD_SB_S5_PS7_21rocsparse_index_base_SF_SF_SF_bbb.uses_vcc, 1
	.set _ZN9rocsparseL41csrgemm_numeric_fill_block_per_row_kernelILj256ELj32ELj512ELj137ELj64Eli21rocsparse_complex_numIdEEEvT5_PKS3_S5_NS_24const_host_device_scalarIT6_EEPKT4_S5_PKS7_SB_S5_SD_S8_SB_S5_SD_SB_S5_PS7_21rocsparse_index_base_SF_SF_SF_bbb.uses_flat_scratch, 1
	.set _ZN9rocsparseL41csrgemm_numeric_fill_block_per_row_kernelILj256ELj32ELj512ELj137ELj64Eli21rocsparse_complex_numIdEEEvT5_PKS3_S5_NS_24const_host_device_scalarIT6_EEPKT4_S5_PKS7_SB_S5_SD_S8_SB_S5_SD_SB_S5_PS7_21rocsparse_index_base_SF_SF_SF_bbb.has_dyn_sized_stack, 0
	.set _ZN9rocsparseL41csrgemm_numeric_fill_block_per_row_kernelILj256ELj32ELj512ELj137ELj64Eli21rocsparse_complex_numIdEEEvT5_PKS3_S5_NS_24const_host_device_scalarIT6_EEPKT4_S5_PKS7_SB_S5_SD_S8_SB_S5_SD_SB_S5_PS7_21rocsparse_index_base_SF_SF_SF_bbb.has_recursion, 0
	.set _ZN9rocsparseL41csrgemm_numeric_fill_block_per_row_kernelILj256ELj32ELj512ELj137ELj64Eli21rocsparse_complex_numIdEEEvT5_PKS3_S5_NS_24const_host_device_scalarIT6_EEPKT4_S5_PKS7_SB_S5_SD_S8_SB_S5_SD_SB_S5_PS7_21rocsparse_index_base_SF_SF_SF_bbb.has_indirect_call, 0
	.section	.AMDGPU.csdata,"",@progbits
; Kernel info:
; codeLenInByte = 2956
; TotalNumSgprs: 44
; NumVgprs: 33
; ScratchSize: 40
; MemoryBound: 0
; FloatMode: 240
; IeeeMode: 1
; LDSByteSize: 0 bytes/workgroup (compile time only)
; SGPRBlocks: 0
; VGPRBlocks: 2
; NumSGPRsForWavesPerEU: 44
; NumVGPRsForWavesPerEU: 33
; NamedBarCnt: 0
; Occupancy: 16
; WaveLimiterHint : 1
; COMPUTE_PGM_RSRC2:SCRATCH_EN: 1
; COMPUTE_PGM_RSRC2:USER_SGPR: 2
; COMPUTE_PGM_RSRC2:TRAP_HANDLER: 0
; COMPUTE_PGM_RSRC2:TGID_X_EN: 1
; COMPUTE_PGM_RSRC2:TGID_Y_EN: 0
; COMPUTE_PGM_RSRC2:TGID_Z_EN: 0
; COMPUTE_PGM_RSRC2:TIDIG_COMP_CNT: 0
	.section	.text._ZN9rocsparseL41csrgemm_numeric_fill_block_per_row_kernelILj512ELj32ELj1024ELj137ELj32Eli21rocsparse_complex_numIdEEEvT5_PKS3_S5_NS_24const_host_device_scalarIT6_EEPKT4_S5_PKS7_SB_S5_SD_S8_SB_S5_SD_SB_S5_PS7_21rocsparse_index_base_SF_SF_SF_bbb,"axG",@progbits,_ZN9rocsparseL41csrgemm_numeric_fill_block_per_row_kernelILj512ELj32ELj1024ELj137ELj32Eli21rocsparse_complex_numIdEEEvT5_PKS3_S5_NS_24const_host_device_scalarIT6_EEPKT4_S5_PKS7_SB_S5_SD_S8_SB_S5_SD_SB_S5_PS7_21rocsparse_index_base_SF_SF_SF_bbb,comdat
	.globl	_ZN9rocsparseL41csrgemm_numeric_fill_block_per_row_kernelILj512ELj32ELj1024ELj137ELj32Eli21rocsparse_complex_numIdEEEvT5_PKS3_S5_NS_24const_host_device_scalarIT6_EEPKT4_S5_PKS7_SB_S5_SD_S8_SB_S5_SD_SB_S5_PS7_21rocsparse_index_base_SF_SF_SF_bbb ; -- Begin function _ZN9rocsparseL41csrgemm_numeric_fill_block_per_row_kernelILj512ELj32ELj1024ELj137ELj32Eli21rocsparse_complex_numIdEEEvT5_PKS3_S5_NS_24const_host_device_scalarIT6_EEPKT4_S5_PKS7_SB_S5_SD_S8_SB_S5_SD_SB_S5_PS7_21rocsparse_index_base_SF_SF_SF_bbb
	.p2align	8
	.type	_ZN9rocsparseL41csrgemm_numeric_fill_block_per_row_kernelILj512ELj32ELj1024ELj137ELj32Eli21rocsparse_complex_numIdEEEvT5_PKS3_S5_NS_24const_host_device_scalarIT6_EEPKT4_S5_PKS7_SB_S5_SD_S8_SB_S5_SD_SB_S5_PS7_21rocsparse_index_base_SF_SF_SF_bbb,@function
_ZN9rocsparseL41csrgemm_numeric_fill_block_per_row_kernelILj512ELj32ELj1024ELj137ELj32Eli21rocsparse_complex_numIdEEEvT5_PKS3_S5_NS_24const_host_device_scalarIT6_EEPKT4_S5_PKS7_SB_S5_SD_S8_SB_S5_SD_SB_S5_PS7_21rocsparse_index_base_SF_SF_SF_bbb: ; @_ZN9rocsparseL41csrgemm_numeric_fill_block_per_row_kernelILj512ELj32ELj1024ELj137ELj32Eli21rocsparse_complex_numIdEEEvT5_PKS3_S5_NS_24const_host_device_scalarIT6_EEPKT4_S5_PKS7_SB_S5_SD_S8_SB_S5_SD_SB_S5_PS7_21rocsparse_index_base_SF_SF_SF_bbb
; %bb.0:
	s_clause 0x3
	s_load_b32 s12, s[0:1], 0xa8
	s_load_b128 s[8:11], s[0:1], 0x18
	s_load_b128 s[4:7], s[0:1], 0x58
	;; [unrolled: 1-line block ×3, first 2 shown]
	v_mov_b64_e32 v[6:7], 0
	v_mov_b64_e32 v[12:13], 0
	;; [unrolled: 1-line block ×3, first 2 shown]
	v_mbcnt_lo_u32_b32 v31, -1, 0
	s_wait_kmcnt 0x0
	s_bitcmp1_b32 s12, 0
	v_mov_b64_e32 v[2:3], s[8:9]
	s_cselect_b32 s3, -1, 0
	s_bitcmp1_b32 s12, 16
	v_mov_b64_e32 v[4:5], s[4:5]
	s_cselect_b32 s2, -1, 0
	s_clause 0x1
	scratch_store_b64 off, v[2:3], off offset:16
	scratch_store_b64 off, v[4:5], off offset:24
	s_xor_b32 s13, s2, -1
	s_bitcmp0_b32 s12, 0
	v_cndmask_b32_e64 v1, 0, 1, s13
	s_delay_alu instid0(VALU_DEP_1)
	v_cmp_ne_u32_e32 vcc_lo, 1, v1
	s_cbranch_scc1 .LBB226_3
; %bb.1:
	s_wait_xcnt 0x1
	v_dual_mov_b32 v2, 16 :: v_dual_lshlrev_b32 v3, 20, v31
	v_mov_b64_e32 v[14:15], s[10:11]
	s_and_b32 vcc_lo, exec_lo, vcc_lo
	s_delay_alu instid0(VALU_DEP_2) | instskip(NEXT) | instid1(VALU_DEP_1)
	v_add_nc_u64_e32 v[2:3], src_flat_scratch_base_lo, v[2:3]
	v_cndmask_b32_e64 v3, s9, v3, s2
	s_delay_alu instid0(VALU_DEP_2)
	v_cndmask_b32_e64 v2, s8, v2, s2
	flat_load_b64 v[12:13], v[2:3]
	s_cbranch_vccnz .LBB226_3
; %bb.2:
	v_mov_b32_e32 v1, 0
	flat_load_b64 v[14:15], v1, s[8:9] offset:8
.LBB226_3:
	s_load_b128 s[28:31], s[0:1], 0x8
	v_mov_b64_e32 v[8:9], 0
	s_bitcmp1_b32 s12, 8
	s_cselect_b32 s36, -1, 0
	s_bfe_u32 s8, s12, 0x10008
	s_delay_alu instid0(SALU_CYCLE_1)
	s_cmp_eq_u32 s8, 0
	s_cbranch_scc1 .LBB226_6
; %bb.4:
	v_dual_mov_b32 v2, 24 :: v_dual_lshlrev_b32 v3, 20, v31
	v_mov_b64_e32 v[6:7], s[6:7]
	s_and_not1_b32 vcc_lo, exec_lo, s13
	s_delay_alu instid0(VALU_DEP_2) | instskip(NEXT) | instid1(VALU_DEP_1)
	v_add_nc_u64_e32 v[2:3], src_flat_scratch_base_lo, v[2:3]
	v_cndmask_b32_e64 v3, s5, v3, s2
	s_delay_alu instid0(VALU_DEP_2)
	v_cndmask_b32_e64 v2, s4, v2, s2
	flat_load_b64 v[8:9], v[2:3]
	s_cbranch_vccnz .LBB226_6
; %bb.5:
	v_mov_b32_e32 v1, 0
	flat_load_b64 v[6:7], v1, s[4:5] offset:8
.LBB226_6:
	s_clause 0x4
	s_load_b32 s33, s[0:1], 0x0
	s_load_b64 s[34:35], s[0:1], 0x90
	s_load_b256 s[12:19], s[0:1], 0x68
	s_load_b128 s[24:27], s[0:1], 0x48
	s_load_b256 s[4:11], s[0:1], 0x28
	v_or_b32_e32 v28, 0xfffffe00, v0
	v_lshlrev_b32_e32 v1, 4, v0
	s_wait_xcnt 0x0
	s_mov_b32 s0, 0
	v_lshl_add_u32 v29, v0, 2, 0
	s_mov_b32 s1, s0
	v_mov_b32_e32 v10, v28
	v_add3_u32 v30, v1, 0, 0x1000
	s_mov_b32 s38, s0
	s_mov_b32 s39, s0
	v_mov_b64_e32 v[2:3], s[0:1]
	v_mov_b64_e32 v[4:5], s[38:39]
	v_dual_mov_b32 v1, v29 :: v_dual_mov_b32 v16, v30
	s_wait_kmcnt 0x0
	v_mov_b32_e32 v11, s33
.LBB226_7:                              ; =>This Inner Loop Header: Depth=1
	v_add_co_u32 v10, s1, 0x200, v10
	s_xor_b32 s1, s1, -1
	ds_store_b32 v1, v11
	ds_store_2addr_b64 v16, v[2:3], v[4:5] offset1:1
	v_add_nc_u32_e32 v16, 0x2000, v16
	v_add_nc_u32_e32 v1, 0x800, v1
	s_and_b32 s1, exec_lo, s1
	s_delay_alu instid0(SALU_CYCLE_1) | instskip(NEXT) | instid1(SALU_CYCLE_1)
	s_or_b32 s0, s1, s0
	s_and_not1_b32 exec_lo, exec_lo, s0
	s_cbranch_execnz .LBB226_7
; %bb.8:
	s_or_b32 exec_lo, exec_lo, s0
	s_wait_storecnt 0x0
	s_wait_loadcnt_dscnt 0x0
	s_barrier_signal -1
	s_barrier_wait -1
	s_load_b32 s0, s[28:29], 0x0
	s_bfe_u32 s1, ttmp6, 0x4000c
	s_and_b32 s2, ttmp6, 15
	s_add_co_i32 s1, s1, 1
	s_wait_xcnt 0x0
	s_getreg_b32 s28, hwreg(HW_REG_IB_STS2, 6, 4)
	s_mul_i32 s1, ttmp9, s1
	v_lshrrev_b32_e32 v10, 5, v0
	s_add_co_i32 s2, s2, s1
	s_cmp_eq_u32 s28, 0
	s_cselect_b32 s1, ttmp9, s2
	s_and_b32 vcc_lo, exec_lo, s3
	s_wait_kmcnt 0x0
	s_add_co_i32 s0, s0, s1
	s_mov_b32 s1, 0
	s_load_b32 s28, s[30:31], s0 offset:0x0 scale_offset
	s_cbranch_vccz .LBB226_26
; %bb.9:
	s_wait_kmcnt 0x0
	s_ashr_i32 s29, s28, 31
	v_mov_b32_e32 v11, 0
	s_lshl_b64 s[2:3], s[28:29], 3
	s_mov_b32 s0, s20
	s_add_nc_u64 s[2:3], s[4:5], s[2:3]
	s_mov_b32 s4, exec_lo
	s_load_b128 s[40:43], s[2:3], 0x0
	v_sub_nc_u64_e64 v[2:3], v[10:11], s[0:1]
	s_wait_kmcnt 0x0
	s_delay_alu instid0(VALU_DEP_1)
	v_add_nc_u64_e32 v[16:17], s[40:41], v[2:3]
	s_sub_nc_u64 s[0:1], s[42:43], s[0:1]
	s_delay_alu instid0(VALU_DEP_1) | instid1(SALU_CYCLE_1)
	v_cmpx_gt_i64_e64 s[0:1], v[16:17]
	s_cbranch_execz .LBB226_25
; %bb.10:
	v_dual_mov_b32 v3, v11 :: v_dual_bitop2_b32 v2, 31, v0 bitop3:0x40
	s_mov_b32 s3, 0
	s_mov_b32 s2, s21
	s_mov_b32 s5, s3
	s_delay_alu instid0(VALU_DEP_1)
	v_sub_nc_u64_e64 v[18:19], v[2:3], s[2:3]
	s_branch .LBB226_12
.LBB226_11:                             ;   in Loop: Header=BB226_12 Depth=1
	s_or_b32 exec_lo, exec_lo, s29
	v_add_nc_u64_e32 v[16:17], 16, v[16:17]
	s_delay_alu instid0(VALU_DEP_1) | instskip(SKIP_1) | instid1(SALU_CYCLE_1)
	v_cmp_le_i64_e32 vcc_lo, s[0:1], v[16:17]
	s_or_b32 s5, vcc_lo, s5
	s_and_not1_b32 exec_lo, exec_lo, s5
	s_cbranch_execz .LBB226_25
.LBB226_12:                             ; =>This Loop Header: Depth=1
                                        ;     Child Loop BB226_16 Depth 2
                                        ;       Child Loop BB226_19 Depth 3
	v_lshl_add_u64 v[2:3], v[16:17], 2, s[6:7]
	s_mov_b32 s29, exec_lo
	global_load_b32 v1, v[2:3], off
	s_wait_loadcnt 0x0
	s_wait_xcnt 0x0
	v_subrev_nc_u32_e32 v2, s20, v1
	s_delay_alu instid0(VALU_DEP_1) | instskip(NEXT) | instid1(VALU_DEP_1)
	v_ashrrev_i32_e32 v3, 31, v2
	v_lshl_add_u64 v[2:3], v[2:3], 3, s[10:11]
	global_load_b128 v[2:5], v[2:3], off
	s_wait_loadcnt 0x0
	v_sub_nc_u64_e64 v[20:21], v[4:5], s[2:3]
	v_add_nc_u64_e32 v[22:23], v[2:3], v[18:19]
	s_wait_xcnt 0x0
	s_delay_alu instid0(VALU_DEP_1)
	v_cmpx_lt_i64_e64 v[22:23], v[20:21]
	s_cbranch_execz .LBB226_11
; %bb.13:                               ;   in Loop: Header=BB226_12 Depth=1
	v_lshl_add_u64 v[2:3], v[16:17], 4, s[8:9]
	s_mov_b32 s30, 0
	global_load_b128 v[2:5], v[2:3], off
	s_wait_loadcnt 0x0
	v_mul_f64_e64 v[24:25], v[4:5], -v[14:15]
	v_mul_f64_e32 v[26:27], v[12:13], v[4:5]
	s_delay_alu instid0(VALU_DEP_2) | instskip(NEXT) | instid1(VALU_DEP_2)
	v_fmac_f64_e32 v[24:25], v[12:13], v[2:3]
	v_fmac_f64_e32 v[26:27], v[14:15], v[2:3]
	s_branch .LBB226_16
.LBB226_14:                             ;   in Loop: Header=BB226_16 Depth=2
	s_or_b32 exec_lo, exec_lo, s37
.LBB226_15:                             ;   in Loop: Header=BB226_16 Depth=2
	s_delay_alu instid0(SALU_CYCLE_1)
	s_or_b32 exec_lo, exec_lo, s31
	s_wait_loadcnt 0x0
	v_mul_f64_e64 v[32:33], v[4:5], -v[26:27]
	v_mul_f64_e32 v[4:5], v[24:25], v[4:5]
	v_lshl_add_u32 v1, v1, 4, 0
	v_add_nc_u64_e32 v[22:23], 32, v[22:23]
	s_delay_alu instid0(VALU_DEP_1)
	v_cmp_ge_i64_e32 vcc_lo, v[22:23], v[20:21]
	s_or_b32 s30, vcc_lo, s30
	v_fmac_f64_e32 v[32:33], v[24:25], v[2:3]
	v_fmac_f64_e32 v[4:5], v[26:27], v[2:3]
	ds_add_f64 v1, v[32:33] offset:4096
	ds_add_f64 v1, v[4:5] offset:4104
	s_and_not1_b32 exec_lo, exec_lo, s30
	s_cbranch_execz .LBB226_11
.LBB226_16:                             ;   Parent Loop BB226_12 Depth=1
                                        ; =>  This Loop Header: Depth=2
                                        ;       Child Loop BB226_19 Depth 3
	s_wait_xcnt 0x0
	v_lshl_add_u64 v[2:3], v[22:23], 2, s[24:25]
	s_mov_b32 s31, exec_lo
	global_load_b32 v1, v[2:3], off
	s_wait_xcnt 0x0
	v_lshl_add_u64 v[2:3], v[22:23], 4, s[26:27]
	global_load_b128 v[2:5], v[2:3], off
	s_wait_loadcnt 0x1
	v_subrev_nc_u32_e32 v11, s21, v1
	s_delay_alu instid0(VALU_DEP_1) | instskip(NEXT) | instid1(VALU_DEP_1)
	v_mul_lo_u32 v1, 0x89, v11
	v_and_b32_e32 v1, 0x3ff, v1
	s_delay_alu instid0(VALU_DEP_1)
	v_lshl_add_u32 v32, v1, 2, 0
	ds_load_b32 v33, v32
	s_wait_dscnt 0x0
	s_wait_xcnt 0x0
	v_cmpx_ne_u32_e64 v33, v11
	s_cbranch_execz .LBB226_15
; %bb.17:                               ;   in Loop: Header=BB226_16 Depth=2
	s_mov_b32 s37, 0
	s_branch .LBB226_19
.LBB226_18:                             ;   in Loop: Header=BB226_19 Depth=3
	s_or_b32 exec_lo, exec_lo, s40
	s_delay_alu instid0(SALU_CYCLE_1) | instskip(NEXT) | instid1(SALU_CYCLE_1)
	s_and_b32 s38, exec_lo, s39
	s_or_b32 s37, s38, s37
	s_delay_alu instid0(SALU_CYCLE_1)
	s_and_not1_b32 exec_lo, exec_lo, s37
	s_cbranch_execz .LBB226_14
.LBB226_19:                             ;   Parent Loop BB226_12 Depth=1
                                        ;     Parent Loop BB226_16 Depth=2
                                        ; =>    This Inner Loop Header: Depth=3
	s_mov_b32 s38, 0
	s_mov_b32 s39, exec_lo
	v_cmpx_ne_u32_e64 s33, v33
	s_xor_b32 s39, exec_lo, s39
	s_cbranch_execz .LBB226_21
; %bb.20:                               ;   in Loop: Header=BB226_19 Depth=3
	v_add_nc_u32_e32 v1, 1, v1
	s_mov_b32 s38, exec_lo
                                        ; implicit-def: $vgpr32
	s_delay_alu instid0(VALU_DEP_1)
	v_and_b32_e32 v1, 0x3ff, v1
	s_and_not1_saveexec_b32 s39, s39
	s_cbranch_execz .LBB226_23
	s_branch .LBB226_22
.LBB226_21:                             ;   in Loop: Header=BB226_19 Depth=3
	s_and_not1_saveexec_b32 s39, s39
	s_cbranch_execz .LBB226_23
.LBB226_22:                             ;   in Loop: Header=BB226_19 Depth=3
	v_mov_b32_e32 v33, s33
	s_and_not1_b32 s38, s38, exec_lo
	ds_cmpstore_rtn_b32 v32, v32, v11, v33
	s_wait_dscnt 0x0
	v_cmp_ne_u32_e32 vcc_lo, s33, v32
	s_and_b32 s40, vcc_lo, exec_lo
	s_delay_alu instid0(SALU_CYCLE_1)
	s_or_b32 s38, s38, s40
.LBB226_23:                             ;   in Loop: Header=BB226_19 Depth=3
	s_or_b32 exec_lo, exec_lo, s39
	s_mov_b32 s39, -1
                                        ; implicit-def: $vgpr32
                                        ; implicit-def: $vgpr33
	s_and_saveexec_b32 s40, s38
	s_cbranch_execz .LBB226_18
; %bb.24:                               ;   in Loop: Header=BB226_19 Depth=3
	v_lshl_add_u32 v32, v1, 2, 0
	ds_load_b32 v33, v32
	s_wait_dscnt 0x0
	v_cmp_eq_u32_e32 vcc_lo, v33, v11
	s_or_not1_b32 s39, vcc_lo, exec_lo
	s_branch .LBB226_18
.LBB226_25:
	s_or_b32 exec_lo, exec_lo, s4
.LBB226_26:
	s_delay_alu instid0(SALU_CYCLE_1)
	s_and_not1_b32 vcc_lo, exec_lo, s36
	s_cbranch_vccnz .LBB226_29
; %bb.27:
	s_wait_kmcnt 0x0
	s_ashr_i32 s29, s28, 31
	v_mov_b32_e32 v1, 0
	s_lshl_b64 s[0:1], s[28:29], 3
	s_delay_alu instid0(SALU_CYCLE_1) | instskip(SKIP_4) | instid1(SALU_CYCLE_1)
	s_add_nc_u64 s[0:1], s[12:13], s[0:1]
	s_load_b128 s[4:7], s[0:1], 0x0
	s_wait_xcnt 0x0
	s_mov_b32 s1, 0
	s_mov_b32 s0, s23
	v_sub_nc_u64_e64 v[2:3], v[0:1], s[0:1]
	s_wait_kmcnt 0x0
	s_delay_alu instid0(VALU_DEP_1) | instskip(SKIP_2) | instid1(VALU_DEP_1)
	v_add_nc_u64_e32 v[12:13], s[4:5], v[2:3]
	s_sub_nc_u64 s[2:3], s[6:7], s[0:1]
	s_mov_b32 s0, exec_lo
	v_cmpx_gt_i64_e64 s[2:3], v[12:13]
	s_cbranch_execnz .LBB226_67
.LBB226_28:
	s_or_b32 exec_lo, exec_lo, s0
.LBB226_29:
	v_dual_mov_b32 v1, 0 :: v_dual_bitop2_b32 v2, 31, v31 bitop3:0x14
	v_lshl_add_u32 v3, v10, 2, 0
	s_wait_xcnt 0x0
	v_cmp_lt_u32_e64 s0, 31, v0
	v_cmp_lt_u32_e64 s1, 63, v0
	v_lshrrev_b32_e64 v2, v2, -1
	v_cmp_lt_u32_e64 s2, 0x5f, v0
	v_cmp_lt_u32_e64 s3, 0x7f, v0
	;; [unrolled: 1-line block ×13, first 2 shown]
	v_mov_b32_e32 v4, 0
	s_mov_b32 s16, 0
	s_wait_dscnt 0x0
	v_cmp_eq_u32_e32 vcc_lo, 0x1ff, v0
	s_barrier_signal -1
	s_barrier_wait -1
	s_branch .LBB226_31
.LBB226_30:                             ;   in Loop: Header=BB226_31 Depth=1
	s_or_b32 exec_lo, exec_lo, s15
	s_wait_dscnt 0x0
	s_barrier_signal -1
	s_barrier_wait -1
	ds_load_b32 v5, v1 offset:20540
	v_add_co_u32 v28, s15, 0x200, v28
	s_xor_b32 s15, s15, -1
	v_add_nc_u32_e32 v30, 0x2000, v30
	v_add_nc_u32_e32 v29, 0x800, v29
	s_and_b32 s15, exec_lo, s15
	s_delay_alu instid0(SALU_CYCLE_1)
	s_or_b32 s16, s15, s16
	s_wait_dscnt 0x0
	v_add_nc_u32_e32 v4, v5, v4
	s_and_not1_b32 exec_lo, exec_lo, s16
	s_cbranch_execz .LBB226_76
.LBB226_31:                             ; =>This Inner Loop Header: Depth=1
	ds_load_b32 v5, v29
	ds_load_2addr_b64 v[6:9], v30 offset1:1
	s_wait_dscnt 0x1
	v_cmp_gt_i32_e64 s15, s33, v5
	s_wait_dscnt 0x0
	scratch_store_b128 off, v[6:9], off
	s_wait_storecnt 0x0
	s_barrier_signal -1
	s_barrier_wait -1
	s_bcnt1_i32_b32 s17, s15
	s_wait_xcnt 0x0
	v_dual_mov_b32 v7, s17 :: v_dual_bitop2_b32 v6, s15, v2 bitop3:0x40
	s_delay_alu instid0(VALU_DEP_1)
	v_bcnt_u32_b32 v6, v6, 0
	ds_store_b32 v3, v7 offset:20480
	s_wait_dscnt 0x0
	s_barrier_signal -1
	s_barrier_wait -1
	s_and_saveexec_b32 s17, s0
	s_cbranch_execz .LBB226_48
; %bb.32:                               ;   in Loop: Header=BB226_31 Depth=1
	ds_load_b32 v7, v1 offset:20480
	s_wait_dscnt 0x0
	v_add_nc_u32_e32 v6, v7, v6
	s_or_b32 exec_lo, exec_lo, s17
	s_and_saveexec_b32 s17, s1
	s_cbranch_execnz .LBB226_49
.LBB226_33:                             ;   in Loop: Header=BB226_31 Depth=1
	s_or_b32 exec_lo, exec_lo, s17
	s_and_saveexec_b32 s17, s2
	s_cbranch_execz .LBB226_50
.LBB226_34:                             ;   in Loop: Header=BB226_31 Depth=1
	ds_load_b32 v7, v1 offset:20488
	s_wait_dscnt 0x0
	v_add_nc_u32_e32 v6, v7, v6
	s_or_b32 exec_lo, exec_lo, s17
	s_and_saveexec_b32 s17, s3
	s_cbranch_execnz .LBB226_51
.LBB226_35:                             ;   in Loop: Header=BB226_31 Depth=1
	s_or_b32 exec_lo, exec_lo, s17
	s_and_saveexec_b32 s17, s4
	s_cbranch_execz .LBB226_52
.LBB226_36:                             ;   in Loop: Header=BB226_31 Depth=1
	ds_load_b32 v7, v1 offset:20496
	s_wait_dscnt 0x0
	v_add_nc_u32_e32 v6, v7, v6
	s_or_b32 exec_lo, exec_lo, s17
	s_and_saveexec_b32 s17, s5
	s_cbranch_execnz .LBB226_53
.LBB226_37:                             ;   in Loop: Header=BB226_31 Depth=1
	s_or_b32 exec_lo, exec_lo, s17
	s_and_saveexec_b32 s17, s6
	s_cbranch_execz .LBB226_54
.LBB226_38:                             ;   in Loop: Header=BB226_31 Depth=1
	ds_load_b32 v7, v1 offset:20504
	s_wait_dscnt 0x0
	v_add_nc_u32_e32 v6, v7, v6
	s_or_b32 exec_lo, exec_lo, s17
	s_and_saveexec_b32 s17, s7
	s_cbranch_execnz .LBB226_55
.LBB226_39:                             ;   in Loop: Header=BB226_31 Depth=1
	s_or_b32 exec_lo, exec_lo, s17
	s_and_saveexec_b32 s17, s8
	s_cbranch_execz .LBB226_56
.LBB226_40:                             ;   in Loop: Header=BB226_31 Depth=1
	ds_load_b32 v7, v1 offset:20512
	s_wait_dscnt 0x0
	v_add_nc_u32_e32 v6, v7, v6
	s_or_b32 exec_lo, exec_lo, s17
	s_and_saveexec_b32 s17, s9
	s_cbranch_execnz .LBB226_57
.LBB226_41:                             ;   in Loop: Header=BB226_31 Depth=1
	s_or_b32 exec_lo, exec_lo, s17
	s_and_saveexec_b32 s17, s10
	s_cbranch_execz .LBB226_58
.LBB226_42:                             ;   in Loop: Header=BB226_31 Depth=1
	ds_load_b32 v7, v1 offset:20520
	s_wait_dscnt 0x0
	v_add_nc_u32_e32 v6, v7, v6
	s_or_b32 exec_lo, exec_lo, s17
	s_and_saveexec_b32 s17, s11
	s_cbranch_execnz .LBB226_59
.LBB226_43:                             ;   in Loop: Header=BB226_31 Depth=1
	s_or_b32 exec_lo, exec_lo, s17
	s_and_saveexec_b32 s17, s12
	s_cbranch_execz .LBB226_60
.LBB226_44:                             ;   in Loop: Header=BB226_31 Depth=1
	ds_load_b32 v7, v1 offset:20528
	s_wait_dscnt 0x0
	v_add_nc_u32_e32 v6, v7, v6
	s_or_b32 exec_lo, exec_lo, s17
	s_and_saveexec_b32 s17, s13
	s_cbranch_execnz .LBB226_61
.LBB226_45:                             ;   in Loop: Header=BB226_31 Depth=1
	s_or_b32 exec_lo, exec_lo, s17
	s_and_saveexec_b32 s17, s14
	s_cbranch_execz .LBB226_62
.LBB226_46:                             ;   in Loop: Header=BB226_31 Depth=1
	ds_load_b32 v7, v1 offset:20536
	s_wait_dscnt 0x0
	v_add_nc_u32_e32 v6, v7, v6
	s_or_b32 exec_lo, exec_lo, s17
	s_and_saveexec_b32 s17, s15
	s_cbranch_execnz .LBB226_63
.LBB226_47:                             ;   in Loop: Header=BB226_31 Depth=1
	s_or_b32 exec_lo, exec_lo, s17
	s_and_saveexec_b32 s15, vcc_lo
	s_cbranch_execz .LBB226_30
	s_branch .LBB226_64
.LBB226_48:                             ;   in Loop: Header=BB226_31 Depth=1
	s_or_b32 exec_lo, exec_lo, s17
	s_and_saveexec_b32 s17, s1
	s_cbranch_execz .LBB226_33
.LBB226_49:                             ;   in Loop: Header=BB226_31 Depth=1
	ds_load_b32 v7, v1 offset:20484
	s_wait_dscnt 0x0
	v_add_nc_u32_e32 v6, v7, v6
	s_or_b32 exec_lo, exec_lo, s17
	s_and_saveexec_b32 s17, s2
	s_cbranch_execnz .LBB226_34
.LBB226_50:                             ;   in Loop: Header=BB226_31 Depth=1
	s_or_b32 exec_lo, exec_lo, s17
	s_and_saveexec_b32 s17, s3
	s_cbranch_execz .LBB226_35
.LBB226_51:                             ;   in Loop: Header=BB226_31 Depth=1
	ds_load_b32 v7, v1 offset:20492
	s_wait_dscnt 0x0
	v_add_nc_u32_e32 v6, v7, v6
	s_or_b32 exec_lo, exec_lo, s17
	s_and_saveexec_b32 s17, s4
	s_cbranch_execnz .LBB226_36
.LBB226_52:                             ;   in Loop: Header=BB226_31 Depth=1
	s_or_b32 exec_lo, exec_lo, s17
	s_and_saveexec_b32 s17, s5
	s_cbranch_execz .LBB226_37
.LBB226_53:                             ;   in Loop: Header=BB226_31 Depth=1
	ds_load_b32 v7, v1 offset:20500
	s_wait_dscnt 0x0
	v_add_nc_u32_e32 v6, v7, v6
	s_or_b32 exec_lo, exec_lo, s17
	s_and_saveexec_b32 s17, s6
	s_cbranch_execnz .LBB226_38
.LBB226_54:                             ;   in Loop: Header=BB226_31 Depth=1
	s_or_b32 exec_lo, exec_lo, s17
	s_and_saveexec_b32 s17, s7
	s_cbranch_execz .LBB226_39
.LBB226_55:                             ;   in Loop: Header=BB226_31 Depth=1
	ds_load_b32 v7, v1 offset:20508
	s_wait_dscnt 0x0
	v_add_nc_u32_e32 v6, v7, v6
	s_or_b32 exec_lo, exec_lo, s17
	s_and_saveexec_b32 s17, s8
	s_cbranch_execnz .LBB226_40
.LBB226_56:                             ;   in Loop: Header=BB226_31 Depth=1
	s_or_b32 exec_lo, exec_lo, s17
	s_and_saveexec_b32 s17, s9
	s_cbranch_execz .LBB226_41
.LBB226_57:                             ;   in Loop: Header=BB226_31 Depth=1
	ds_load_b32 v7, v1 offset:20516
	s_wait_dscnt 0x0
	v_add_nc_u32_e32 v6, v7, v6
	s_or_b32 exec_lo, exec_lo, s17
	s_and_saveexec_b32 s17, s10
	s_cbranch_execnz .LBB226_42
.LBB226_58:                             ;   in Loop: Header=BB226_31 Depth=1
	s_or_b32 exec_lo, exec_lo, s17
	s_and_saveexec_b32 s17, s11
	s_cbranch_execz .LBB226_43
.LBB226_59:                             ;   in Loop: Header=BB226_31 Depth=1
	ds_load_b32 v7, v1 offset:20524
	s_wait_dscnt 0x0
	v_add_nc_u32_e32 v6, v7, v6
	s_or_b32 exec_lo, exec_lo, s17
	s_and_saveexec_b32 s17, s12
	s_cbranch_execnz .LBB226_44
.LBB226_60:                             ;   in Loop: Header=BB226_31 Depth=1
	s_or_b32 exec_lo, exec_lo, s17
	s_and_saveexec_b32 s17, s13
	s_cbranch_execz .LBB226_45
.LBB226_61:                             ;   in Loop: Header=BB226_31 Depth=1
	ds_load_b32 v7, v1 offset:20532
	s_wait_dscnt 0x0
	v_add_nc_u32_e32 v6, v7, v6
	s_or_b32 exec_lo, exec_lo, s17
	s_and_saveexec_b32 s17, s14
	s_cbranch_execnz .LBB226_46
.LBB226_62:                             ;   in Loop: Header=BB226_31 Depth=1
	s_or_b32 exec_lo, exec_lo, s17
	s_and_saveexec_b32 s17, s15
	s_cbranch_execz .LBB226_47
.LBB226_63:                             ;   in Loop: Header=BB226_31 Depth=1
	scratch_load_b128 v[8:11], off, off
	v_add3_u32 v7, v4, -1, v6
	v_add_lshl_u32 v12, v4, v6, 4
	s_delay_alu instid0(VALU_DEP_2) | instskip(NEXT) | instid1(VALU_DEP_2)
	v_lshl_add_u32 v7, v7, 2, 0
	v_add3_u32 v12, 0, v12, 0xff0
	ds_store_b32 v7, v5
	s_wait_loadcnt 0x0
	ds_store_2addr_b64 v12, v[8:9], v[10:11] offset1:1
	s_or_b32 exec_lo, exec_lo, s17
	s_and_saveexec_b32 s15, vcc_lo
	s_cbranch_execz .LBB226_30
.LBB226_64:                             ;   in Loop: Header=BB226_31 Depth=1
	ds_store_b32 v1, v6 offset:20540
	s_branch .LBB226_30
.LBB226_65:                             ;   in Loop: Header=BB226_67 Depth=1
	s_or_b32 exec_lo, exec_lo, s5
.LBB226_66:                             ;   in Loop: Header=BB226_67 Depth=1
	s_delay_alu instid0(SALU_CYCLE_1)
	s_or_b32 exec_lo, exec_lo, s4
	s_wait_loadcnt 0x0
	v_mul_f64_e64 v[14:15], v[4:5], -v[6:7]
	v_mul_f64_e32 v[4:5], v[8:9], v[4:5]
	v_lshl_add_u32 v1, v1, 4, 0
	v_add_nc_u64_e32 v[12:13], 0x200, v[12:13]
	s_delay_alu instid0(VALU_DEP_1)
	v_cmp_le_i64_e32 vcc_lo, s[2:3], v[12:13]
	s_or_b32 s1, vcc_lo, s1
	v_fmac_f64_e32 v[14:15], v[8:9], v[2:3]
	v_fmac_f64_e32 v[4:5], v[6:7], v[2:3]
	ds_add_f64 v1, v[14:15] offset:4096
	ds_add_f64 v1, v[4:5] offset:4104
	s_and_not1_b32 exec_lo, exec_lo, s1
	s_cbranch_execz .LBB226_28
.LBB226_67:                             ; =>This Loop Header: Depth=1
                                        ;     Child Loop BB226_70 Depth 2
	v_lshl_add_u64 v[2:3], v[12:13], 2, s[14:15]
	s_mov_b32 s4, exec_lo
	global_load_b32 v1, v[2:3], off
	s_wait_xcnt 0x0
	v_lshl_add_u64 v[2:3], v[12:13], 4, s[16:17]
	global_load_b128 v[2:5], v[2:3], off
	s_wait_loadcnt 0x1
	v_subrev_nc_u32_e32 v11, s23, v1
	s_delay_alu instid0(VALU_DEP_1) | instskip(NEXT) | instid1(VALU_DEP_1)
	v_mul_lo_u32 v1, 0x89, v11
	v_and_b32_e32 v1, 0x3ff, v1
	s_delay_alu instid0(VALU_DEP_1)
	v_lshl_add_u32 v14, v1, 2, 0
	ds_load_b32 v15, v14
	s_wait_dscnt 0x0
	s_wait_xcnt 0x0
	v_cmpx_ne_u32_e64 v15, v11
	s_cbranch_execz .LBB226_66
; %bb.68:                               ;   in Loop: Header=BB226_67 Depth=1
	s_mov_b32 s5, 0
	s_branch .LBB226_70
.LBB226_69:                             ;   in Loop: Header=BB226_70 Depth=2
	s_or_b32 exec_lo, exec_lo, s8
	s_delay_alu instid0(SALU_CYCLE_1) | instskip(NEXT) | instid1(SALU_CYCLE_1)
	s_and_b32 s6, exec_lo, s7
	s_or_b32 s5, s6, s5
	s_delay_alu instid0(SALU_CYCLE_1)
	s_and_not1_b32 exec_lo, exec_lo, s5
	s_cbranch_execz .LBB226_65
.LBB226_70:                             ;   Parent Loop BB226_67 Depth=1
                                        ; =>  This Inner Loop Header: Depth=2
	s_mov_b32 s6, 0
	s_mov_b32 s7, exec_lo
	v_cmpx_ne_u32_e64 s33, v15
	s_xor_b32 s7, exec_lo, s7
	s_cbranch_execz .LBB226_72
; %bb.71:                               ;   in Loop: Header=BB226_70 Depth=2
	v_add_nc_u32_e32 v1, 1, v1
	s_mov_b32 s6, exec_lo
                                        ; implicit-def: $vgpr14
	s_delay_alu instid0(VALU_DEP_1)
	v_and_b32_e32 v1, 0x3ff, v1
	s_and_not1_saveexec_b32 s7, s7
	s_cbranch_execz .LBB226_74
	s_branch .LBB226_73
.LBB226_72:                             ;   in Loop: Header=BB226_70 Depth=2
	s_and_not1_saveexec_b32 s7, s7
	s_cbranch_execz .LBB226_74
.LBB226_73:                             ;   in Loop: Header=BB226_70 Depth=2
	v_mov_b32_e32 v15, s33
	s_and_not1_b32 s6, s6, exec_lo
	ds_cmpstore_rtn_b32 v14, v14, v11, v15
	s_wait_dscnt 0x0
	v_cmp_ne_u32_e32 vcc_lo, s33, v14
	s_and_b32 s8, vcc_lo, exec_lo
	s_delay_alu instid0(SALU_CYCLE_1)
	s_or_b32 s6, s6, s8
.LBB226_74:                             ;   in Loop: Header=BB226_70 Depth=2
	s_or_b32 exec_lo, exec_lo, s7
	s_mov_b32 s7, -1
                                        ; implicit-def: $vgpr14
                                        ; implicit-def: $vgpr15
	s_and_saveexec_b32 s8, s6
	s_cbranch_execz .LBB226_69
; %bb.75:                               ;   in Loop: Header=BB226_70 Depth=2
	v_lshl_add_u32 v14, v1, 2, 0
	ds_load_b32 v15, v14
	s_wait_dscnt 0x0
	v_cmp_eq_u32_e32 vcc_lo, v15, v11
	s_or_not1_b32 s7, vcc_lo, exec_lo
	s_branch .LBB226_69
.LBB226_76:
	s_or_b32 exec_lo, exec_lo, s16
	s_wait_kmcnt 0x0
	s_ashr_i32 s29, s28, 31
	s_delay_alu instid0(SALU_CYCLE_1) | instskip(NEXT) | instid1(SALU_CYCLE_1)
	s_lshl_b64 s[0:1], s[28:29], 3
	s_add_nc_u64 s[4:5], s[18:19], s[0:1]
	s_load_b128 s[0:3], s[4:5], 0x0
	s_wait_xcnt 0x0
	s_mov_b32 s4, exec_lo
	s_wait_kmcnt 0x0
	s_sub_co_i32 s3, s2, s0
	s_delay_alu instid0(SALU_CYCLE_1)
	v_cmpx_gt_i32_e64 s3, v0
	s_cbranch_execz .LBB226_86
; %bb.77:
	s_sub_co_i32 s4, s0, s2
	s_and_b32 s2, s3, 7
	s_cmp_lt_u32 s4, -7
	s_mov_b32 s23, 0
	s_cselect_b32 s4, -1, 0
	s_and_b32 s5, s3, -8
	s_cmp_lg_u32 s2, 0
	s_sub_nc_u64 s[0:1], s[0:1], s[22:23]
	s_cselect_b32 s6, -1, 0
	s_mov_b32 s7, 0
	s_branch .LBB226_79
.LBB226_78:                             ;   in Loop: Header=BB226_79 Depth=1
	s_wait_dscnt 0x0
	v_mul_lo_u32 v4, v0, 12
	v_add_nc_u32_e32 v0, 0x200, v0
	s_delay_alu instid0(VALU_DEP_3) | instskip(NEXT) | instid1(VALU_DEP_2)
	v_lshl_add_u64 v[2:3], v[2:3], 4, s[34:35]
	v_cmp_le_i32_e32 vcc_lo, s3, v0
	s_or_b32 s7, vcc_lo, s7
	s_delay_alu instid0(VALU_DEP_4)
	v_add3_u32 v1, v1, v4, 0x1000
	ds_load_2addr_b64 v[4:7], v1 offset1:1
	s_wait_dscnt 0x0
	global_store_b128 v[2:3], v[4:7], off
	s_wait_xcnt 0x0
	s_and_not1_b32 exec_lo, exec_lo, s7
	s_cbranch_execz .LBB226_86
.LBB226_79:                             ; =>This Loop Header: Depth=1
                                        ;     Child Loop BB226_81 Depth 2
                                        ;     Child Loop BB226_85 Depth 2
	v_lshl_add_u32 v1, v0, 2, 0
	v_mov_b64_e32 v[2:3], s[0:1]
	s_and_not1_b32 vcc_lo, exec_lo, s4
	s_mov_b32 s8, 0
	ds_load_b32 v4, v1
	s_cbranch_vccnz .LBB226_83
; %bb.80:                               ;   in Loop: Header=BB226_79 Depth=1
	v_mov_b64_e32 v[2:3], s[0:1]
	s_mov_b32 s9, 0
.LBB226_81:                             ;   Parent Loop BB226_79 Depth=1
                                        ; =>  This Inner Loop Header: Depth=2
	s_delay_alu instid0(SALU_CYCLE_1)
	v_dual_mov_b32 v5, s9 :: v_dual_mov_b32 v11, s23
	v_mov_b32_e32 v17, s23
	s_add_co_i32 s8, s8, 8
	s_add_co_i32 s9, s9, 32
	ds_load_2addr_b32 v[6:7], v5 offset1:1
	ds_load_2addr_b32 v[8:9], v5 offset0:2 offset1:3
	ds_load_2addr_b32 v[12:13], v5 offset0:4 offset1:5
	;; [unrolled: 1-line block ×3, first 2 shown]
	s_cmp_eq_u32 s5, s8
	s_wait_dscnt 0x3
	v_cmp_gt_i32_e32 vcc_lo, v4, v6
	v_cndmask_b32_e64 v10, 0, 1, vcc_lo
	v_cmp_gt_i32_e32 vcc_lo, v4, v7
	v_mov_b32_e32 v7, s23
	s_delay_alu instid0(VALU_DEP_3) | instskip(SKIP_4) | instid1(VALU_DEP_3)
	v_add_nc_u64_e32 v[2:3], v[2:3], v[10:11]
	v_cndmask_b32_e64 v16, 0, 1, vcc_lo
	s_wait_dscnt 0x2
	v_cmp_gt_i32_e32 vcc_lo, v4, v8
	v_cndmask_b32_e64 v6, 0, 1, vcc_lo
	v_add_nc_u64_e32 v[2:3], v[2:3], v[16:17]
	v_cmp_gt_i32_e32 vcc_lo, v4, v9
	v_mov_b32_e32 v9, s23
	v_cndmask_b32_e64 v10, 0, 1, vcc_lo
	s_delay_alu instid0(VALU_DEP_4) | instskip(SKIP_3) | instid1(VALU_DEP_3)
	v_add_nc_u64_e32 v[2:3], v[2:3], v[6:7]
	s_wait_dscnt 0x1
	v_cmp_gt_i32_e32 vcc_lo, v4, v12
	v_cndmask_b32_e64 v6, 0, 1, vcc_lo
	v_add_nc_u64_e32 v[2:3], v[2:3], v[10:11]
	v_cmp_gt_i32_e32 vcc_lo, v4, v13
	v_cndmask_b32_e64 v8, 0, 1, vcc_lo
	s_delay_alu instid0(VALU_DEP_3) | instskip(SKIP_3) | instid1(VALU_DEP_3)
	v_add_nc_u64_e32 v[2:3], v[2:3], v[6:7]
	s_wait_dscnt 0x0
	v_cmp_gt_i32_e32 vcc_lo, v4, v14
	v_cndmask_b32_e64 v6, 0, 1, vcc_lo
	v_add_nc_u64_e32 v[2:3], v[2:3], v[8:9]
	v_cmp_gt_i32_e32 vcc_lo, v4, v15
	v_cndmask_b32_e64 v8, 0, 1, vcc_lo
	s_delay_alu instid0(VALU_DEP_3) | instskip(NEXT) | instid1(VALU_DEP_1)
	v_add_nc_u64_e32 v[2:3], v[2:3], v[6:7]
	v_add_nc_u64_e32 v[2:3], v[2:3], v[8:9]
	s_cbranch_scc0 .LBB226_81
; %bb.82:                               ;   in Loop: Header=BB226_79 Depth=1
	s_mov_b32 s8, s5
.LBB226_83:                             ;   in Loop: Header=BB226_79 Depth=1
	s_and_not1_b32 vcc_lo, exec_lo, s6
	s_cbranch_vccnz .LBB226_78
; %bb.84:                               ;   in Loop: Header=BB226_79 Depth=1
	s_lshl_b32 s8, s8, 2
	s_mov_b32 s9, s2
	s_add_co_i32 s8, s8, 0
.LBB226_85:                             ;   Parent Loop BB226_79 Depth=1
                                        ; =>  This Inner Loop Header: Depth=2
	s_delay_alu instid0(SALU_CYCLE_1)
	v_dual_mov_b32 v5, s8 :: v_dual_mov_b32 v7, s23
	s_add_co_i32 s9, s9, -1
	s_add_co_i32 s8, s8, 4
	s_cmp_lg_u32 s9, 0
	ds_load_b32 v5, v5
	s_wait_dscnt 0x0
	v_cmp_gt_i32_e32 vcc_lo, v4, v5
	v_cndmask_b32_e64 v6, 0, 1, vcc_lo
	s_delay_alu instid0(VALU_DEP_1)
	v_add_nc_u64_e32 v[2:3], v[2:3], v[6:7]
	s_cbranch_scc1 .LBB226_85
	s_branch .LBB226_78
.LBB226_86:
	s_endpgm
	.section	.rodata,"a",@progbits
	.p2align	6, 0x0
	.amdhsa_kernel _ZN9rocsparseL41csrgemm_numeric_fill_block_per_row_kernelILj512ELj32ELj1024ELj137ELj32Eli21rocsparse_complex_numIdEEEvT5_PKS3_S5_NS_24const_host_device_scalarIT6_EEPKT4_S5_PKS7_SB_S5_SD_S8_SB_S5_SD_SB_S5_PS7_21rocsparse_index_base_SF_SF_SF_bbb
		.amdhsa_group_segment_fixed_size 0
		.amdhsa_private_segment_fixed_size 40
		.amdhsa_kernarg_size 172
		.amdhsa_user_sgpr_count 2
		.amdhsa_user_sgpr_dispatch_ptr 0
		.amdhsa_user_sgpr_queue_ptr 0
		.amdhsa_user_sgpr_kernarg_segment_ptr 1
		.amdhsa_user_sgpr_dispatch_id 0
		.amdhsa_user_sgpr_kernarg_preload_length 0
		.amdhsa_user_sgpr_kernarg_preload_offset 0
		.amdhsa_user_sgpr_private_segment_size 0
		.amdhsa_wavefront_size32 1
		.amdhsa_uses_dynamic_stack 0
		.amdhsa_enable_private_segment 1
		.amdhsa_system_sgpr_workgroup_id_x 1
		.amdhsa_system_sgpr_workgroup_id_y 0
		.amdhsa_system_sgpr_workgroup_id_z 0
		.amdhsa_system_sgpr_workgroup_info 0
		.amdhsa_system_vgpr_workitem_id 0
		.amdhsa_next_free_vgpr 34
		.amdhsa_next_free_sgpr 44
		.amdhsa_named_barrier_count 0
		.amdhsa_reserve_vcc 1
		.amdhsa_float_round_mode_32 0
		.amdhsa_float_round_mode_16_64 0
		.amdhsa_float_denorm_mode_32 3
		.amdhsa_float_denorm_mode_16_64 3
		.amdhsa_fp16_overflow 0
		.amdhsa_memory_ordered 1
		.amdhsa_forward_progress 1
		.amdhsa_inst_pref_size 28
		.amdhsa_round_robin_scheduling 0
		.amdhsa_exception_fp_ieee_invalid_op 0
		.amdhsa_exception_fp_denorm_src 0
		.amdhsa_exception_fp_ieee_div_zero 0
		.amdhsa_exception_fp_ieee_overflow 0
		.amdhsa_exception_fp_ieee_underflow 0
		.amdhsa_exception_fp_ieee_inexact 0
		.amdhsa_exception_int_div_zero 0
	.end_amdhsa_kernel
	.section	.text._ZN9rocsparseL41csrgemm_numeric_fill_block_per_row_kernelILj512ELj32ELj1024ELj137ELj32Eli21rocsparse_complex_numIdEEEvT5_PKS3_S5_NS_24const_host_device_scalarIT6_EEPKT4_S5_PKS7_SB_S5_SD_S8_SB_S5_SD_SB_S5_PS7_21rocsparse_index_base_SF_SF_SF_bbb,"axG",@progbits,_ZN9rocsparseL41csrgemm_numeric_fill_block_per_row_kernelILj512ELj32ELj1024ELj137ELj32Eli21rocsparse_complex_numIdEEEvT5_PKS3_S5_NS_24const_host_device_scalarIT6_EEPKT4_S5_PKS7_SB_S5_SD_S8_SB_S5_SD_SB_S5_PS7_21rocsparse_index_base_SF_SF_SF_bbb,comdat
.Lfunc_end226:
	.size	_ZN9rocsparseL41csrgemm_numeric_fill_block_per_row_kernelILj512ELj32ELj1024ELj137ELj32Eli21rocsparse_complex_numIdEEEvT5_PKS3_S5_NS_24const_host_device_scalarIT6_EEPKT4_S5_PKS7_SB_S5_SD_S8_SB_S5_SD_SB_S5_PS7_21rocsparse_index_base_SF_SF_SF_bbb, .Lfunc_end226-_ZN9rocsparseL41csrgemm_numeric_fill_block_per_row_kernelILj512ELj32ELj1024ELj137ELj32Eli21rocsparse_complex_numIdEEEvT5_PKS3_S5_NS_24const_host_device_scalarIT6_EEPKT4_S5_PKS7_SB_S5_SD_S8_SB_S5_SD_SB_S5_PS7_21rocsparse_index_base_SF_SF_SF_bbb
                                        ; -- End function
	.set _ZN9rocsparseL41csrgemm_numeric_fill_block_per_row_kernelILj512ELj32ELj1024ELj137ELj32Eli21rocsparse_complex_numIdEEEvT5_PKS3_S5_NS_24const_host_device_scalarIT6_EEPKT4_S5_PKS7_SB_S5_SD_S8_SB_S5_SD_SB_S5_PS7_21rocsparse_index_base_SF_SF_SF_bbb.num_vgpr, 34
	.set _ZN9rocsparseL41csrgemm_numeric_fill_block_per_row_kernelILj512ELj32ELj1024ELj137ELj32Eli21rocsparse_complex_numIdEEEvT5_PKS3_S5_NS_24const_host_device_scalarIT6_EEPKT4_S5_PKS7_SB_S5_SD_S8_SB_S5_SD_SB_S5_PS7_21rocsparse_index_base_SF_SF_SF_bbb.num_agpr, 0
	.set _ZN9rocsparseL41csrgemm_numeric_fill_block_per_row_kernelILj512ELj32ELj1024ELj137ELj32Eli21rocsparse_complex_numIdEEEvT5_PKS3_S5_NS_24const_host_device_scalarIT6_EEPKT4_S5_PKS7_SB_S5_SD_S8_SB_S5_SD_SB_S5_PS7_21rocsparse_index_base_SF_SF_SF_bbb.numbered_sgpr, 44
	.set _ZN9rocsparseL41csrgemm_numeric_fill_block_per_row_kernelILj512ELj32ELj1024ELj137ELj32Eli21rocsparse_complex_numIdEEEvT5_PKS3_S5_NS_24const_host_device_scalarIT6_EEPKT4_S5_PKS7_SB_S5_SD_S8_SB_S5_SD_SB_S5_PS7_21rocsparse_index_base_SF_SF_SF_bbb.num_named_barrier, 0
	.set _ZN9rocsparseL41csrgemm_numeric_fill_block_per_row_kernelILj512ELj32ELj1024ELj137ELj32Eli21rocsparse_complex_numIdEEEvT5_PKS3_S5_NS_24const_host_device_scalarIT6_EEPKT4_S5_PKS7_SB_S5_SD_S8_SB_S5_SD_SB_S5_PS7_21rocsparse_index_base_SF_SF_SF_bbb.private_seg_size, 40
	.set _ZN9rocsparseL41csrgemm_numeric_fill_block_per_row_kernelILj512ELj32ELj1024ELj137ELj32Eli21rocsparse_complex_numIdEEEvT5_PKS3_S5_NS_24const_host_device_scalarIT6_EEPKT4_S5_PKS7_SB_S5_SD_S8_SB_S5_SD_SB_S5_PS7_21rocsparse_index_base_SF_SF_SF_bbb.uses_vcc, 1
	.set _ZN9rocsparseL41csrgemm_numeric_fill_block_per_row_kernelILj512ELj32ELj1024ELj137ELj32Eli21rocsparse_complex_numIdEEEvT5_PKS3_S5_NS_24const_host_device_scalarIT6_EEPKT4_S5_PKS7_SB_S5_SD_S8_SB_S5_SD_SB_S5_PS7_21rocsparse_index_base_SF_SF_SF_bbb.uses_flat_scratch, 1
	.set _ZN9rocsparseL41csrgemm_numeric_fill_block_per_row_kernelILj512ELj32ELj1024ELj137ELj32Eli21rocsparse_complex_numIdEEEvT5_PKS3_S5_NS_24const_host_device_scalarIT6_EEPKT4_S5_PKS7_SB_S5_SD_S8_SB_S5_SD_SB_S5_PS7_21rocsparse_index_base_SF_SF_SF_bbb.has_dyn_sized_stack, 0
	.set _ZN9rocsparseL41csrgemm_numeric_fill_block_per_row_kernelILj512ELj32ELj1024ELj137ELj32Eli21rocsparse_complex_numIdEEEvT5_PKS3_S5_NS_24const_host_device_scalarIT6_EEPKT4_S5_PKS7_SB_S5_SD_S8_SB_S5_SD_SB_S5_PS7_21rocsparse_index_base_SF_SF_SF_bbb.has_recursion, 0
	.set _ZN9rocsparseL41csrgemm_numeric_fill_block_per_row_kernelILj512ELj32ELj1024ELj137ELj32Eli21rocsparse_complex_numIdEEEvT5_PKS3_S5_NS_24const_host_device_scalarIT6_EEPKT4_S5_PKS7_SB_S5_SD_S8_SB_S5_SD_SB_S5_PS7_21rocsparse_index_base_SF_SF_SF_bbb.has_indirect_call, 0
	.section	.AMDGPU.csdata,"",@progbits
; Kernel info:
; codeLenInByte = 3536
; TotalNumSgprs: 46
; NumVgprs: 34
; ScratchSize: 40
; MemoryBound: 0
; FloatMode: 240
; IeeeMode: 1
; LDSByteSize: 0 bytes/workgroup (compile time only)
; SGPRBlocks: 0
; VGPRBlocks: 2
; NumSGPRsForWavesPerEU: 46
; NumVGPRsForWavesPerEU: 34
; NamedBarCnt: 0
; Occupancy: 16
; WaveLimiterHint : 1
; COMPUTE_PGM_RSRC2:SCRATCH_EN: 1
; COMPUTE_PGM_RSRC2:USER_SGPR: 2
; COMPUTE_PGM_RSRC2:TRAP_HANDLER: 0
; COMPUTE_PGM_RSRC2:TGID_X_EN: 1
; COMPUTE_PGM_RSRC2:TGID_Y_EN: 0
; COMPUTE_PGM_RSRC2:TGID_Z_EN: 0
; COMPUTE_PGM_RSRC2:TIDIG_COMP_CNT: 0
	.section	.text._ZN9rocsparseL41csrgemm_numeric_fill_block_per_row_kernelILj512ELj32ELj1024ELj137ELj64Eli21rocsparse_complex_numIdEEEvT5_PKS3_S5_NS_24const_host_device_scalarIT6_EEPKT4_S5_PKS7_SB_S5_SD_S8_SB_S5_SD_SB_S5_PS7_21rocsparse_index_base_SF_SF_SF_bbb,"axG",@progbits,_ZN9rocsparseL41csrgemm_numeric_fill_block_per_row_kernelILj512ELj32ELj1024ELj137ELj64Eli21rocsparse_complex_numIdEEEvT5_PKS3_S5_NS_24const_host_device_scalarIT6_EEPKT4_S5_PKS7_SB_S5_SD_S8_SB_S5_SD_SB_S5_PS7_21rocsparse_index_base_SF_SF_SF_bbb,comdat
	.globl	_ZN9rocsparseL41csrgemm_numeric_fill_block_per_row_kernelILj512ELj32ELj1024ELj137ELj64Eli21rocsparse_complex_numIdEEEvT5_PKS3_S5_NS_24const_host_device_scalarIT6_EEPKT4_S5_PKS7_SB_S5_SD_S8_SB_S5_SD_SB_S5_PS7_21rocsparse_index_base_SF_SF_SF_bbb ; -- Begin function _ZN9rocsparseL41csrgemm_numeric_fill_block_per_row_kernelILj512ELj32ELj1024ELj137ELj64Eli21rocsparse_complex_numIdEEEvT5_PKS3_S5_NS_24const_host_device_scalarIT6_EEPKT4_S5_PKS7_SB_S5_SD_S8_SB_S5_SD_SB_S5_PS7_21rocsparse_index_base_SF_SF_SF_bbb
	.p2align	8
	.type	_ZN9rocsparseL41csrgemm_numeric_fill_block_per_row_kernelILj512ELj32ELj1024ELj137ELj64Eli21rocsparse_complex_numIdEEEvT5_PKS3_S5_NS_24const_host_device_scalarIT6_EEPKT4_S5_PKS7_SB_S5_SD_S8_SB_S5_SD_SB_S5_PS7_21rocsparse_index_base_SF_SF_SF_bbb,@function
_ZN9rocsparseL41csrgemm_numeric_fill_block_per_row_kernelILj512ELj32ELj1024ELj137ELj64Eli21rocsparse_complex_numIdEEEvT5_PKS3_S5_NS_24const_host_device_scalarIT6_EEPKT4_S5_PKS7_SB_S5_SD_S8_SB_S5_SD_SB_S5_PS7_21rocsparse_index_base_SF_SF_SF_bbb: ; @_ZN9rocsparseL41csrgemm_numeric_fill_block_per_row_kernelILj512ELj32ELj1024ELj137ELj64Eli21rocsparse_complex_numIdEEEvT5_PKS3_S5_NS_24const_host_device_scalarIT6_EEPKT4_S5_PKS7_SB_S5_SD_S8_SB_S5_SD_SB_S5_PS7_21rocsparse_index_base_SF_SF_SF_bbb
; %bb.0:
	s_clause 0x3
	s_load_b32 s12, s[0:1], 0xa8
	s_load_b128 s[8:11], s[0:1], 0x18
	s_load_b128 s[4:7], s[0:1], 0x58
	;; [unrolled: 1-line block ×3, first 2 shown]
	v_mov_b64_e32 v[6:7], 0
	v_mov_b64_e32 v[10:11], 0
	;; [unrolled: 1-line block ×3, first 2 shown]
	v_mbcnt_lo_u32_b32 v29, -1, 0
	s_wait_kmcnt 0x0
	s_bitcmp1_b32 s12, 0
	v_mov_b64_e32 v[2:3], s[8:9]
	s_cselect_b32 s3, -1, 0
	s_bitcmp1_b32 s12, 16
	v_mov_b64_e32 v[4:5], s[4:5]
	s_cselect_b32 s2, -1, 0
	s_clause 0x1
	scratch_store_b64 off, v[2:3], off offset:16
	scratch_store_b64 off, v[4:5], off offset:24
	s_xor_b32 s13, s2, -1
	s_bitcmp0_b32 s12, 0
	v_cndmask_b32_e64 v1, 0, 1, s13
	s_delay_alu instid0(VALU_DEP_1)
	v_cmp_ne_u32_e32 vcc_lo, 1, v1
	s_cbranch_scc1 .LBB227_3
; %bb.1:
	s_wait_xcnt 0x1
	v_dual_mov_b32 v2, 16 :: v_dual_lshlrev_b32 v3, 20, v29
	v_mov_b64_e32 v[12:13], s[10:11]
	s_and_b32 vcc_lo, exec_lo, vcc_lo
	s_delay_alu instid0(VALU_DEP_2) | instskip(NEXT) | instid1(VALU_DEP_1)
	v_add_nc_u64_e32 v[2:3], src_flat_scratch_base_lo, v[2:3]
	v_cndmask_b32_e64 v3, s9, v3, s2
	s_delay_alu instid0(VALU_DEP_2)
	v_cndmask_b32_e64 v2, s8, v2, s2
	flat_load_b64 v[10:11], v[2:3]
	s_cbranch_vccnz .LBB227_3
; %bb.2:
	v_mov_b32_e32 v1, 0
	flat_load_b64 v[12:13], v1, s[8:9] offset:8
.LBB227_3:
	s_load_b128 s[28:31], s[0:1], 0x8
	v_mov_b64_e32 v[8:9], 0
	s_bitcmp1_b32 s12, 8
	s_cselect_b32 s36, -1, 0
	s_bfe_u32 s8, s12, 0x10008
	s_delay_alu instid0(SALU_CYCLE_1)
	s_cmp_eq_u32 s8, 0
	s_cbranch_scc1 .LBB227_6
; %bb.4:
	v_dual_mov_b32 v2, 24 :: v_dual_lshlrev_b32 v3, 20, v29
	v_mov_b64_e32 v[6:7], s[6:7]
	s_and_not1_b32 vcc_lo, exec_lo, s13
	s_delay_alu instid0(VALU_DEP_2) | instskip(NEXT) | instid1(VALU_DEP_1)
	v_add_nc_u64_e32 v[2:3], src_flat_scratch_base_lo, v[2:3]
	v_cndmask_b32_e64 v3, s5, v3, s2
	s_delay_alu instid0(VALU_DEP_2)
	v_cndmask_b32_e64 v2, s4, v2, s2
	flat_load_b64 v[8:9], v[2:3]
	s_cbranch_vccnz .LBB227_6
; %bb.5:
	v_mov_b32_e32 v1, 0
	flat_load_b64 v[6:7], v1, s[4:5] offset:8
.LBB227_6:
	s_clause 0x4
	s_load_b32 s33, s[0:1], 0x0
	s_load_b64 s[34:35], s[0:1], 0x90
	s_load_b256 s[4:11], s[0:1], 0x68
	s_load_b128 s[24:27], s[0:1], 0x48
	s_load_b256 s[12:19], s[0:1], 0x28
	v_or_b32_e32 v26, 0xfffffe00, v0
	v_lshlrev_b32_e32 v1, 4, v0
	s_wait_xcnt 0x0
	s_mov_b32 s0, 0
	v_lshl_add_u32 v27, v0, 2, 0
	s_mov_b32 s1, s0
	v_mov_b32_e32 v14, v26
	v_add3_u32 v28, v1, 0, 0x1000
	s_mov_b32 s38, s0
	s_mov_b32 s39, s0
	v_mov_b64_e32 v[2:3], s[0:1]
	v_mov_b64_e32 v[4:5], s[38:39]
	v_dual_mov_b32 v1, v27 :: v_dual_mov_b32 v16, v28
	s_wait_kmcnt 0x0
	v_mov_b32_e32 v15, s33
.LBB227_7:                              ; =>This Inner Loop Header: Depth=1
	v_add_co_u32 v14, s1, 0x200, v14
	s_xor_b32 s1, s1, -1
	ds_store_b32 v1, v15
	ds_store_2addr_b64 v16, v[2:3], v[4:5] offset1:1
	v_add_nc_u32_e32 v16, 0x2000, v16
	v_add_nc_u32_e32 v1, 0x800, v1
	s_and_b32 s1, exec_lo, s1
	s_delay_alu instid0(SALU_CYCLE_1) | instskip(NEXT) | instid1(SALU_CYCLE_1)
	s_or_b32 s0, s1, s0
	s_and_not1_b32 exec_lo, exec_lo, s0
	s_cbranch_execnz .LBB227_7
; %bb.8:
	s_or_b32 exec_lo, exec_lo, s0
	s_wait_storecnt 0x0
	s_wait_loadcnt_dscnt 0x0
	s_barrier_signal -1
	s_barrier_wait -1
	s_load_b32 s0, s[28:29], 0x0
	s_bfe_u32 s1, ttmp6, 0x4000c
	s_and_b32 s2, ttmp6, 15
	s_add_co_i32 s1, s1, 1
	s_wait_xcnt 0x0
	s_getreg_b32 s28, hwreg(HW_REG_IB_STS2, 6, 4)
	s_mul_i32 s1, ttmp9, s1
	s_delay_alu instid0(SALU_CYCLE_1)
	s_add_co_i32 s2, s2, s1
	s_cmp_eq_u32 s28, 0
	s_cselect_b32 s1, ttmp9, s2
	s_and_b32 vcc_lo, exec_lo, s3
	s_wait_kmcnt 0x0
	s_add_co_i32 s0, s0, s1
	s_mov_b32 s1, 0
	s_load_b32 s28, s[30:31], s0 offset:0x0 scale_offset
	s_cbranch_vccz .LBB227_26
; %bb.9:
	s_wait_kmcnt 0x0
	s_ashr_i32 s29, s28, 31
	v_dual_mov_b32 v3, 0 :: v_dual_lshrrev_b32 v2, 5, v0
	s_lshl_b64 s[2:3], s[28:29], 3
	s_mov_b32 s0, s20
	s_add_nc_u64 s[2:3], s[12:13], s[2:3]
	s_mov_b32 s12, exec_lo
	s_load_b128 s[40:43], s[2:3], 0x0
	v_sub_nc_u64_e64 v[4:5], v[2:3], s[0:1]
	s_wait_kmcnt 0x0
	s_delay_alu instid0(VALU_DEP_1)
	v_add_nc_u64_e32 v[14:15], s[40:41], v[4:5]
	s_sub_nc_u64 s[0:1], s[42:43], s[0:1]
	s_delay_alu instid0(VALU_DEP_1) | instid1(SALU_CYCLE_1)
	v_cmpx_gt_i64_e64 s[0:1], v[14:15]
	s_cbranch_execz .LBB227_25
; %bb.10:
	v_and_b32_e32 v2, 31, v0
	s_mov_b32 s3, 0
	s_mov_b32 s2, s21
	;; [unrolled: 1-line block ×3, first 2 shown]
	s_delay_alu instid0(VALU_DEP_1)
	v_sub_nc_u64_e64 v[16:17], v[2:3], s[2:3]
	s_branch .LBB227_12
.LBB227_11:                             ;   in Loop: Header=BB227_12 Depth=1
	s_or_b32 exec_lo, exec_lo, s29
	v_add_nc_u64_e32 v[14:15], 16, v[14:15]
	s_delay_alu instid0(VALU_DEP_1) | instskip(SKIP_1) | instid1(SALU_CYCLE_1)
	v_cmp_le_i64_e32 vcc_lo, s[0:1], v[14:15]
	s_or_b32 s13, vcc_lo, s13
	s_and_not1_b32 exec_lo, exec_lo, s13
	s_cbranch_execz .LBB227_25
.LBB227_12:                             ; =>This Loop Header: Depth=1
                                        ;     Child Loop BB227_16 Depth 2
                                        ;       Child Loop BB227_19 Depth 3
	v_lshl_add_u64 v[2:3], v[14:15], 2, s[14:15]
	s_mov_b32 s29, exec_lo
	global_load_b32 v1, v[2:3], off
	s_wait_loadcnt 0x0
	s_wait_xcnt 0x0
	v_subrev_nc_u32_e32 v2, s20, v1
	s_delay_alu instid0(VALU_DEP_1) | instskip(NEXT) | instid1(VALU_DEP_1)
	v_ashrrev_i32_e32 v3, 31, v2
	v_lshl_add_u64 v[2:3], v[2:3], 3, s[18:19]
	global_load_b128 v[2:5], v[2:3], off
	s_wait_loadcnt 0x0
	v_sub_nc_u64_e64 v[18:19], v[4:5], s[2:3]
	v_add_nc_u64_e32 v[20:21], v[2:3], v[16:17]
	s_wait_xcnt 0x0
	s_delay_alu instid0(VALU_DEP_1)
	v_cmpx_lt_i64_e64 v[20:21], v[18:19]
	s_cbranch_execz .LBB227_11
; %bb.13:                               ;   in Loop: Header=BB227_12 Depth=1
	v_lshl_add_u64 v[2:3], v[14:15], 4, s[16:17]
	s_mov_b32 s30, 0
	global_load_b128 v[2:5], v[2:3], off
	s_wait_loadcnt 0x0
	v_mul_f64_e64 v[22:23], v[4:5], -v[12:13]
	v_mul_f64_e32 v[24:25], v[10:11], v[4:5]
	s_delay_alu instid0(VALU_DEP_2) | instskip(NEXT) | instid1(VALU_DEP_2)
	v_fmac_f64_e32 v[22:23], v[10:11], v[2:3]
	v_fmac_f64_e32 v[24:25], v[12:13], v[2:3]
	s_branch .LBB227_16
.LBB227_14:                             ;   in Loop: Header=BB227_16 Depth=2
	s_or_b32 exec_lo, exec_lo, s37
.LBB227_15:                             ;   in Loop: Header=BB227_16 Depth=2
	s_delay_alu instid0(SALU_CYCLE_1)
	s_or_b32 exec_lo, exec_lo, s31
	s_wait_loadcnt 0x0
	v_mul_f64_e64 v[30:31], v[4:5], -v[24:25]
	v_mul_f64_e32 v[4:5], v[22:23], v[4:5]
	v_lshl_add_u32 v1, v1, 4, 0
	v_add_nc_u64_e32 v[20:21], 32, v[20:21]
	s_delay_alu instid0(VALU_DEP_1)
	v_cmp_ge_i64_e32 vcc_lo, v[20:21], v[18:19]
	s_or_b32 s30, vcc_lo, s30
	v_fmac_f64_e32 v[30:31], v[22:23], v[2:3]
	v_fmac_f64_e32 v[4:5], v[24:25], v[2:3]
	ds_add_f64 v1, v[30:31] offset:4096
	ds_add_f64 v1, v[4:5] offset:4104
	s_and_not1_b32 exec_lo, exec_lo, s30
	s_cbranch_execz .LBB227_11
.LBB227_16:                             ;   Parent Loop BB227_12 Depth=1
                                        ; =>  This Loop Header: Depth=2
                                        ;       Child Loop BB227_19 Depth 3
	s_wait_xcnt 0x0
	v_lshl_add_u64 v[2:3], v[20:21], 2, s[24:25]
	s_mov_b32 s31, exec_lo
	global_load_b32 v1, v[2:3], off
	s_wait_xcnt 0x0
	v_lshl_add_u64 v[2:3], v[20:21], 4, s[26:27]
	global_load_b128 v[2:5], v[2:3], off
	s_wait_loadcnt 0x1
	v_subrev_nc_u32_e32 v30, s21, v1
	s_delay_alu instid0(VALU_DEP_1) | instskip(NEXT) | instid1(VALU_DEP_1)
	v_mul_lo_u32 v1, 0x89, v30
	v_and_b32_e32 v1, 0x3ff, v1
	s_delay_alu instid0(VALU_DEP_1)
	v_lshl_add_u32 v31, v1, 2, 0
	ds_load_b32 v32, v31
	s_wait_dscnt 0x0
	s_wait_xcnt 0x0
	v_cmpx_ne_u32_e64 v32, v30
	s_cbranch_execz .LBB227_15
; %bb.17:                               ;   in Loop: Header=BB227_16 Depth=2
	s_mov_b32 s37, 0
	s_branch .LBB227_19
.LBB227_18:                             ;   in Loop: Header=BB227_19 Depth=3
	s_or_b32 exec_lo, exec_lo, s40
	s_delay_alu instid0(SALU_CYCLE_1) | instskip(NEXT) | instid1(SALU_CYCLE_1)
	s_and_b32 s38, exec_lo, s39
	s_or_b32 s37, s38, s37
	s_delay_alu instid0(SALU_CYCLE_1)
	s_and_not1_b32 exec_lo, exec_lo, s37
	s_cbranch_execz .LBB227_14
.LBB227_19:                             ;   Parent Loop BB227_12 Depth=1
                                        ;     Parent Loop BB227_16 Depth=2
                                        ; =>    This Inner Loop Header: Depth=3
	s_mov_b32 s38, 0
	s_mov_b32 s39, exec_lo
	v_cmpx_ne_u32_e64 s33, v32
	s_xor_b32 s39, exec_lo, s39
	s_cbranch_execz .LBB227_21
; %bb.20:                               ;   in Loop: Header=BB227_19 Depth=3
	v_add_nc_u32_e32 v1, 1, v1
	s_mov_b32 s38, exec_lo
                                        ; implicit-def: $vgpr31
	s_delay_alu instid0(VALU_DEP_1)
	v_and_b32_e32 v1, 0x3ff, v1
	s_and_not1_saveexec_b32 s39, s39
	s_cbranch_execz .LBB227_23
	s_branch .LBB227_22
.LBB227_21:                             ;   in Loop: Header=BB227_19 Depth=3
	s_and_not1_saveexec_b32 s39, s39
	s_cbranch_execz .LBB227_23
.LBB227_22:                             ;   in Loop: Header=BB227_19 Depth=3
	v_mov_b32_e32 v32, s33
	s_and_not1_b32 s38, s38, exec_lo
	ds_cmpstore_rtn_b32 v31, v31, v30, v32
	s_wait_dscnt 0x0
	v_cmp_ne_u32_e32 vcc_lo, s33, v31
	s_and_b32 s40, vcc_lo, exec_lo
	s_delay_alu instid0(SALU_CYCLE_1)
	s_or_b32 s38, s38, s40
.LBB227_23:                             ;   in Loop: Header=BB227_19 Depth=3
	s_or_b32 exec_lo, exec_lo, s39
	s_mov_b32 s39, -1
                                        ; implicit-def: $vgpr31
                                        ; implicit-def: $vgpr32
	s_and_saveexec_b32 s40, s38
	s_cbranch_execz .LBB227_18
; %bb.24:                               ;   in Loop: Header=BB227_19 Depth=3
	v_lshl_add_u32 v31, v1, 2, 0
	ds_load_b32 v32, v31
	s_wait_dscnt 0x0
	v_cmp_eq_u32_e32 vcc_lo, v32, v30
	s_or_not1_b32 s39, vcc_lo, exec_lo
	s_branch .LBB227_18
.LBB227_25:
	s_or_b32 exec_lo, exec_lo, s12
.LBB227_26:
	s_delay_alu instid0(SALU_CYCLE_1)
	s_and_not1_b32 vcc_lo, exec_lo, s36
	s_cbranch_vccnz .LBB227_29
; %bb.27:
	s_wait_kmcnt 0x0
	s_ashr_i32 s29, s28, 31
	v_mov_b32_e32 v1, 0
	s_lshl_b64 s[0:1], s[28:29], 3
	s_delay_alu instid0(SALU_CYCLE_1) | instskip(SKIP_4) | instid1(SALU_CYCLE_1)
	s_add_nc_u64 s[0:1], s[4:5], s[0:1]
	s_load_b128 s[12:15], s[0:1], 0x0
	s_wait_xcnt 0x0
	s_mov_b32 s1, 0
	s_mov_b32 s0, s23
	v_sub_nc_u64_e64 v[2:3], v[0:1], s[0:1]
	s_wait_kmcnt 0x0
	s_delay_alu instid0(VALU_DEP_1) | instskip(SKIP_2) | instid1(VALU_DEP_1)
	v_add_nc_u64_e32 v[10:11], s[12:13], v[2:3]
	s_sub_nc_u64 s[2:3], s[14:15], s[0:1]
	s_mov_b32 s0, exec_lo
	v_cmpx_gt_i64_e64 s[2:3], v[10:11]
	s_cbranch_execnz .LBB227_51
.LBB227_28:
	s_or_b32 exec_lo, exec_lo, s0
.LBB227_29:
	v_dual_lshrrev_b32 v2, 4, v0 :: v_dual_bitop2_b32 v3, 31, v29 bitop3:0x14
	v_mov_b32_e32 v1, 0
	s_wait_xcnt 0x0
	v_cmp_lt_u32_e64 s0, 63, v0
	v_cmp_lt_u32_e64 s1, 0x7f, v0
	v_and_b32_e32 v4, 28, v2
	v_cmp_lt_u32_e64 s2, 0xbf, v0
	v_lshrrev_b32_e64 v2, v3, -1
	v_cmp_lt_u32_e64 s3, 0xff, v0
	v_cmp_lt_u32_e64 s4, 0x13f, v0
	v_dual_mov_b32 v4, 0 :: v_dual_add_nc_u32 v3, 0, v4
	v_cmp_lt_u32_e64 s5, 0x17f, v0
	v_cmp_lt_u32_e64 s6, 0x1bf, v0
	s_mov_b32 s8, 0
	s_wait_dscnt 0x0
	v_cmp_eq_u32_e32 vcc_lo, 0x1ff, v0
	s_barrier_signal -1
	s_barrier_wait -1
	s_branch .LBB227_31
.LBB227_30:                             ;   in Loop: Header=BB227_31 Depth=1
	s_or_b32 exec_lo, exec_lo, s7
	s_wait_dscnt 0x0
	s_barrier_signal -1
	s_barrier_wait -1
	ds_load_b32 v5, v1 offset:20508
	v_add_co_u32 v26, s7, 0x200, v26
	s_xor_b32 s7, s7, -1
	v_add_nc_u32_e32 v28, 0x2000, v28
	v_add_nc_u32_e32 v27, 0x800, v27
	s_and_b32 s7, exec_lo, s7
	s_delay_alu instid0(SALU_CYCLE_1)
	s_or_b32 s8, s7, s8
	s_wait_dscnt 0x0
	v_add_nc_u32_e32 v4, v5, v4
	s_and_not1_b32 exec_lo, exec_lo, s8
	s_cbranch_execz .LBB227_60
.LBB227_31:                             ; =>This Inner Loop Header: Depth=1
	ds_load_b32 v5, v27
	ds_load_2addr_b64 v[6:9], v28 offset1:1
	s_wait_dscnt 0x1
	v_cmp_gt_i32_e64 s7, s33, v5
	s_wait_dscnt 0x0
	scratch_store_b128 off, v[6:9], off
	s_wait_storecnt 0x0
	s_barrier_signal -1
	s_barrier_wait -1
	s_bcnt1_i32_b32 s9, s7
	s_wait_xcnt 0x0
	v_dual_mov_b32 v7, s9 :: v_dual_bitop2_b32 v6, s7, v2 bitop3:0x40
	s_delay_alu instid0(VALU_DEP_1)
	v_bcnt_u32_b32 v6, v6, 0
	ds_store_b32 v3, v7 offset:20480
	s_wait_dscnt 0x0
	s_barrier_signal -1
	s_barrier_wait -1
	s_and_saveexec_b32 s9, s0
	s_cbranch_execz .LBB227_40
; %bb.32:                               ;   in Loop: Header=BB227_31 Depth=1
	ds_load_b32 v7, v1 offset:20480
	s_wait_dscnt 0x0
	v_add_nc_u32_e32 v6, v7, v6
	s_or_b32 exec_lo, exec_lo, s9
	s_and_saveexec_b32 s9, s1
	s_cbranch_execnz .LBB227_41
.LBB227_33:                             ;   in Loop: Header=BB227_31 Depth=1
	s_or_b32 exec_lo, exec_lo, s9
	s_and_saveexec_b32 s9, s2
	s_cbranch_execz .LBB227_42
.LBB227_34:                             ;   in Loop: Header=BB227_31 Depth=1
	ds_load_b32 v7, v1 offset:20488
	s_wait_dscnt 0x0
	v_add_nc_u32_e32 v6, v7, v6
	s_or_b32 exec_lo, exec_lo, s9
	s_and_saveexec_b32 s9, s3
	s_cbranch_execnz .LBB227_43
.LBB227_35:                             ;   in Loop: Header=BB227_31 Depth=1
	s_or_b32 exec_lo, exec_lo, s9
	s_and_saveexec_b32 s9, s4
	s_cbranch_execz .LBB227_44
.LBB227_36:                             ;   in Loop: Header=BB227_31 Depth=1
	ds_load_b32 v7, v1 offset:20496
	s_wait_dscnt 0x0
	v_add_nc_u32_e32 v6, v7, v6
	s_or_b32 exec_lo, exec_lo, s9
	s_and_saveexec_b32 s9, s5
	s_cbranch_execnz .LBB227_45
.LBB227_37:                             ;   in Loop: Header=BB227_31 Depth=1
	s_or_b32 exec_lo, exec_lo, s9
	s_and_saveexec_b32 s9, s6
	s_cbranch_execz .LBB227_46
.LBB227_38:                             ;   in Loop: Header=BB227_31 Depth=1
	ds_load_b32 v7, v1 offset:20504
	s_wait_dscnt 0x0
	v_add_nc_u32_e32 v6, v7, v6
	s_or_b32 exec_lo, exec_lo, s9
	s_and_saveexec_b32 s9, s7
	s_cbranch_execnz .LBB227_47
.LBB227_39:                             ;   in Loop: Header=BB227_31 Depth=1
	s_or_b32 exec_lo, exec_lo, s9
	s_and_saveexec_b32 s7, vcc_lo
	s_cbranch_execz .LBB227_30
	s_branch .LBB227_48
.LBB227_40:                             ;   in Loop: Header=BB227_31 Depth=1
	s_or_b32 exec_lo, exec_lo, s9
	s_and_saveexec_b32 s9, s1
	s_cbranch_execz .LBB227_33
.LBB227_41:                             ;   in Loop: Header=BB227_31 Depth=1
	ds_load_b32 v7, v1 offset:20484
	s_wait_dscnt 0x0
	v_add_nc_u32_e32 v6, v7, v6
	s_or_b32 exec_lo, exec_lo, s9
	s_and_saveexec_b32 s9, s2
	s_cbranch_execnz .LBB227_34
.LBB227_42:                             ;   in Loop: Header=BB227_31 Depth=1
	s_or_b32 exec_lo, exec_lo, s9
	s_and_saveexec_b32 s9, s3
	s_cbranch_execz .LBB227_35
.LBB227_43:                             ;   in Loop: Header=BB227_31 Depth=1
	ds_load_b32 v7, v1 offset:20492
	s_wait_dscnt 0x0
	v_add_nc_u32_e32 v6, v7, v6
	s_or_b32 exec_lo, exec_lo, s9
	s_and_saveexec_b32 s9, s4
	s_cbranch_execnz .LBB227_36
.LBB227_44:                             ;   in Loop: Header=BB227_31 Depth=1
	s_or_b32 exec_lo, exec_lo, s9
	s_and_saveexec_b32 s9, s5
	s_cbranch_execz .LBB227_37
.LBB227_45:                             ;   in Loop: Header=BB227_31 Depth=1
	ds_load_b32 v7, v1 offset:20500
	s_wait_dscnt 0x0
	v_add_nc_u32_e32 v6, v7, v6
	s_or_b32 exec_lo, exec_lo, s9
	s_and_saveexec_b32 s9, s6
	s_cbranch_execnz .LBB227_38
.LBB227_46:                             ;   in Loop: Header=BB227_31 Depth=1
	s_or_b32 exec_lo, exec_lo, s9
	s_and_saveexec_b32 s9, s7
	s_cbranch_execz .LBB227_39
.LBB227_47:                             ;   in Loop: Header=BB227_31 Depth=1
	scratch_load_b128 v[8:11], off, off
	v_add3_u32 v7, v4, -1, v6
	v_add_lshl_u32 v12, v4, v6, 4
	s_delay_alu instid0(VALU_DEP_2) | instskip(NEXT) | instid1(VALU_DEP_2)
	v_lshl_add_u32 v7, v7, 2, 0
	v_add3_u32 v12, 0, v12, 0xff0
	ds_store_b32 v7, v5
	s_wait_loadcnt 0x0
	ds_store_2addr_b64 v12, v[8:9], v[10:11] offset1:1
	s_or_b32 exec_lo, exec_lo, s9
	s_and_saveexec_b32 s7, vcc_lo
	s_cbranch_execz .LBB227_30
.LBB227_48:                             ;   in Loop: Header=BB227_31 Depth=1
	ds_store_b32 v1, v6 offset:20508
	s_branch .LBB227_30
.LBB227_49:                             ;   in Loop: Header=BB227_51 Depth=1
	s_or_b32 exec_lo, exec_lo, s5
.LBB227_50:                             ;   in Loop: Header=BB227_51 Depth=1
	s_delay_alu instid0(SALU_CYCLE_1)
	s_or_b32 exec_lo, exec_lo, s4
	s_wait_loadcnt 0x0
	v_mul_f64_e64 v[12:13], v[4:5], -v[6:7]
	v_mul_f64_e32 v[4:5], v[8:9], v[4:5]
	v_lshl_add_u32 v1, v1, 4, 0
	v_add_nc_u64_e32 v[10:11], 0x200, v[10:11]
	s_delay_alu instid0(VALU_DEP_1)
	v_cmp_le_i64_e32 vcc_lo, s[2:3], v[10:11]
	s_or_b32 s1, vcc_lo, s1
	v_fmac_f64_e32 v[12:13], v[8:9], v[2:3]
	v_fmac_f64_e32 v[4:5], v[6:7], v[2:3]
	ds_add_f64 v1, v[12:13] offset:4096
	ds_add_f64 v1, v[4:5] offset:4104
	s_and_not1_b32 exec_lo, exec_lo, s1
	s_cbranch_execz .LBB227_28
.LBB227_51:                             ; =>This Loop Header: Depth=1
                                        ;     Child Loop BB227_54 Depth 2
	v_lshl_add_u64 v[2:3], v[10:11], 2, s[6:7]
	s_mov_b32 s4, exec_lo
	global_load_b32 v1, v[2:3], off
	s_wait_xcnt 0x0
	v_lshl_add_u64 v[2:3], v[10:11], 4, s[8:9]
	global_load_b128 v[2:5], v[2:3], off
	s_wait_loadcnt 0x1
	v_subrev_nc_u32_e32 v12, s23, v1
	s_delay_alu instid0(VALU_DEP_1) | instskip(NEXT) | instid1(VALU_DEP_1)
	v_mul_lo_u32 v1, 0x89, v12
	v_and_b32_e32 v1, 0x3ff, v1
	s_delay_alu instid0(VALU_DEP_1)
	v_lshl_add_u32 v13, v1, 2, 0
	ds_load_b32 v14, v13
	s_wait_dscnt 0x0
	s_wait_xcnt 0x0
	v_cmpx_ne_u32_e64 v14, v12
	s_cbranch_execz .LBB227_50
; %bb.52:                               ;   in Loop: Header=BB227_51 Depth=1
	s_mov_b32 s5, 0
	s_branch .LBB227_54
.LBB227_53:                             ;   in Loop: Header=BB227_54 Depth=2
	s_or_b32 exec_lo, exec_lo, s14
	s_delay_alu instid0(SALU_CYCLE_1) | instskip(NEXT) | instid1(SALU_CYCLE_1)
	s_and_b32 s12, exec_lo, s13
	s_or_b32 s5, s12, s5
	s_delay_alu instid0(SALU_CYCLE_1)
	s_and_not1_b32 exec_lo, exec_lo, s5
	s_cbranch_execz .LBB227_49
.LBB227_54:                             ;   Parent Loop BB227_51 Depth=1
                                        ; =>  This Inner Loop Header: Depth=2
	s_mov_b32 s12, 0
	s_mov_b32 s13, exec_lo
	v_cmpx_ne_u32_e64 s33, v14
	s_xor_b32 s13, exec_lo, s13
	s_cbranch_execz .LBB227_56
; %bb.55:                               ;   in Loop: Header=BB227_54 Depth=2
	v_add_nc_u32_e32 v1, 1, v1
	s_mov_b32 s12, exec_lo
                                        ; implicit-def: $vgpr13
	s_delay_alu instid0(VALU_DEP_1)
	v_and_b32_e32 v1, 0x3ff, v1
	s_and_not1_saveexec_b32 s13, s13
	s_cbranch_execz .LBB227_58
	s_branch .LBB227_57
.LBB227_56:                             ;   in Loop: Header=BB227_54 Depth=2
	s_and_not1_saveexec_b32 s13, s13
	s_cbranch_execz .LBB227_58
.LBB227_57:                             ;   in Loop: Header=BB227_54 Depth=2
	v_mov_b32_e32 v14, s33
	s_and_not1_b32 s12, s12, exec_lo
	ds_cmpstore_rtn_b32 v13, v13, v12, v14
	s_wait_dscnt 0x0
	v_cmp_ne_u32_e32 vcc_lo, s33, v13
	s_and_b32 s14, vcc_lo, exec_lo
	s_delay_alu instid0(SALU_CYCLE_1)
	s_or_b32 s12, s12, s14
.LBB227_58:                             ;   in Loop: Header=BB227_54 Depth=2
	s_or_b32 exec_lo, exec_lo, s13
	s_mov_b32 s13, -1
                                        ; implicit-def: $vgpr13
                                        ; implicit-def: $vgpr14
	s_and_saveexec_b32 s14, s12
	s_cbranch_execz .LBB227_53
; %bb.59:                               ;   in Loop: Header=BB227_54 Depth=2
	v_lshl_add_u32 v13, v1, 2, 0
	ds_load_b32 v14, v13
	s_wait_dscnt 0x0
	v_cmp_eq_u32_e32 vcc_lo, v14, v12
	s_or_not1_b32 s13, vcc_lo, exec_lo
	s_branch .LBB227_53
.LBB227_60:
	s_or_b32 exec_lo, exec_lo, s8
	s_wait_kmcnt 0x0
	s_ashr_i32 s29, s28, 31
	s_delay_alu instid0(SALU_CYCLE_1) | instskip(NEXT) | instid1(SALU_CYCLE_1)
	s_lshl_b64 s[0:1], s[28:29], 3
	s_add_nc_u64 s[4:5], s[10:11], s[0:1]
	s_load_b128 s[0:3], s[4:5], 0x0
	s_wait_xcnt 0x0
	s_mov_b32 s4, exec_lo
	s_wait_kmcnt 0x0
	s_sub_co_i32 s3, s2, s0
	s_delay_alu instid0(SALU_CYCLE_1)
	v_cmpx_gt_i32_e64 s3, v0
	s_cbranch_execz .LBB227_70
; %bb.61:
	s_sub_co_i32 s4, s0, s2
	s_and_b32 s2, s3, 7
	s_cmp_lt_u32 s4, -7
	s_mov_b32 s23, 0
	s_cselect_b32 s4, -1, 0
	s_and_b32 s5, s3, -8
	s_cmp_lg_u32 s2, 0
	s_sub_nc_u64 s[0:1], s[0:1], s[22:23]
	s_cselect_b32 s6, -1, 0
	s_mov_b32 s7, 0
	s_branch .LBB227_63
.LBB227_62:                             ;   in Loop: Header=BB227_63 Depth=1
	s_wait_dscnt 0x0
	v_mul_lo_u32 v4, v0, 12
	v_add_nc_u32_e32 v0, 0x200, v0
	s_delay_alu instid0(VALU_DEP_3) | instskip(NEXT) | instid1(VALU_DEP_2)
	v_lshl_add_u64 v[2:3], v[2:3], 4, s[34:35]
	v_cmp_le_i32_e32 vcc_lo, s3, v0
	s_or_b32 s7, vcc_lo, s7
	s_delay_alu instid0(VALU_DEP_4)
	v_add3_u32 v1, v1, v4, 0x1000
	ds_load_2addr_b64 v[4:7], v1 offset1:1
	s_wait_dscnt 0x0
	global_store_b128 v[2:3], v[4:7], off
	s_wait_xcnt 0x0
	s_and_not1_b32 exec_lo, exec_lo, s7
	s_cbranch_execz .LBB227_70
.LBB227_63:                             ; =>This Loop Header: Depth=1
                                        ;     Child Loop BB227_65 Depth 2
                                        ;     Child Loop BB227_69 Depth 2
	v_lshl_add_u32 v1, v0, 2, 0
	v_mov_b64_e32 v[2:3], s[0:1]
	s_and_not1_b32 vcc_lo, exec_lo, s4
	s_mov_b32 s8, 0
	ds_load_b32 v4, v1
	s_cbranch_vccnz .LBB227_67
; %bb.64:                               ;   in Loop: Header=BB227_63 Depth=1
	v_mov_b64_e32 v[2:3], s[0:1]
	s_mov_b32 s9, 0
.LBB227_65:                             ;   Parent Loop BB227_63 Depth=1
                                        ; =>  This Inner Loop Header: Depth=2
	s_delay_alu instid0(SALU_CYCLE_1)
	v_dual_mov_b32 v5, s9 :: v_dual_mov_b32 v11, s23
	v_mov_b32_e32 v17, s23
	s_add_co_i32 s8, s8, 8
	s_add_co_i32 s9, s9, 32
	ds_load_2addr_b32 v[6:7], v5 offset1:1
	ds_load_2addr_b32 v[8:9], v5 offset0:2 offset1:3
	ds_load_2addr_b32 v[12:13], v5 offset0:4 offset1:5
	;; [unrolled: 1-line block ×3, first 2 shown]
	s_cmp_eq_u32 s5, s8
	s_wait_dscnt 0x3
	v_cmp_gt_i32_e32 vcc_lo, v4, v6
	v_cndmask_b32_e64 v10, 0, 1, vcc_lo
	v_cmp_gt_i32_e32 vcc_lo, v4, v7
	v_mov_b32_e32 v7, s23
	s_delay_alu instid0(VALU_DEP_3) | instskip(SKIP_4) | instid1(VALU_DEP_3)
	v_add_nc_u64_e32 v[2:3], v[2:3], v[10:11]
	v_cndmask_b32_e64 v16, 0, 1, vcc_lo
	s_wait_dscnt 0x2
	v_cmp_gt_i32_e32 vcc_lo, v4, v8
	v_cndmask_b32_e64 v6, 0, 1, vcc_lo
	v_add_nc_u64_e32 v[2:3], v[2:3], v[16:17]
	v_cmp_gt_i32_e32 vcc_lo, v4, v9
	v_mov_b32_e32 v9, s23
	v_cndmask_b32_e64 v10, 0, 1, vcc_lo
	s_delay_alu instid0(VALU_DEP_4) | instskip(SKIP_3) | instid1(VALU_DEP_3)
	v_add_nc_u64_e32 v[2:3], v[2:3], v[6:7]
	s_wait_dscnt 0x1
	v_cmp_gt_i32_e32 vcc_lo, v4, v12
	v_cndmask_b32_e64 v6, 0, 1, vcc_lo
	v_add_nc_u64_e32 v[2:3], v[2:3], v[10:11]
	v_cmp_gt_i32_e32 vcc_lo, v4, v13
	v_cndmask_b32_e64 v8, 0, 1, vcc_lo
	s_delay_alu instid0(VALU_DEP_3) | instskip(SKIP_3) | instid1(VALU_DEP_3)
	v_add_nc_u64_e32 v[2:3], v[2:3], v[6:7]
	s_wait_dscnt 0x0
	v_cmp_gt_i32_e32 vcc_lo, v4, v14
	v_cndmask_b32_e64 v6, 0, 1, vcc_lo
	v_add_nc_u64_e32 v[2:3], v[2:3], v[8:9]
	v_cmp_gt_i32_e32 vcc_lo, v4, v15
	v_cndmask_b32_e64 v8, 0, 1, vcc_lo
	s_delay_alu instid0(VALU_DEP_3) | instskip(NEXT) | instid1(VALU_DEP_1)
	v_add_nc_u64_e32 v[2:3], v[2:3], v[6:7]
	v_add_nc_u64_e32 v[2:3], v[2:3], v[8:9]
	s_cbranch_scc0 .LBB227_65
; %bb.66:                               ;   in Loop: Header=BB227_63 Depth=1
	s_mov_b32 s8, s5
.LBB227_67:                             ;   in Loop: Header=BB227_63 Depth=1
	s_and_not1_b32 vcc_lo, exec_lo, s6
	s_cbranch_vccnz .LBB227_62
; %bb.68:                               ;   in Loop: Header=BB227_63 Depth=1
	s_lshl_b32 s8, s8, 2
	s_mov_b32 s9, s2
	s_add_co_i32 s8, s8, 0
.LBB227_69:                             ;   Parent Loop BB227_63 Depth=1
                                        ; =>  This Inner Loop Header: Depth=2
	s_delay_alu instid0(SALU_CYCLE_1)
	v_dual_mov_b32 v5, s8 :: v_dual_mov_b32 v7, s23
	s_add_co_i32 s9, s9, -1
	s_add_co_i32 s8, s8, 4
	s_cmp_lg_u32 s9, 0
	ds_load_b32 v5, v5
	s_wait_dscnt 0x0
	v_cmp_gt_i32_e32 vcc_lo, v4, v5
	v_cndmask_b32_e64 v6, 0, 1, vcc_lo
	s_delay_alu instid0(VALU_DEP_1)
	v_add_nc_u64_e32 v[2:3], v[2:3], v[6:7]
	s_cbranch_scc1 .LBB227_69
	s_branch .LBB227_62
.LBB227_70:
	s_endpgm
	.section	.rodata,"a",@progbits
	.p2align	6, 0x0
	.amdhsa_kernel _ZN9rocsparseL41csrgemm_numeric_fill_block_per_row_kernelILj512ELj32ELj1024ELj137ELj64Eli21rocsparse_complex_numIdEEEvT5_PKS3_S5_NS_24const_host_device_scalarIT6_EEPKT4_S5_PKS7_SB_S5_SD_S8_SB_S5_SD_SB_S5_PS7_21rocsparse_index_base_SF_SF_SF_bbb
		.amdhsa_group_segment_fixed_size 0
		.amdhsa_private_segment_fixed_size 40
		.amdhsa_kernarg_size 172
		.amdhsa_user_sgpr_count 2
		.amdhsa_user_sgpr_dispatch_ptr 0
		.amdhsa_user_sgpr_queue_ptr 0
		.amdhsa_user_sgpr_kernarg_segment_ptr 1
		.amdhsa_user_sgpr_dispatch_id 0
		.amdhsa_user_sgpr_kernarg_preload_length 0
		.amdhsa_user_sgpr_kernarg_preload_offset 0
		.amdhsa_user_sgpr_private_segment_size 0
		.amdhsa_wavefront_size32 1
		.amdhsa_uses_dynamic_stack 0
		.amdhsa_enable_private_segment 1
		.amdhsa_system_sgpr_workgroup_id_x 1
		.amdhsa_system_sgpr_workgroup_id_y 0
		.amdhsa_system_sgpr_workgroup_id_z 0
		.amdhsa_system_sgpr_workgroup_info 0
		.amdhsa_system_vgpr_workitem_id 0
		.amdhsa_next_free_vgpr 33
		.amdhsa_next_free_sgpr 44
		.amdhsa_named_barrier_count 0
		.amdhsa_reserve_vcc 1
		.amdhsa_float_round_mode_32 0
		.amdhsa_float_round_mode_16_64 0
		.amdhsa_float_denorm_mode_32 3
		.amdhsa_float_denorm_mode_16_64 3
		.amdhsa_fp16_overflow 0
		.amdhsa_memory_ordered 1
		.amdhsa_forward_progress 1
		.amdhsa_inst_pref_size 25
		.amdhsa_round_robin_scheduling 0
		.amdhsa_exception_fp_ieee_invalid_op 0
		.amdhsa_exception_fp_denorm_src 0
		.amdhsa_exception_fp_ieee_div_zero 0
		.amdhsa_exception_fp_ieee_overflow 0
		.amdhsa_exception_fp_ieee_underflow 0
		.amdhsa_exception_fp_ieee_inexact 0
		.amdhsa_exception_int_div_zero 0
	.end_amdhsa_kernel
	.section	.text._ZN9rocsparseL41csrgemm_numeric_fill_block_per_row_kernelILj512ELj32ELj1024ELj137ELj64Eli21rocsparse_complex_numIdEEEvT5_PKS3_S5_NS_24const_host_device_scalarIT6_EEPKT4_S5_PKS7_SB_S5_SD_S8_SB_S5_SD_SB_S5_PS7_21rocsparse_index_base_SF_SF_SF_bbb,"axG",@progbits,_ZN9rocsparseL41csrgemm_numeric_fill_block_per_row_kernelILj512ELj32ELj1024ELj137ELj64Eli21rocsparse_complex_numIdEEEvT5_PKS3_S5_NS_24const_host_device_scalarIT6_EEPKT4_S5_PKS7_SB_S5_SD_S8_SB_S5_SD_SB_S5_PS7_21rocsparse_index_base_SF_SF_SF_bbb,comdat
.Lfunc_end227:
	.size	_ZN9rocsparseL41csrgemm_numeric_fill_block_per_row_kernelILj512ELj32ELj1024ELj137ELj64Eli21rocsparse_complex_numIdEEEvT5_PKS3_S5_NS_24const_host_device_scalarIT6_EEPKT4_S5_PKS7_SB_S5_SD_S8_SB_S5_SD_SB_S5_PS7_21rocsparse_index_base_SF_SF_SF_bbb, .Lfunc_end227-_ZN9rocsparseL41csrgemm_numeric_fill_block_per_row_kernelILj512ELj32ELj1024ELj137ELj64Eli21rocsparse_complex_numIdEEEvT5_PKS3_S5_NS_24const_host_device_scalarIT6_EEPKT4_S5_PKS7_SB_S5_SD_S8_SB_S5_SD_SB_S5_PS7_21rocsparse_index_base_SF_SF_SF_bbb
                                        ; -- End function
	.set _ZN9rocsparseL41csrgemm_numeric_fill_block_per_row_kernelILj512ELj32ELj1024ELj137ELj64Eli21rocsparse_complex_numIdEEEvT5_PKS3_S5_NS_24const_host_device_scalarIT6_EEPKT4_S5_PKS7_SB_S5_SD_S8_SB_S5_SD_SB_S5_PS7_21rocsparse_index_base_SF_SF_SF_bbb.num_vgpr, 33
	.set _ZN9rocsparseL41csrgemm_numeric_fill_block_per_row_kernelILj512ELj32ELj1024ELj137ELj64Eli21rocsparse_complex_numIdEEEvT5_PKS3_S5_NS_24const_host_device_scalarIT6_EEPKT4_S5_PKS7_SB_S5_SD_S8_SB_S5_SD_SB_S5_PS7_21rocsparse_index_base_SF_SF_SF_bbb.num_agpr, 0
	.set _ZN9rocsparseL41csrgemm_numeric_fill_block_per_row_kernelILj512ELj32ELj1024ELj137ELj64Eli21rocsparse_complex_numIdEEEvT5_PKS3_S5_NS_24const_host_device_scalarIT6_EEPKT4_S5_PKS7_SB_S5_SD_S8_SB_S5_SD_SB_S5_PS7_21rocsparse_index_base_SF_SF_SF_bbb.numbered_sgpr, 44
	.set _ZN9rocsparseL41csrgemm_numeric_fill_block_per_row_kernelILj512ELj32ELj1024ELj137ELj64Eli21rocsparse_complex_numIdEEEvT5_PKS3_S5_NS_24const_host_device_scalarIT6_EEPKT4_S5_PKS7_SB_S5_SD_S8_SB_S5_SD_SB_S5_PS7_21rocsparse_index_base_SF_SF_SF_bbb.num_named_barrier, 0
	.set _ZN9rocsparseL41csrgemm_numeric_fill_block_per_row_kernelILj512ELj32ELj1024ELj137ELj64Eli21rocsparse_complex_numIdEEEvT5_PKS3_S5_NS_24const_host_device_scalarIT6_EEPKT4_S5_PKS7_SB_S5_SD_S8_SB_S5_SD_SB_S5_PS7_21rocsparse_index_base_SF_SF_SF_bbb.private_seg_size, 40
	.set _ZN9rocsparseL41csrgemm_numeric_fill_block_per_row_kernelILj512ELj32ELj1024ELj137ELj64Eli21rocsparse_complex_numIdEEEvT5_PKS3_S5_NS_24const_host_device_scalarIT6_EEPKT4_S5_PKS7_SB_S5_SD_S8_SB_S5_SD_SB_S5_PS7_21rocsparse_index_base_SF_SF_SF_bbb.uses_vcc, 1
	.set _ZN9rocsparseL41csrgemm_numeric_fill_block_per_row_kernelILj512ELj32ELj1024ELj137ELj64Eli21rocsparse_complex_numIdEEEvT5_PKS3_S5_NS_24const_host_device_scalarIT6_EEPKT4_S5_PKS7_SB_S5_SD_S8_SB_S5_SD_SB_S5_PS7_21rocsparse_index_base_SF_SF_SF_bbb.uses_flat_scratch, 1
	.set _ZN9rocsparseL41csrgemm_numeric_fill_block_per_row_kernelILj512ELj32ELj1024ELj137ELj64Eli21rocsparse_complex_numIdEEEvT5_PKS3_S5_NS_24const_host_device_scalarIT6_EEPKT4_S5_PKS7_SB_S5_SD_S8_SB_S5_SD_SB_S5_PS7_21rocsparse_index_base_SF_SF_SF_bbb.has_dyn_sized_stack, 0
	.set _ZN9rocsparseL41csrgemm_numeric_fill_block_per_row_kernelILj512ELj32ELj1024ELj137ELj64Eli21rocsparse_complex_numIdEEEvT5_PKS3_S5_NS_24const_host_device_scalarIT6_EEPKT4_S5_PKS7_SB_S5_SD_S8_SB_S5_SD_SB_S5_PS7_21rocsparse_index_base_SF_SF_SF_bbb.has_recursion, 0
	.set _ZN9rocsparseL41csrgemm_numeric_fill_block_per_row_kernelILj512ELj32ELj1024ELj137ELj64Eli21rocsparse_complex_numIdEEEvT5_PKS3_S5_NS_24const_host_device_scalarIT6_EEPKT4_S5_PKS7_SB_S5_SD_S8_SB_S5_SD_SB_S5_PS7_21rocsparse_index_base_SF_SF_SF_bbb.has_indirect_call, 0
	.section	.AMDGPU.csdata,"",@progbits
; Kernel info:
; codeLenInByte = 3124
; TotalNumSgprs: 46
; NumVgprs: 33
; ScratchSize: 40
; MemoryBound: 0
; FloatMode: 240
; IeeeMode: 1
; LDSByteSize: 0 bytes/workgroup (compile time only)
; SGPRBlocks: 0
; VGPRBlocks: 2
; NumSGPRsForWavesPerEU: 46
; NumVGPRsForWavesPerEU: 33
; NamedBarCnt: 0
; Occupancy: 16
; WaveLimiterHint : 1
; COMPUTE_PGM_RSRC2:SCRATCH_EN: 1
; COMPUTE_PGM_RSRC2:USER_SGPR: 2
; COMPUTE_PGM_RSRC2:TRAP_HANDLER: 0
; COMPUTE_PGM_RSRC2:TGID_X_EN: 1
; COMPUTE_PGM_RSRC2:TGID_Y_EN: 0
; COMPUTE_PGM_RSRC2:TGID_Z_EN: 0
; COMPUTE_PGM_RSRC2:TIDIG_COMP_CNT: 0
	.section	.text._ZN9rocsparseL41csrgemm_numeric_fill_block_per_row_kernelILj1024ELj32ELj2048ELj137ELj32Eli21rocsparse_complex_numIdEEEvT5_PKS3_S5_NS_24const_host_device_scalarIT6_EEPKT4_S5_PKS7_SB_S5_SD_S8_SB_S5_SD_SB_S5_PS7_21rocsparse_index_base_SF_SF_SF_bbb,"axG",@progbits,_ZN9rocsparseL41csrgemm_numeric_fill_block_per_row_kernelILj1024ELj32ELj2048ELj137ELj32Eli21rocsparse_complex_numIdEEEvT5_PKS3_S5_NS_24const_host_device_scalarIT6_EEPKT4_S5_PKS7_SB_S5_SD_S8_SB_S5_SD_SB_S5_PS7_21rocsparse_index_base_SF_SF_SF_bbb,comdat
	.globl	_ZN9rocsparseL41csrgemm_numeric_fill_block_per_row_kernelILj1024ELj32ELj2048ELj137ELj32Eli21rocsparse_complex_numIdEEEvT5_PKS3_S5_NS_24const_host_device_scalarIT6_EEPKT4_S5_PKS7_SB_S5_SD_S8_SB_S5_SD_SB_S5_PS7_21rocsparse_index_base_SF_SF_SF_bbb ; -- Begin function _ZN9rocsparseL41csrgemm_numeric_fill_block_per_row_kernelILj1024ELj32ELj2048ELj137ELj32Eli21rocsparse_complex_numIdEEEvT5_PKS3_S5_NS_24const_host_device_scalarIT6_EEPKT4_S5_PKS7_SB_S5_SD_S8_SB_S5_SD_SB_S5_PS7_21rocsparse_index_base_SF_SF_SF_bbb
	.p2align	8
	.type	_ZN9rocsparseL41csrgemm_numeric_fill_block_per_row_kernelILj1024ELj32ELj2048ELj137ELj32Eli21rocsparse_complex_numIdEEEvT5_PKS3_S5_NS_24const_host_device_scalarIT6_EEPKT4_S5_PKS7_SB_S5_SD_S8_SB_S5_SD_SB_S5_PS7_21rocsparse_index_base_SF_SF_SF_bbb,@function
_ZN9rocsparseL41csrgemm_numeric_fill_block_per_row_kernelILj1024ELj32ELj2048ELj137ELj32Eli21rocsparse_complex_numIdEEEvT5_PKS3_S5_NS_24const_host_device_scalarIT6_EEPKT4_S5_PKS7_SB_S5_SD_S8_SB_S5_SD_SB_S5_PS7_21rocsparse_index_base_SF_SF_SF_bbb: ; @_ZN9rocsparseL41csrgemm_numeric_fill_block_per_row_kernelILj1024ELj32ELj2048ELj137ELj32Eli21rocsparse_complex_numIdEEEvT5_PKS3_S5_NS_24const_host_device_scalarIT6_EEPKT4_S5_PKS7_SB_S5_SD_S8_SB_S5_SD_SB_S5_PS7_21rocsparse_index_base_SF_SF_SF_bbb
; %bb.0:
	s_clause 0x3
	s_load_b32 s12, s[0:1], 0xa8
	s_load_b128 s[8:11], s[0:1], 0x18
	s_load_b128 s[4:7], s[0:1], 0x58
	s_load_b128 s[44:47], s[0:1], 0x98
	v_mov_b64_e32 v[6:7], 0
	v_mov_b64_e32 v[12:13], 0
	v_mov_b64_e32 v[14:15], 0
	v_mbcnt_lo_u32_b32 v31, -1, 0
	s_wait_kmcnt 0x0
	s_bitcmp1_b32 s12, 0
	v_mov_b64_e32 v[2:3], s[8:9]
	s_cselect_b32 s3, -1, 0
	s_bitcmp1_b32 s12, 16
	v_mov_b64_e32 v[4:5], s[4:5]
	s_cselect_b32 s2, -1, 0
	s_clause 0x1
	scratch_store_b64 off, v[2:3], off offset:16
	scratch_store_b64 off, v[4:5], off offset:24
	s_xor_b32 s13, s2, -1
	s_bitcmp0_b32 s12, 0
	v_cndmask_b32_e64 v1, 0, 1, s13
	s_delay_alu instid0(VALU_DEP_1)
	v_cmp_ne_u32_e32 vcc_lo, 1, v1
	s_cbranch_scc1 .LBB228_3
; %bb.1:
	s_wait_xcnt 0x1
	v_dual_mov_b32 v2, 16 :: v_dual_lshlrev_b32 v3, 20, v31
	v_mov_b64_e32 v[14:15], s[10:11]
	s_and_b32 vcc_lo, exec_lo, vcc_lo
	s_delay_alu instid0(VALU_DEP_2) | instskip(NEXT) | instid1(VALU_DEP_1)
	v_add_nc_u64_e32 v[2:3], src_flat_scratch_base_lo, v[2:3]
	v_cndmask_b32_e64 v3, s9, v3, s2
	s_delay_alu instid0(VALU_DEP_2)
	v_cndmask_b32_e64 v2, s8, v2, s2
	flat_load_b64 v[12:13], v[2:3]
	s_cbranch_vccnz .LBB228_3
; %bb.2:
	v_mov_b32_e32 v1, 0
	flat_load_b64 v[14:15], v1, s[8:9] offset:8
.LBB228_3:
	s_load_b128 s[16:19], s[0:1], 0x8
	v_mov_b64_e32 v[8:9], 0
	s_bitcmp1_b32 s12, 8
	s_cselect_b32 s20, -1, 0
	s_bfe_u32 s8, s12, 0x10008
	s_delay_alu instid0(SALU_CYCLE_1)
	s_cmp_eq_u32 s8, 0
	s_cbranch_scc1 .LBB228_6
; %bb.4:
	v_dual_mov_b32 v2, 24 :: v_dual_lshlrev_b32 v3, 20, v31
	v_mov_b64_e32 v[6:7], s[6:7]
	s_and_not1_b32 vcc_lo, exec_lo, s13
	s_delay_alu instid0(VALU_DEP_2) | instskip(NEXT) | instid1(VALU_DEP_1)
	v_add_nc_u64_e32 v[2:3], src_flat_scratch_base_lo, v[2:3]
	v_cndmask_b32_e64 v3, s5, v3, s2
	s_delay_alu instid0(VALU_DEP_2)
	v_cndmask_b32_e64 v2, s4, v2, s2
	flat_load_b64 v[8:9], v[2:3]
	s_cbranch_vccnz .LBB228_6
; %bb.5:
	v_mov_b32_e32 v1, 0
	flat_load_b64 v[6:7], v1, s[4:5] offset:8
.LBB228_6:
	s_clause 0x4
	s_load_b32 s33, s[0:1], 0x0
	s_load_b64 s[34:35], s[0:1], 0x90
	s_load_b256 s[36:43], s[0:1], 0x68
	s_load_b128 s[12:15], s[0:1], 0x48
	s_load_b256 s[4:11], s[0:1], 0x28
	v_or_b32_e32 v28, 0xfffffc00, v0
	v_lshlrev_b32_e32 v1, 4, v0
	s_wait_xcnt 0x0
	s_mov_b32 s0, 0
	v_lshl_add_u32 v29, v0, 2, 0
	s_mov_b32 s1, s0
	v_mov_b32_e32 v10, v28
	v_add3_u32 v30, v1, 0, 0x2000
	s_mov_b32 s22, s0
	s_mov_b32 s23, s0
	v_mov_b64_e32 v[2:3], s[0:1]
	v_mov_b64_e32 v[4:5], s[22:23]
	v_dual_mov_b32 v1, v29 :: v_dual_mov_b32 v16, v30
	s_wait_kmcnt 0x0
	v_mov_b32_e32 v11, s33
.LBB228_7:                              ; =>This Inner Loop Header: Depth=1
	v_add_co_u32 v10, s1, 0x400, v10
	s_xor_b32 s1, s1, -1
	ds_store_b32 v1, v11
	ds_store_2addr_b64 v16, v[2:3], v[4:5] offset1:1
	v_add_nc_u32_e32 v16, 0x4000, v16
	v_add_nc_u32_e32 v1, 0x1000, v1
	s_and_b32 s1, exec_lo, s1
	s_delay_alu instid0(SALU_CYCLE_1) | instskip(NEXT) | instid1(SALU_CYCLE_1)
	s_or_b32 s0, s1, s0
	s_and_not1_b32 exec_lo, exec_lo, s0
	s_cbranch_execnz .LBB228_7
; %bb.8:
	s_or_b32 exec_lo, exec_lo, s0
	s_wait_storecnt 0x0
	s_wait_loadcnt_dscnt 0x0
	s_barrier_signal -1
	s_barrier_wait -1
	s_load_b32 s0, s[16:17], 0x0
	s_bfe_u32 s1, ttmp6, 0x4000c
	s_and_b32 s2, ttmp6, 15
	s_add_co_i32 s1, s1, 1
	s_wait_xcnt 0x0
	s_getreg_b32 s16, hwreg(HW_REG_IB_STS2, 6, 4)
	s_mul_i32 s1, ttmp9, s1
	v_lshrrev_b32_e32 v10, 5, v0
	s_add_co_i32 s2, s2, s1
	s_cmp_eq_u32 s16, 0
	s_cselect_b32 s1, ttmp9, s2
	s_and_b32 vcc_lo, exec_lo, s3
	s_wait_kmcnt 0x0
	s_add_co_i32 s0, s0, s1
	s_mov_b32 s1, 0
	s_load_b32 s48, s[18:19], s0 offset:0x0 scale_offset
	s_cbranch_vccz .LBB228_26
; %bb.9:
	s_wait_kmcnt 0x0
	s_ashr_i32 s49, s48, 31
	v_mov_b32_e32 v11, 0
	s_lshl_b64 s[2:3], s[48:49], 3
	s_mov_b32 s0, s44
	s_add_nc_u64 s[2:3], s[4:5], s[2:3]
	s_mov_b32 s4, exec_lo
	s_load_b128 s[16:19], s[2:3], 0x0
	v_sub_nc_u64_e64 v[2:3], v[10:11], s[0:1]
	s_wait_kmcnt 0x0
	s_delay_alu instid0(VALU_DEP_1)
	v_add_nc_u64_e32 v[16:17], s[16:17], v[2:3]
	s_sub_nc_u64 s[0:1], s[18:19], s[0:1]
	s_delay_alu instid0(VALU_DEP_1) | instid1(SALU_CYCLE_1)
	v_cmpx_gt_i64_e64 s[0:1], v[16:17]
	s_cbranch_execz .LBB228_25
; %bb.10:
	v_dual_mov_b32 v3, v11 :: v_dual_bitop2_b32 v2, 31, v0 bitop3:0x40
	s_mov_b32 s3, 0
	s_mov_b32 s2, s45
	;; [unrolled: 1-line block ×3, first 2 shown]
	s_delay_alu instid0(VALU_DEP_1)
	v_sub_nc_u64_e64 v[18:19], v[2:3], s[2:3]
	s_branch .LBB228_12
.LBB228_11:                             ;   in Loop: Header=BB228_12 Depth=1
	s_or_b32 exec_lo, exec_lo, s16
	v_add_nc_u64_e32 v[16:17], 32, v[16:17]
	s_delay_alu instid0(VALU_DEP_1) | instskip(SKIP_1) | instid1(SALU_CYCLE_1)
	v_cmp_le_i64_e32 vcc_lo, s[0:1], v[16:17]
	s_or_b32 s5, vcc_lo, s5
	s_and_not1_b32 exec_lo, exec_lo, s5
	s_cbranch_execz .LBB228_25
.LBB228_12:                             ; =>This Loop Header: Depth=1
                                        ;     Child Loop BB228_16 Depth 2
                                        ;       Child Loop BB228_19 Depth 3
	v_lshl_add_u64 v[2:3], v[16:17], 2, s[6:7]
	s_mov_b32 s16, exec_lo
	global_load_b32 v1, v[2:3], off
	s_wait_loadcnt 0x0
	s_wait_xcnt 0x0
	v_subrev_nc_u32_e32 v2, s44, v1
	s_delay_alu instid0(VALU_DEP_1) | instskip(NEXT) | instid1(VALU_DEP_1)
	v_ashrrev_i32_e32 v3, 31, v2
	v_lshl_add_u64 v[2:3], v[2:3], 3, s[10:11]
	global_load_b128 v[2:5], v[2:3], off
	s_wait_loadcnt 0x0
	v_sub_nc_u64_e64 v[20:21], v[4:5], s[2:3]
	v_add_nc_u64_e32 v[22:23], v[2:3], v[18:19]
	s_wait_xcnt 0x0
	s_delay_alu instid0(VALU_DEP_1)
	v_cmpx_lt_i64_e64 v[22:23], v[20:21]
	s_cbranch_execz .LBB228_11
; %bb.13:                               ;   in Loop: Header=BB228_12 Depth=1
	v_lshl_add_u64 v[2:3], v[16:17], 4, s[8:9]
	s_mov_b32 s17, 0
	global_load_b128 v[2:5], v[2:3], off
	s_wait_loadcnt 0x0
	v_mul_f64_e64 v[24:25], v[4:5], -v[14:15]
	v_mul_f64_e32 v[26:27], v[12:13], v[4:5]
	s_delay_alu instid0(VALU_DEP_2) | instskip(NEXT) | instid1(VALU_DEP_2)
	v_fmac_f64_e32 v[24:25], v[12:13], v[2:3]
	v_fmac_f64_e32 v[26:27], v[14:15], v[2:3]
	s_branch .LBB228_16
.LBB228_14:                             ;   in Loop: Header=BB228_16 Depth=2
	s_or_b32 exec_lo, exec_lo, s19
.LBB228_15:                             ;   in Loop: Header=BB228_16 Depth=2
	s_delay_alu instid0(SALU_CYCLE_1)
	s_or_b32 exec_lo, exec_lo, s18
	s_wait_loadcnt 0x0
	v_mul_f64_e64 v[32:33], v[4:5], -v[26:27]
	v_mul_f64_e32 v[4:5], v[24:25], v[4:5]
	v_lshl_add_u32 v1, v1, 4, 0
	v_add_nc_u64_e32 v[22:23], 32, v[22:23]
	s_delay_alu instid0(VALU_DEP_1)
	v_cmp_ge_i64_e32 vcc_lo, v[22:23], v[20:21]
	s_or_b32 s17, vcc_lo, s17
	v_fmac_f64_e32 v[32:33], v[24:25], v[2:3]
	v_fmac_f64_e32 v[4:5], v[26:27], v[2:3]
	ds_add_f64 v1, v[32:33] offset:8192
	ds_add_f64 v1, v[4:5] offset:8200
	s_and_not1_b32 exec_lo, exec_lo, s17
	s_cbranch_execz .LBB228_11
.LBB228_16:                             ;   Parent Loop BB228_12 Depth=1
                                        ; =>  This Loop Header: Depth=2
                                        ;       Child Loop BB228_19 Depth 3
	s_wait_xcnt 0x0
	v_lshl_add_u64 v[2:3], v[22:23], 2, s[12:13]
	s_mov_b32 s18, exec_lo
	global_load_b32 v1, v[2:3], off
	s_wait_xcnt 0x0
	v_lshl_add_u64 v[2:3], v[22:23], 4, s[14:15]
	global_load_b128 v[2:5], v[2:3], off
	s_wait_loadcnt 0x1
	v_subrev_nc_u32_e32 v11, s45, v1
	s_delay_alu instid0(VALU_DEP_1) | instskip(NEXT) | instid1(VALU_DEP_1)
	v_mul_lo_u32 v1, 0x89, v11
	v_and_b32_e32 v1, 0x7ff, v1
	s_delay_alu instid0(VALU_DEP_1)
	v_lshl_add_u32 v32, v1, 2, 0
	ds_load_b32 v33, v32
	s_wait_dscnt 0x0
	s_wait_xcnt 0x0
	v_cmpx_ne_u32_e64 v33, v11
	s_cbranch_execz .LBB228_15
; %bb.17:                               ;   in Loop: Header=BB228_16 Depth=2
	s_mov_b32 s19, 0
	s_branch .LBB228_19
.LBB228_18:                             ;   in Loop: Header=BB228_19 Depth=3
	s_or_b32 exec_lo, exec_lo, s23
	s_delay_alu instid0(SALU_CYCLE_1) | instskip(NEXT) | instid1(SALU_CYCLE_1)
	s_and_b32 s21, exec_lo, s22
	s_or_b32 s19, s21, s19
	s_delay_alu instid0(SALU_CYCLE_1)
	s_and_not1_b32 exec_lo, exec_lo, s19
	s_cbranch_execz .LBB228_14
.LBB228_19:                             ;   Parent Loop BB228_12 Depth=1
                                        ;     Parent Loop BB228_16 Depth=2
                                        ; =>    This Inner Loop Header: Depth=3
	s_mov_b32 s21, 0
	s_mov_b32 s22, exec_lo
	v_cmpx_ne_u32_e64 s33, v33
	s_xor_b32 s22, exec_lo, s22
	s_cbranch_execz .LBB228_21
; %bb.20:                               ;   in Loop: Header=BB228_19 Depth=3
	v_add_nc_u32_e32 v1, 1, v1
	s_mov_b32 s21, exec_lo
                                        ; implicit-def: $vgpr32
	s_delay_alu instid0(VALU_DEP_1)
	v_and_b32_e32 v1, 0x7ff, v1
	s_and_not1_saveexec_b32 s22, s22
	s_cbranch_execz .LBB228_23
	s_branch .LBB228_22
.LBB228_21:                             ;   in Loop: Header=BB228_19 Depth=3
	s_and_not1_saveexec_b32 s22, s22
	s_cbranch_execz .LBB228_23
.LBB228_22:                             ;   in Loop: Header=BB228_19 Depth=3
	v_mov_b32_e32 v33, s33
	s_and_not1_b32 s21, s21, exec_lo
	ds_cmpstore_rtn_b32 v32, v32, v11, v33
	s_wait_dscnt 0x0
	v_cmp_ne_u32_e32 vcc_lo, s33, v32
	s_and_b32 s23, vcc_lo, exec_lo
	s_delay_alu instid0(SALU_CYCLE_1)
	s_or_b32 s21, s21, s23
.LBB228_23:                             ;   in Loop: Header=BB228_19 Depth=3
	s_or_b32 exec_lo, exec_lo, s22
	s_mov_b32 s22, -1
                                        ; implicit-def: $vgpr32
                                        ; implicit-def: $vgpr33
	s_and_saveexec_b32 s23, s21
	s_cbranch_execz .LBB228_18
; %bb.24:                               ;   in Loop: Header=BB228_19 Depth=3
	v_lshl_add_u32 v32, v1, 2, 0
	ds_load_b32 v33, v32
	s_wait_dscnt 0x0
	v_cmp_eq_u32_e32 vcc_lo, v33, v11
	s_or_not1_b32 s22, vcc_lo, exec_lo
	s_branch .LBB228_18
.LBB228_25:
	s_or_b32 exec_lo, exec_lo, s4
.LBB228_26:
	s_delay_alu instid0(SALU_CYCLE_1)
	s_and_not1_b32 vcc_lo, exec_lo, s20
	s_cbranch_vccnz .LBB228_29
; %bb.27:
	s_wait_kmcnt 0x0
	s_ashr_i32 s49, s48, 31
	v_mov_b32_e32 v1, 0
	s_lshl_b64 s[0:1], s[48:49], 3
	s_delay_alu instid0(SALU_CYCLE_1) | instskip(SKIP_4) | instid1(SALU_CYCLE_1)
	s_add_nc_u64 s[0:1], s[36:37], s[0:1]
	s_load_b128 s[4:7], s[0:1], 0x0
	s_wait_xcnt 0x0
	s_mov_b32 s1, 0
	s_mov_b32 s0, s47
	v_sub_nc_u64_e64 v[2:3], v[0:1], s[0:1]
	s_wait_kmcnt 0x0
	s_delay_alu instid0(VALU_DEP_1) | instskip(SKIP_2) | instid1(VALU_DEP_1)
	v_add_nc_u64_e32 v[12:13], s[4:5], v[2:3]
	s_sub_nc_u64 s[2:3], s[6:7], s[0:1]
	s_mov_b32 s0, exec_lo
	v_cmpx_gt_i64_e64 s[2:3], v[12:13]
	s_cbranch_execnz .LBB228_99
.LBB228_28:
	s_or_b32 exec_lo, exec_lo, s0
.LBB228_29:
	v_dual_mov_b32 v1, 0 :: v_dual_bitop2_b32 v2, 31, v31 bitop3:0x14
	v_lshl_add_u32 v3, v10, 2, 0
	s_wait_xcnt 0x0
	v_cmp_lt_u32_e64 s0, 31, v0
	v_cmp_lt_u32_e64 s1, 63, v0
	v_lshrrev_b32_e64 v2, v2, -1
	v_cmp_lt_u32_e64 s2, 0x5f, v0
	v_cmp_lt_u32_e64 s3, 0x7f, v0
	v_cmp_lt_u32_e64 s4, 0x9f, v0
	v_cmp_lt_u32_e64 s5, 0xbf, v0
	v_cmp_lt_u32_e64 s6, 0xdf, v0
	v_cmp_lt_u32_e64 s7, 0xff, v0
	v_cmp_lt_u32_e64 s8, 0x11f, v0
	v_cmp_lt_u32_e64 s9, 0x13f, v0
	v_cmp_lt_u32_e64 s10, 0x15f, v0
	v_cmp_lt_u32_e64 s11, 0x17f, v0
	v_cmp_lt_u32_e64 s12, 0x19f, v0
	v_cmp_lt_u32_e64 s13, 0x1bf, v0
	v_cmp_lt_u32_e64 s14, 0x1df, v0
	v_cmp_lt_u32_e64 s15, 0x1ff, v0
	v_cmp_lt_u32_e64 s16, 0x21f, v0
	v_cmp_lt_u32_e64 s17, 0x23f, v0
	v_cmp_lt_u32_e64 s18, 0x25f, v0
	v_cmp_lt_u32_e64 s19, 0x27f, v0
	v_cmp_lt_u32_e64 s20, 0x29f, v0
	v_cmp_lt_u32_e64 s21, 0x2bf, v0
	v_cmp_lt_u32_e64 s22, 0x2df, v0
	v_cmp_lt_u32_e64 s23, 0x2ff, v0
	v_cmp_lt_u32_e64 s24, 0x31f, v0
	v_cmp_lt_u32_e64 s25, 0x33f, v0
	v_cmp_lt_u32_e64 s26, 0x35f, v0
	v_cmp_lt_u32_e64 s27, 0x37f, v0
	v_cmp_lt_u32_e64 s28, 0x39f, v0
	v_cmp_lt_u32_e64 s29, 0x3bf, v0
	v_cmp_lt_u32_e64 s30, 0x3df, v0
	v_mov_b32_e32 v4, 0
	s_mov_b32 s36, 0
	s_wait_dscnt 0x0
	v_cmp_eq_u32_e32 vcc_lo, 0x3ff, v0
	s_barrier_signal -1
	s_barrier_wait -1
	s_branch .LBB228_31
.LBB228_30:                             ;   in Loop: Header=BB228_31 Depth=1
	s_or_b32 exec_lo, exec_lo, s31
	s_wait_dscnt 0x0
	s_barrier_signal -1
	s_barrier_wait -1
	ds_load_b32 v5, v1 offset:41084
	v_add_co_u32 v28, s31, 0x400, v28
	s_xor_b32 s31, s31, -1
	v_add_nc_u32_e32 v30, 0x4000, v30
	v_add_nc_u32_e32 v29, 0x1000, v29
	s_and_b32 s31, exec_lo, s31
	s_delay_alu instid0(SALU_CYCLE_1)
	s_or_b32 s36, s31, s36
	s_wait_dscnt 0x0
	v_add_nc_u32_e32 v4, v5, v4
	s_and_not1_b32 exec_lo, exec_lo, s36
	s_cbranch_execz .LBB228_108
.LBB228_31:                             ; =>This Inner Loop Header: Depth=1
	ds_load_b32 v5, v29
	ds_load_2addr_b64 v[6:9], v30 offset1:1
	s_wait_dscnt 0x1
	v_cmp_gt_i32_e64 s31, s33, v5
	s_wait_dscnt 0x0
	scratch_store_b128 off, v[6:9], off
	s_wait_storecnt 0x0
	s_barrier_signal -1
	s_barrier_wait -1
	s_bcnt1_i32_b32 s37, s31
	s_wait_xcnt 0x0
	v_dual_mov_b32 v7, s37 :: v_dual_bitop2_b32 v6, s31, v2 bitop3:0x40
	s_delay_alu instid0(VALU_DEP_1)
	v_bcnt_u32_b32 v6, v6, 0
	ds_store_b32 v3, v7 offset:40960
	s_wait_dscnt 0x0
	s_barrier_signal -1
	s_barrier_wait -1
	s_and_saveexec_b32 s37, s0
	s_cbranch_execz .LBB228_64
; %bb.32:                               ;   in Loop: Header=BB228_31 Depth=1
	ds_load_b32 v7, v1 offset:40960
	s_wait_dscnt 0x0
	v_add_nc_u32_e32 v6, v7, v6
	s_or_b32 exec_lo, exec_lo, s37
	s_and_saveexec_b32 s37, s1
	s_cbranch_execnz .LBB228_65
.LBB228_33:                             ;   in Loop: Header=BB228_31 Depth=1
	s_or_b32 exec_lo, exec_lo, s37
	s_and_saveexec_b32 s37, s2
	s_cbranch_execz .LBB228_66
.LBB228_34:                             ;   in Loop: Header=BB228_31 Depth=1
	ds_load_b32 v7, v1 offset:40968
	s_wait_dscnt 0x0
	v_add_nc_u32_e32 v6, v7, v6
	s_or_b32 exec_lo, exec_lo, s37
	s_and_saveexec_b32 s37, s3
	s_cbranch_execnz .LBB228_67
.LBB228_35:                             ;   in Loop: Header=BB228_31 Depth=1
	s_or_b32 exec_lo, exec_lo, s37
	s_and_saveexec_b32 s37, s4
	s_cbranch_execz .LBB228_68
.LBB228_36:                             ;   in Loop: Header=BB228_31 Depth=1
	ds_load_b32 v7, v1 offset:40976
	s_wait_dscnt 0x0
	v_add_nc_u32_e32 v6, v7, v6
	s_or_b32 exec_lo, exec_lo, s37
	s_and_saveexec_b32 s37, s5
	s_cbranch_execnz .LBB228_69
.LBB228_37:                             ;   in Loop: Header=BB228_31 Depth=1
	s_or_b32 exec_lo, exec_lo, s37
	s_and_saveexec_b32 s37, s6
	s_cbranch_execz .LBB228_70
.LBB228_38:                             ;   in Loop: Header=BB228_31 Depth=1
	ds_load_b32 v7, v1 offset:40984
	s_wait_dscnt 0x0
	v_add_nc_u32_e32 v6, v7, v6
	s_or_b32 exec_lo, exec_lo, s37
	s_and_saveexec_b32 s37, s7
	s_cbranch_execnz .LBB228_71
.LBB228_39:                             ;   in Loop: Header=BB228_31 Depth=1
	s_or_b32 exec_lo, exec_lo, s37
	s_and_saveexec_b32 s37, s8
	s_cbranch_execz .LBB228_72
.LBB228_40:                             ;   in Loop: Header=BB228_31 Depth=1
	ds_load_b32 v7, v1 offset:40992
	s_wait_dscnt 0x0
	v_add_nc_u32_e32 v6, v7, v6
	s_or_b32 exec_lo, exec_lo, s37
	s_and_saveexec_b32 s37, s9
	s_cbranch_execnz .LBB228_73
.LBB228_41:                             ;   in Loop: Header=BB228_31 Depth=1
	s_or_b32 exec_lo, exec_lo, s37
	s_and_saveexec_b32 s37, s10
	s_cbranch_execz .LBB228_74
.LBB228_42:                             ;   in Loop: Header=BB228_31 Depth=1
	ds_load_b32 v7, v1 offset:41000
	s_wait_dscnt 0x0
	v_add_nc_u32_e32 v6, v7, v6
	s_or_b32 exec_lo, exec_lo, s37
	s_and_saveexec_b32 s37, s11
	s_cbranch_execnz .LBB228_75
.LBB228_43:                             ;   in Loop: Header=BB228_31 Depth=1
	s_or_b32 exec_lo, exec_lo, s37
	s_and_saveexec_b32 s37, s12
	s_cbranch_execz .LBB228_76
.LBB228_44:                             ;   in Loop: Header=BB228_31 Depth=1
	ds_load_b32 v7, v1 offset:41008
	s_wait_dscnt 0x0
	v_add_nc_u32_e32 v6, v7, v6
	s_or_b32 exec_lo, exec_lo, s37
	s_and_saveexec_b32 s37, s13
	s_cbranch_execnz .LBB228_77
.LBB228_45:                             ;   in Loop: Header=BB228_31 Depth=1
	s_or_b32 exec_lo, exec_lo, s37
	s_and_saveexec_b32 s37, s14
	s_cbranch_execz .LBB228_78
.LBB228_46:                             ;   in Loop: Header=BB228_31 Depth=1
	ds_load_b32 v7, v1 offset:41016
	s_wait_dscnt 0x0
	v_add_nc_u32_e32 v6, v7, v6
	s_or_b32 exec_lo, exec_lo, s37
	s_and_saveexec_b32 s37, s15
	s_cbranch_execnz .LBB228_79
.LBB228_47:                             ;   in Loop: Header=BB228_31 Depth=1
	s_or_b32 exec_lo, exec_lo, s37
	s_and_saveexec_b32 s37, s16
	s_cbranch_execz .LBB228_80
.LBB228_48:                             ;   in Loop: Header=BB228_31 Depth=1
	ds_load_b32 v7, v1 offset:41024
	s_wait_dscnt 0x0
	v_add_nc_u32_e32 v6, v7, v6
	s_or_b32 exec_lo, exec_lo, s37
	s_and_saveexec_b32 s37, s17
	s_cbranch_execnz .LBB228_81
.LBB228_49:                             ;   in Loop: Header=BB228_31 Depth=1
	s_or_b32 exec_lo, exec_lo, s37
	s_and_saveexec_b32 s37, s18
	s_cbranch_execz .LBB228_82
.LBB228_50:                             ;   in Loop: Header=BB228_31 Depth=1
	ds_load_b32 v7, v1 offset:41032
	s_wait_dscnt 0x0
	v_add_nc_u32_e32 v6, v7, v6
	s_or_b32 exec_lo, exec_lo, s37
	s_and_saveexec_b32 s37, s19
	s_cbranch_execnz .LBB228_83
.LBB228_51:                             ;   in Loop: Header=BB228_31 Depth=1
	s_or_b32 exec_lo, exec_lo, s37
	s_and_saveexec_b32 s37, s20
	s_cbranch_execz .LBB228_84
.LBB228_52:                             ;   in Loop: Header=BB228_31 Depth=1
	ds_load_b32 v7, v1 offset:41040
	s_wait_dscnt 0x0
	v_add_nc_u32_e32 v6, v7, v6
	s_or_b32 exec_lo, exec_lo, s37
	s_and_saveexec_b32 s37, s21
	s_cbranch_execnz .LBB228_85
.LBB228_53:                             ;   in Loop: Header=BB228_31 Depth=1
	s_or_b32 exec_lo, exec_lo, s37
	s_and_saveexec_b32 s37, s22
	s_cbranch_execz .LBB228_86
.LBB228_54:                             ;   in Loop: Header=BB228_31 Depth=1
	ds_load_b32 v7, v1 offset:41048
	s_wait_dscnt 0x0
	v_add_nc_u32_e32 v6, v7, v6
	s_or_b32 exec_lo, exec_lo, s37
	s_and_saveexec_b32 s37, s23
	s_cbranch_execnz .LBB228_87
.LBB228_55:                             ;   in Loop: Header=BB228_31 Depth=1
	s_or_b32 exec_lo, exec_lo, s37
	s_and_saveexec_b32 s37, s24
	s_cbranch_execz .LBB228_88
.LBB228_56:                             ;   in Loop: Header=BB228_31 Depth=1
	ds_load_b32 v7, v1 offset:41056
	s_wait_dscnt 0x0
	v_add_nc_u32_e32 v6, v7, v6
	s_or_b32 exec_lo, exec_lo, s37
	s_and_saveexec_b32 s37, s25
	s_cbranch_execnz .LBB228_89
.LBB228_57:                             ;   in Loop: Header=BB228_31 Depth=1
	s_or_b32 exec_lo, exec_lo, s37
	s_and_saveexec_b32 s37, s26
	s_cbranch_execz .LBB228_90
.LBB228_58:                             ;   in Loop: Header=BB228_31 Depth=1
	ds_load_b32 v7, v1 offset:41064
	s_wait_dscnt 0x0
	v_add_nc_u32_e32 v6, v7, v6
	s_or_b32 exec_lo, exec_lo, s37
	s_and_saveexec_b32 s37, s27
	s_cbranch_execnz .LBB228_91
.LBB228_59:                             ;   in Loop: Header=BB228_31 Depth=1
	s_or_b32 exec_lo, exec_lo, s37
	s_and_saveexec_b32 s37, s28
	s_cbranch_execz .LBB228_92
.LBB228_60:                             ;   in Loop: Header=BB228_31 Depth=1
	ds_load_b32 v7, v1 offset:41072
	s_wait_dscnt 0x0
	v_add_nc_u32_e32 v6, v7, v6
	s_or_b32 exec_lo, exec_lo, s37
	s_and_saveexec_b32 s37, s29
	s_cbranch_execnz .LBB228_93
.LBB228_61:                             ;   in Loop: Header=BB228_31 Depth=1
	s_or_b32 exec_lo, exec_lo, s37
	s_and_saveexec_b32 s37, s30
	s_cbranch_execz .LBB228_94
.LBB228_62:                             ;   in Loop: Header=BB228_31 Depth=1
	ds_load_b32 v7, v1 offset:41080
	s_wait_dscnt 0x0
	v_add_nc_u32_e32 v6, v7, v6
	s_or_b32 exec_lo, exec_lo, s37
	s_and_saveexec_b32 s37, s31
	s_cbranch_execnz .LBB228_95
.LBB228_63:                             ;   in Loop: Header=BB228_31 Depth=1
	s_or_b32 exec_lo, exec_lo, s37
	s_and_saveexec_b32 s31, vcc_lo
	s_cbranch_execz .LBB228_30
	s_branch .LBB228_96
.LBB228_64:                             ;   in Loop: Header=BB228_31 Depth=1
	s_or_b32 exec_lo, exec_lo, s37
	s_and_saveexec_b32 s37, s1
	s_cbranch_execz .LBB228_33
.LBB228_65:                             ;   in Loop: Header=BB228_31 Depth=1
	ds_load_b32 v7, v1 offset:40964
	s_wait_dscnt 0x0
	v_add_nc_u32_e32 v6, v7, v6
	s_or_b32 exec_lo, exec_lo, s37
	s_and_saveexec_b32 s37, s2
	s_cbranch_execnz .LBB228_34
.LBB228_66:                             ;   in Loop: Header=BB228_31 Depth=1
	s_or_b32 exec_lo, exec_lo, s37
	s_and_saveexec_b32 s37, s3
	s_cbranch_execz .LBB228_35
.LBB228_67:                             ;   in Loop: Header=BB228_31 Depth=1
	ds_load_b32 v7, v1 offset:40972
	s_wait_dscnt 0x0
	v_add_nc_u32_e32 v6, v7, v6
	s_or_b32 exec_lo, exec_lo, s37
	s_and_saveexec_b32 s37, s4
	s_cbranch_execnz .LBB228_36
.LBB228_68:                             ;   in Loop: Header=BB228_31 Depth=1
	s_or_b32 exec_lo, exec_lo, s37
	s_and_saveexec_b32 s37, s5
	s_cbranch_execz .LBB228_37
.LBB228_69:                             ;   in Loop: Header=BB228_31 Depth=1
	ds_load_b32 v7, v1 offset:40980
	s_wait_dscnt 0x0
	v_add_nc_u32_e32 v6, v7, v6
	s_or_b32 exec_lo, exec_lo, s37
	s_and_saveexec_b32 s37, s6
	s_cbranch_execnz .LBB228_38
.LBB228_70:                             ;   in Loop: Header=BB228_31 Depth=1
	s_or_b32 exec_lo, exec_lo, s37
	s_and_saveexec_b32 s37, s7
	s_cbranch_execz .LBB228_39
.LBB228_71:                             ;   in Loop: Header=BB228_31 Depth=1
	ds_load_b32 v7, v1 offset:40988
	s_wait_dscnt 0x0
	v_add_nc_u32_e32 v6, v7, v6
	s_or_b32 exec_lo, exec_lo, s37
	s_and_saveexec_b32 s37, s8
	s_cbranch_execnz .LBB228_40
.LBB228_72:                             ;   in Loop: Header=BB228_31 Depth=1
	s_or_b32 exec_lo, exec_lo, s37
	s_and_saveexec_b32 s37, s9
	s_cbranch_execz .LBB228_41
.LBB228_73:                             ;   in Loop: Header=BB228_31 Depth=1
	ds_load_b32 v7, v1 offset:40996
	s_wait_dscnt 0x0
	v_add_nc_u32_e32 v6, v7, v6
	s_or_b32 exec_lo, exec_lo, s37
	s_and_saveexec_b32 s37, s10
	s_cbranch_execnz .LBB228_42
.LBB228_74:                             ;   in Loop: Header=BB228_31 Depth=1
	s_or_b32 exec_lo, exec_lo, s37
	s_and_saveexec_b32 s37, s11
	s_cbranch_execz .LBB228_43
.LBB228_75:                             ;   in Loop: Header=BB228_31 Depth=1
	ds_load_b32 v7, v1 offset:41004
	s_wait_dscnt 0x0
	v_add_nc_u32_e32 v6, v7, v6
	s_or_b32 exec_lo, exec_lo, s37
	s_and_saveexec_b32 s37, s12
	s_cbranch_execnz .LBB228_44
.LBB228_76:                             ;   in Loop: Header=BB228_31 Depth=1
	s_or_b32 exec_lo, exec_lo, s37
	s_and_saveexec_b32 s37, s13
	s_cbranch_execz .LBB228_45
.LBB228_77:                             ;   in Loop: Header=BB228_31 Depth=1
	ds_load_b32 v7, v1 offset:41012
	s_wait_dscnt 0x0
	v_add_nc_u32_e32 v6, v7, v6
	s_or_b32 exec_lo, exec_lo, s37
	s_and_saveexec_b32 s37, s14
	s_cbranch_execnz .LBB228_46
.LBB228_78:                             ;   in Loop: Header=BB228_31 Depth=1
	s_or_b32 exec_lo, exec_lo, s37
	s_and_saveexec_b32 s37, s15
	s_cbranch_execz .LBB228_47
.LBB228_79:                             ;   in Loop: Header=BB228_31 Depth=1
	ds_load_b32 v7, v1 offset:41020
	s_wait_dscnt 0x0
	v_add_nc_u32_e32 v6, v7, v6
	s_or_b32 exec_lo, exec_lo, s37
	s_and_saveexec_b32 s37, s16
	s_cbranch_execnz .LBB228_48
.LBB228_80:                             ;   in Loop: Header=BB228_31 Depth=1
	s_or_b32 exec_lo, exec_lo, s37
	s_and_saveexec_b32 s37, s17
	s_cbranch_execz .LBB228_49
.LBB228_81:                             ;   in Loop: Header=BB228_31 Depth=1
	ds_load_b32 v7, v1 offset:41028
	s_wait_dscnt 0x0
	v_add_nc_u32_e32 v6, v7, v6
	s_or_b32 exec_lo, exec_lo, s37
	s_and_saveexec_b32 s37, s18
	s_cbranch_execnz .LBB228_50
.LBB228_82:                             ;   in Loop: Header=BB228_31 Depth=1
	s_or_b32 exec_lo, exec_lo, s37
	s_and_saveexec_b32 s37, s19
	s_cbranch_execz .LBB228_51
.LBB228_83:                             ;   in Loop: Header=BB228_31 Depth=1
	ds_load_b32 v7, v1 offset:41036
	s_wait_dscnt 0x0
	v_add_nc_u32_e32 v6, v7, v6
	s_or_b32 exec_lo, exec_lo, s37
	s_and_saveexec_b32 s37, s20
	s_cbranch_execnz .LBB228_52
.LBB228_84:                             ;   in Loop: Header=BB228_31 Depth=1
	s_or_b32 exec_lo, exec_lo, s37
	s_and_saveexec_b32 s37, s21
	s_cbranch_execz .LBB228_53
.LBB228_85:                             ;   in Loop: Header=BB228_31 Depth=1
	ds_load_b32 v7, v1 offset:41044
	s_wait_dscnt 0x0
	v_add_nc_u32_e32 v6, v7, v6
	s_or_b32 exec_lo, exec_lo, s37
	s_and_saveexec_b32 s37, s22
	s_cbranch_execnz .LBB228_54
.LBB228_86:                             ;   in Loop: Header=BB228_31 Depth=1
	s_or_b32 exec_lo, exec_lo, s37
	s_and_saveexec_b32 s37, s23
	s_cbranch_execz .LBB228_55
.LBB228_87:                             ;   in Loop: Header=BB228_31 Depth=1
	ds_load_b32 v7, v1 offset:41052
	s_wait_dscnt 0x0
	v_add_nc_u32_e32 v6, v7, v6
	s_or_b32 exec_lo, exec_lo, s37
	s_and_saveexec_b32 s37, s24
	s_cbranch_execnz .LBB228_56
.LBB228_88:                             ;   in Loop: Header=BB228_31 Depth=1
	s_or_b32 exec_lo, exec_lo, s37
	s_and_saveexec_b32 s37, s25
	s_cbranch_execz .LBB228_57
.LBB228_89:                             ;   in Loop: Header=BB228_31 Depth=1
	ds_load_b32 v7, v1 offset:41060
	s_wait_dscnt 0x0
	v_add_nc_u32_e32 v6, v7, v6
	s_or_b32 exec_lo, exec_lo, s37
	s_and_saveexec_b32 s37, s26
	s_cbranch_execnz .LBB228_58
.LBB228_90:                             ;   in Loop: Header=BB228_31 Depth=1
	s_or_b32 exec_lo, exec_lo, s37
	s_and_saveexec_b32 s37, s27
	s_cbranch_execz .LBB228_59
.LBB228_91:                             ;   in Loop: Header=BB228_31 Depth=1
	ds_load_b32 v7, v1 offset:41068
	s_wait_dscnt 0x0
	v_add_nc_u32_e32 v6, v7, v6
	s_or_b32 exec_lo, exec_lo, s37
	s_and_saveexec_b32 s37, s28
	s_cbranch_execnz .LBB228_60
.LBB228_92:                             ;   in Loop: Header=BB228_31 Depth=1
	s_or_b32 exec_lo, exec_lo, s37
	s_and_saveexec_b32 s37, s29
	s_cbranch_execz .LBB228_61
.LBB228_93:                             ;   in Loop: Header=BB228_31 Depth=1
	ds_load_b32 v7, v1 offset:41076
	s_wait_dscnt 0x0
	v_add_nc_u32_e32 v6, v7, v6
	s_or_b32 exec_lo, exec_lo, s37
	s_and_saveexec_b32 s37, s30
	s_cbranch_execnz .LBB228_62
.LBB228_94:                             ;   in Loop: Header=BB228_31 Depth=1
	s_or_b32 exec_lo, exec_lo, s37
	s_and_saveexec_b32 s37, s31
	s_cbranch_execz .LBB228_63
.LBB228_95:                             ;   in Loop: Header=BB228_31 Depth=1
	scratch_load_b128 v[8:11], off, off
	v_add3_u32 v7, v4, -1, v6
	v_add_lshl_u32 v12, v4, v6, 4
	s_delay_alu instid0(VALU_DEP_2) | instskip(NEXT) | instid1(VALU_DEP_2)
	v_lshl_add_u32 v7, v7, 2, 0
	v_add3_u32 v12, 0, v12, 0x1ff0
	ds_store_b32 v7, v5
	s_wait_loadcnt 0x0
	ds_store_2addr_b64 v12, v[8:9], v[10:11] offset1:1
	s_or_b32 exec_lo, exec_lo, s37
	s_and_saveexec_b32 s31, vcc_lo
	s_cbranch_execz .LBB228_30
.LBB228_96:                             ;   in Loop: Header=BB228_31 Depth=1
	ds_store_b32 v1, v6 offset:41084
	s_branch .LBB228_30
.LBB228_97:                             ;   in Loop: Header=BB228_99 Depth=1
	s_or_b32 exec_lo, exec_lo, s5
.LBB228_98:                             ;   in Loop: Header=BB228_99 Depth=1
	s_delay_alu instid0(SALU_CYCLE_1)
	s_or_b32 exec_lo, exec_lo, s4
	s_wait_loadcnt 0x0
	v_mul_f64_e64 v[14:15], v[4:5], -v[6:7]
	v_mul_f64_e32 v[4:5], v[8:9], v[4:5]
	v_lshl_add_u32 v1, v1, 4, 0
	v_add_nc_u64_e32 v[12:13], 0x400, v[12:13]
	s_delay_alu instid0(VALU_DEP_1)
	v_cmp_le_i64_e32 vcc_lo, s[2:3], v[12:13]
	s_or_b32 s1, vcc_lo, s1
	v_fmac_f64_e32 v[14:15], v[8:9], v[2:3]
	v_fmac_f64_e32 v[4:5], v[6:7], v[2:3]
	ds_add_f64 v1, v[14:15] offset:8192
	ds_add_f64 v1, v[4:5] offset:8200
	s_and_not1_b32 exec_lo, exec_lo, s1
	s_cbranch_execz .LBB228_28
.LBB228_99:                             ; =>This Loop Header: Depth=1
                                        ;     Child Loop BB228_102 Depth 2
	v_lshl_add_u64 v[2:3], v[12:13], 2, s[38:39]
	s_mov_b32 s4, exec_lo
	global_load_b32 v1, v[2:3], off
	s_wait_xcnt 0x0
	v_lshl_add_u64 v[2:3], v[12:13], 4, s[40:41]
	global_load_b128 v[2:5], v[2:3], off
	s_wait_loadcnt 0x1
	v_subrev_nc_u32_e32 v11, s47, v1
	s_delay_alu instid0(VALU_DEP_1) | instskip(NEXT) | instid1(VALU_DEP_1)
	v_mul_lo_u32 v1, 0x89, v11
	v_and_b32_e32 v1, 0x7ff, v1
	s_delay_alu instid0(VALU_DEP_1)
	v_lshl_add_u32 v14, v1, 2, 0
	ds_load_b32 v15, v14
	s_wait_dscnt 0x0
	s_wait_xcnt 0x0
	v_cmpx_ne_u32_e64 v15, v11
	s_cbranch_execz .LBB228_98
; %bb.100:                              ;   in Loop: Header=BB228_99 Depth=1
	s_mov_b32 s5, 0
	s_branch .LBB228_102
.LBB228_101:                            ;   in Loop: Header=BB228_102 Depth=2
	s_or_b32 exec_lo, exec_lo, s8
	s_delay_alu instid0(SALU_CYCLE_1) | instskip(NEXT) | instid1(SALU_CYCLE_1)
	s_and_b32 s6, exec_lo, s7
	s_or_b32 s5, s6, s5
	s_delay_alu instid0(SALU_CYCLE_1)
	s_and_not1_b32 exec_lo, exec_lo, s5
	s_cbranch_execz .LBB228_97
.LBB228_102:                            ;   Parent Loop BB228_99 Depth=1
                                        ; =>  This Inner Loop Header: Depth=2
	s_mov_b32 s6, 0
	s_mov_b32 s7, exec_lo
	v_cmpx_ne_u32_e64 s33, v15
	s_xor_b32 s7, exec_lo, s7
	s_cbranch_execz .LBB228_104
; %bb.103:                              ;   in Loop: Header=BB228_102 Depth=2
	v_add_nc_u32_e32 v1, 1, v1
	s_mov_b32 s6, exec_lo
                                        ; implicit-def: $vgpr14
	s_delay_alu instid0(VALU_DEP_1)
	v_and_b32_e32 v1, 0x7ff, v1
	s_and_not1_saveexec_b32 s7, s7
	s_cbranch_execz .LBB228_106
	s_branch .LBB228_105
.LBB228_104:                            ;   in Loop: Header=BB228_102 Depth=2
	s_and_not1_saveexec_b32 s7, s7
	s_cbranch_execz .LBB228_106
.LBB228_105:                            ;   in Loop: Header=BB228_102 Depth=2
	v_mov_b32_e32 v15, s33
	s_and_not1_b32 s6, s6, exec_lo
	ds_cmpstore_rtn_b32 v14, v14, v11, v15
	s_wait_dscnt 0x0
	v_cmp_ne_u32_e32 vcc_lo, s33, v14
	s_and_b32 s8, vcc_lo, exec_lo
	s_delay_alu instid0(SALU_CYCLE_1)
	s_or_b32 s6, s6, s8
.LBB228_106:                            ;   in Loop: Header=BB228_102 Depth=2
	s_or_b32 exec_lo, exec_lo, s7
	s_mov_b32 s7, -1
                                        ; implicit-def: $vgpr14
                                        ; implicit-def: $vgpr15
	s_and_saveexec_b32 s8, s6
	s_cbranch_execz .LBB228_101
; %bb.107:                              ;   in Loop: Header=BB228_102 Depth=2
	v_lshl_add_u32 v14, v1, 2, 0
	ds_load_b32 v15, v14
	s_wait_dscnt 0x0
	v_cmp_eq_u32_e32 vcc_lo, v15, v11
	s_or_not1_b32 s7, vcc_lo, exec_lo
	s_branch .LBB228_101
.LBB228_108:
	s_or_b32 exec_lo, exec_lo, s36
	s_wait_kmcnt 0x0
	s_ashr_i32 s49, s48, 31
	s_delay_alu instid0(SALU_CYCLE_1) | instskip(NEXT) | instid1(SALU_CYCLE_1)
	s_lshl_b64 s[0:1], s[48:49], 3
	s_add_nc_u64 s[4:5], s[42:43], s[0:1]
	s_load_b128 s[0:3], s[4:5], 0x0
	s_wait_xcnt 0x0
	s_mov_b32 s4, exec_lo
	s_wait_kmcnt 0x0
	s_sub_co_i32 s3, s2, s0
	s_delay_alu instid0(SALU_CYCLE_1)
	v_cmpx_gt_i32_e64 s3, v0
	s_cbranch_execz .LBB228_118
; %bb.109:
	s_sub_co_i32 s4, s0, s2
	s_and_b32 s2, s3, 7
	s_cmp_lt_u32 s4, -7
	s_mov_b32 s47, 0
	s_cselect_b32 s4, -1, 0
	s_and_b32 s5, s3, -8
	s_cmp_lg_u32 s2, 0
	s_sub_nc_u64 s[0:1], s[0:1], s[46:47]
	s_cselect_b32 s6, -1, 0
	s_mov_b32 s7, 0
	s_branch .LBB228_111
.LBB228_110:                            ;   in Loop: Header=BB228_111 Depth=1
	s_wait_dscnt 0x0
	v_mul_lo_u32 v4, v0, 12
	v_add_nc_u32_e32 v0, 0x400, v0
	s_delay_alu instid0(VALU_DEP_3) | instskip(NEXT) | instid1(VALU_DEP_2)
	v_lshl_add_u64 v[2:3], v[2:3], 4, s[34:35]
	v_cmp_le_i32_e32 vcc_lo, s3, v0
	s_or_b32 s7, vcc_lo, s7
	s_delay_alu instid0(VALU_DEP_4)
	v_add3_u32 v1, v1, v4, 0x2000
	ds_load_2addr_b64 v[4:7], v1 offset1:1
	s_wait_dscnt 0x0
	global_store_b128 v[2:3], v[4:7], off
	s_wait_xcnt 0x0
	s_and_not1_b32 exec_lo, exec_lo, s7
	s_cbranch_execz .LBB228_118
.LBB228_111:                            ; =>This Loop Header: Depth=1
                                        ;     Child Loop BB228_113 Depth 2
                                        ;     Child Loop BB228_117 Depth 2
	v_lshl_add_u32 v1, v0, 2, 0
	v_mov_b64_e32 v[2:3], s[0:1]
	s_and_not1_b32 vcc_lo, exec_lo, s4
	s_mov_b32 s8, 0
	ds_load_b32 v4, v1
	s_cbranch_vccnz .LBB228_115
; %bb.112:                              ;   in Loop: Header=BB228_111 Depth=1
	v_mov_b64_e32 v[2:3], s[0:1]
	s_mov_b32 s9, 0
.LBB228_113:                            ;   Parent Loop BB228_111 Depth=1
                                        ; =>  This Inner Loop Header: Depth=2
	s_delay_alu instid0(SALU_CYCLE_1)
	v_dual_mov_b32 v5, s9 :: v_dual_mov_b32 v11, s47
	v_mov_b32_e32 v17, s47
	s_add_co_i32 s8, s8, 8
	s_add_co_i32 s9, s9, 32
	ds_load_2addr_b32 v[6:7], v5 offset1:1
	ds_load_2addr_b32 v[8:9], v5 offset0:2 offset1:3
	ds_load_2addr_b32 v[12:13], v5 offset0:4 offset1:5
	;; [unrolled: 1-line block ×3, first 2 shown]
	s_cmp_eq_u32 s5, s8
	s_wait_dscnt 0x3
	v_cmp_gt_i32_e32 vcc_lo, v4, v6
	v_cndmask_b32_e64 v10, 0, 1, vcc_lo
	v_cmp_gt_i32_e32 vcc_lo, v4, v7
	v_mov_b32_e32 v7, s47
	s_delay_alu instid0(VALU_DEP_3) | instskip(SKIP_4) | instid1(VALU_DEP_3)
	v_add_nc_u64_e32 v[2:3], v[2:3], v[10:11]
	v_cndmask_b32_e64 v16, 0, 1, vcc_lo
	s_wait_dscnt 0x2
	v_cmp_gt_i32_e32 vcc_lo, v4, v8
	v_cndmask_b32_e64 v6, 0, 1, vcc_lo
	v_add_nc_u64_e32 v[2:3], v[2:3], v[16:17]
	v_cmp_gt_i32_e32 vcc_lo, v4, v9
	v_mov_b32_e32 v9, s47
	v_cndmask_b32_e64 v10, 0, 1, vcc_lo
	s_delay_alu instid0(VALU_DEP_4) | instskip(SKIP_3) | instid1(VALU_DEP_3)
	v_add_nc_u64_e32 v[2:3], v[2:3], v[6:7]
	s_wait_dscnt 0x1
	v_cmp_gt_i32_e32 vcc_lo, v4, v12
	v_cndmask_b32_e64 v6, 0, 1, vcc_lo
	v_add_nc_u64_e32 v[2:3], v[2:3], v[10:11]
	v_cmp_gt_i32_e32 vcc_lo, v4, v13
	v_cndmask_b32_e64 v8, 0, 1, vcc_lo
	s_delay_alu instid0(VALU_DEP_3) | instskip(SKIP_3) | instid1(VALU_DEP_3)
	v_add_nc_u64_e32 v[2:3], v[2:3], v[6:7]
	s_wait_dscnt 0x0
	v_cmp_gt_i32_e32 vcc_lo, v4, v14
	v_cndmask_b32_e64 v6, 0, 1, vcc_lo
	v_add_nc_u64_e32 v[2:3], v[2:3], v[8:9]
	v_cmp_gt_i32_e32 vcc_lo, v4, v15
	v_cndmask_b32_e64 v8, 0, 1, vcc_lo
	s_delay_alu instid0(VALU_DEP_3) | instskip(NEXT) | instid1(VALU_DEP_1)
	v_add_nc_u64_e32 v[2:3], v[2:3], v[6:7]
	v_add_nc_u64_e32 v[2:3], v[2:3], v[8:9]
	s_cbranch_scc0 .LBB228_113
; %bb.114:                              ;   in Loop: Header=BB228_111 Depth=1
	s_mov_b32 s8, s5
.LBB228_115:                            ;   in Loop: Header=BB228_111 Depth=1
	s_and_not1_b32 vcc_lo, exec_lo, s6
	s_cbranch_vccnz .LBB228_110
; %bb.116:                              ;   in Loop: Header=BB228_111 Depth=1
	s_lshl_b32 s8, s8, 2
	s_mov_b32 s9, s2
	s_add_co_i32 s8, s8, 0
.LBB228_117:                            ;   Parent Loop BB228_111 Depth=1
                                        ; =>  This Inner Loop Header: Depth=2
	s_delay_alu instid0(SALU_CYCLE_1)
	v_dual_mov_b32 v5, s8 :: v_dual_mov_b32 v7, s47
	s_add_co_i32 s9, s9, -1
	s_add_co_i32 s8, s8, 4
	s_cmp_lg_u32 s9, 0
	ds_load_b32 v5, v5
	s_wait_dscnt 0x0
	v_cmp_gt_i32_e32 vcc_lo, v4, v5
	v_cndmask_b32_e64 v6, 0, 1, vcc_lo
	s_delay_alu instid0(VALU_DEP_1)
	v_add_nc_u64_e32 v[2:3], v[2:3], v[6:7]
	s_cbranch_scc1 .LBB228_117
	s_branch .LBB228_110
.LBB228_118:
	s_endpgm
	.section	.rodata,"a",@progbits
	.p2align	6, 0x0
	.amdhsa_kernel _ZN9rocsparseL41csrgemm_numeric_fill_block_per_row_kernelILj1024ELj32ELj2048ELj137ELj32Eli21rocsparse_complex_numIdEEEvT5_PKS3_S5_NS_24const_host_device_scalarIT6_EEPKT4_S5_PKS7_SB_S5_SD_S8_SB_S5_SD_SB_S5_PS7_21rocsparse_index_base_SF_SF_SF_bbb
		.amdhsa_group_segment_fixed_size 0
		.amdhsa_private_segment_fixed_size 40
		.amdhsa_kernarg_size 172
		.amdhsa_user_sgpr_count 2
		.amdhsa_user_sgpr_dispatch_ptr 0
		.amdhsa_user_sgpr_queue_ptr 0
		.amdhsa_user_sgpr_kernarg_segment_ptr 1
		.amdhsa_user_sgpr_dispatch_id 0
		.amdhsa_user_sgpr_kernarg_preload_length 0
		.amdhsa_user_sgpr_kernarg_preload_offset 0
		.amdhsa_user_sgpr_private_segment_size 0
		.amdhsa_wavefront_size32 1
		.amdhsa_uses_dynamic_stack 0
		.amdhsa_enable_private_segment 1
		.amdhsa_system_sgpr_workgroup_id_x 1
		.amdhsa_system_sgpr_workgroup_id_y 0
		.amdhsa_system_sgpr_workgroup_id_z 0
		.amdhsa_system_sgpr_workgroup_info 0
		.amdhsa_system_vgpr_workitem_id 0
		.amdhsa_next_free_vgpr 34
		.amdhsa_next_free_sgpr 50
		.amdhsa_named_barrier_count 0
		.amdhsa_reserve_vcc 1
		.amdhsa_float_round_mode_32 0
		.amdhsa_float_round_mode_16_64 0
		.amdhsa_float_denorm_mode_32 3
		.amdhsa_float_denorm_mode_16_64 3
		.amdhsa_fp16_overflow 0
		.amdhsa_memory_ordered 1
		.amdhsa_forward_progress 1
		.amdhsa_inst_pref_size 35
		.amdhsa_round_robin_scheduling 0
		.amdhsa_exception_fp_ieee_invalid_op 0
		.amdhsa_exception_fp_denorm_src 0
		.amdhsa_exception_fp_ieee_div_zero 0
		.amdhsa_exception_fp_ieee_overflow 0
		.amdhsa_exception_fp_ieee_underflow 0
		.amdhsa_exception_fp_ieee_inexact 0
		.amdhsa_exception_int_div_zero 0
	.end_amdhsa_kernel
	.section	.text._ZN9rocsparseL41csrgemm_numeric_fill_block_per_row_kernelILj1024ELj32ELj2048ELj137ELj32Eli21rocsparse_complex_numIdEEEvT5_PKS3_S5_NS_24const_host_device_scalarIT6_EEPKT4_S5_PKS7_SB_S5_SD_S8_SB_S5_SD_SB_S5_PS7_21rocsparse_index_base_SF_SF_SF_bbb,"axG",@progbits,_ZN9rocsparseL41csrgemm_numeric_fill_block_per_row_kernelILj1024ELj32ELj2048ELj137ELj32Eli21rocsparse_complex_numIdEEEvT5_PKS3_S5_NS_24const_host_device_scalarIT6_EEPKT4_S5_PKS7_SB_S5_SD_S8_SB_S5_SD_SB_S5_PS7_21rocsparse_index_base_SF_SF_SF_bbb,comdat
.Lfunc_end228:
	.size	_ZN9rocsparseL41csrgemm_numeric_fill_block_per_row_kernelILj1024ELj32ELj2048ELj137ELj32Eli21rocsparse_complex_numIdEEEvT5_PKS3_S5_NS_24const_host_device_scalarIT6_EEPKT4_S5_PKS7_SB_S5_SD_S8_SB_S5_SD_SB_S5_PS7_21rocsparse_index_base_SF_SF_SF_bbb, .Lfunc_end228-_ZN9rocsparseL41csrgemm_numeric_fill_block_per_row_kernelILj1024ELj32ELj2048ELj137ELj32Eli21rocsparse_complex_numIdEEEvT5_PKS3_S5_NS_24const_host_device_scalarIT6_EEPKT4_S5_PKS7_SB_S5_SD_S8_SB_S5_SD_SB_S5_PS7_21rocsparse_index_base_SF_SF_SF_bbb
                                        ; -- End function
	.set _ZN9rocsparseL41csrgemm_numeric_fill_block_per_row_kernelILj1024ELj32ELj2048ELj137ELj32Eli21rocsparse_complex_numIdEEEvT5_PKS3_S5_NS_24const_host_device_scalarIT6_EEPKT4_S5_PKS7_SB_S5_SD_S8_SB_S5_SD_SB_S5_PS7_21rocsparse_index_base_SF_SF_SF_bbb.num_vgpr, 34
	.set _ZN9rocsparseL41csrgemm_numeric_fill_block_per_row_kernelILj1024ELj32ELj2048ELj137ELj32Eli21rocsparse_complex_numIdEEEvT5_PKS3_S5_NS_24const_host_device_scalarIT6_EEPKT4_S5_PKS7_SB_S5_SD_S8_SB_S5_SD_SB_S5_PS7_21rocsparse_index_base_SF_SF_SF_bbb.num_agpr, 0
	.set _ZN9rocsparseL41csrgemm_numeric_fill_block_per_row_kernelILj1024ELj32ELj2048ELj137ELj32Eli21rocsparse_complex_numIdEEEvT5_PKS3_S5_NS_24const_host_device_scalarIT6_EEPKT4_S5_PKS7_SB_S5_SD_S8_SB_S5_SD_SB_S5_PS7_21rocsparse_index_base_SF_SF_SF_bbb.numbered_sgpr, 50
	.set _ZN9rocsparseL41csrgemm_numeric_fill_block_per_row_kernelILj1024ELj32ELj2048ELj137ELj32Eli21rocsparse_complex_numIdEEEvT5_PKS3_S5_NS_24const_host_device_scalarIT6_EEPKT4_S5_PKS7_SB_S5_SD_S8_SB_S5_SD_SB_S5_PS7_21rocsparse_index_base_SF_SF_SF_bbb.num_named_barrier, 0
	.set _ZN9rocsparseL41csrgemm_numeric_fill_block_per_row_kernelILj1024ELj32ELj2048ELj137ELj32Eli21rocsparse_complex_numIdEEEvT5_PKS3_S5_NS_24const_host_device_scalarIT6_EEPKT4_S5_PKS7_SB_S5_SD_S8_SB_S5_SD_SB_S5_PS7_21rocsparse_index_base_SF_SF_SF_bbb.private_seg_size, 40
	.set _ZN9rocsparseL41csrgemm_numeric_fill_block_per_row_kernelILj1024ELj32ELj2048ELj137ELj32Eli21rocsparse_complex_numIdEEEvT5_PKS3_S5_NS_24const_host_device_scalarIT6_EEPKT4_S5_PKS7_SB_S5_SD_S8_SB_S5_SD_SB_S5_PS7_21rocsparse_index_base_SF_SF_SF_bbb.uses_vcc, 1
	.set _ZN9rocsparseL41csrgemm_numeric_fill_block_per_row_kernelILj1024ELj32ELj2048ELj137ELj32Eli21rocsparse_complex_numIdEEEvT5_PKS3_S5_NS_24const_host_device_scalarIT6_EEPKT4_S5_PKS7_SB_S5_SD_S8_SB_S5_SD_SB_S5_PS7_21rocsparse_index_base_SF_SF_SF_bbb.uses_flat_scratch, 1
	.set _ZN9rocsparseL41csrgemm_numeric_fill_block_per_row_kernelILj1024ELj32ELj2048ELj137ELj32Eli21rocsparse_complex_numIdEEEvT5_PKS3_S5_NS_24const_host_device_scalarIT6_EEPKT4_S5_PKS7_SB_S5_SD_S8_SB_S5_SD_SB_S5_PS7_21rocsparse_index_base_SF_SF_SF_bbb.has_dyn_sized_stack, 0
	.set _ZN9rocsparseL41csrgemm_numeric_fill_block_per_row_kernelILj1024ELj32ELj2048ELj137ELj32Eli21rocsparse_complex_numIdEEEvT5_PKS3_S5_NS_24const_host_device_scalarIT6_EEPKT4_S5_PKS7_SB_S5_SD_S8_SB_S5_SD_SB_S5_PS7_21rocsparse_index_base_SF_SF_SF_bbb.has_recursion, 0
	.set _ZN9rocsparseL41csrgemm_numeric_fill_block_per_row_kernelILj1024ELj32ELj2048ELj137ELj32Eli21rocsparse_complex_numIdEEEvT5_PKS3_S5_NS_24const_host_device_scalarIT6_EEPKT4_S5_PKS7_SB_S5_SD_S8_SB_S5_SD_SB_S5_PS7_21rocsparse_index_base_SF_SF_SF_bbb.has_indirect_call, 0
	.section	.AMDGPU.csdata,"",@progbits
; Kernel info:
; codeLenInByte = 4368
; TotalNumSgprs: 52
; NumVgprs: 34
; ScratchSize: 40
; MemoryBound: 0
; FloatMode: 240
; IeeeMode: 1
; LDSByteSize: 0 bytes/workgroup (compile time only)
; SGPRBlocks: 0
; VGPRBlocks: 2
; NumSGPRsForWavesPerEU: 52
; NumVGPRsForWavesPerEU: 34
; NamedBarCnt: 0
; Occupancy: 16
; WaveLimiterHint : 1
; COMPUTE_PGM_RSRC2:SCRATCH_EN: 1
; COMPUTE_PGM_RSRC2:USER_SGPR: 2
; COMPUTE_PGM_RSRC2:TRAP_HANDLER: 0
; COMPUTE_PGM_RSRC2:TGID_X_EN: 1
; COMPUTE_PGM_RSRC2:TGID_Y_EN: 0
; COMPUTE_PGM_RSRC2:TGID_Z_EN: 0
; COMPUTE_PGM_RSRC2:TIDIG_COMP_CNT: 0
	.section	.text._ZN9rocsparseL41csrgemm_numeric_fill_block_per_row_kernelILj1024ELj32ELj2048ELj137ELj64Eli21rocsparse_complex_numIdEEEvT5_PKS3_S5_NS_24const_host_device_scalarIT6_EEPKT4_S5_PKS7_SB_S5_SD_S8_SB_S5_SD_SB_S5_PS7_21rocsparse_index_base_SF_SF_SF_bbb,"axG",@progbits,_ZN9rocsparseL41csrgemm_numeric_fill_block_per_row_kernelILj1024ELj32ELj2048ELj137ELj64Eli21rocsparse_complex_numIdEEEvT5_PKS3_S5_NS_24const_host_device_scalarIT6_EEPKT4_S5_PKS7_SB_S5_SD_S8_SB_S5_SD_SB_S5_PS7_21rocsparse_index_base_SF_SF_SF_bbb,comdat
	.globl	_ZN9rocsparseL41csrgemm_numeric_fill_block_per_row_kernelILj1024ELj32ELj2048ELj137ELj64Eli21rocsparse_complex_numIdEEEvT5_PKS3_S5_NS_24const_host_device_scalarIT6_EEPKT4_S5_PKS7_SB_S5_SD_S8_SB_S5_SD_SB_S5_PS7_21rocsparse_index_base_SF_SF_SF_bbb ; -- Begin function _ZN9rocsparseL41csrgemm_numeric_fill_block_per_row_kernelILj1024ELj32ELj2048ELj137ELj64Eli21rocsparse_complex_numIdEEEvT5_PKS3_S5_NS_24const_host_device_scalarIT6_EEPKT4_S5_PKS7_SB_S5_SD_S8_SB_S5_SD_SB_S5_PS7_21rocsparse_index_base_SF_SF_SF_bbb
	.p2align	8
	.type	_ZN9rocsparseL41csrgemm_numeric_fill_block_per_row_kernelILj1024ELj32ELj2048ELj137ELj64Eli21rocsparse_complex_numIdEEEvT5_PKS3_S5_NS_24const_host_device_scalarIT6_EEPKT4_S5_PKS7_SB_S5_SD_S8_SB_S5_SD_SB_S5_PS7_21rocsparse_index_base_SF_SF_SF_bbb,@function
_ZN9rocsparseL41csrgemm_numeric_fill_block_per_row_kernelILj1024ELj32ELj2048ELj137ELj64Eli21rocsparse_complex_numIdEEEvT5_PKS3_S5_NS_24const_host_device_scalarIT6_EEPKT4_S5_PKS7_SB_S5_SD_S8_SB_S5_SD_SB_S5_PS7_21rocsparse_index_base_SF_SF_SF_bbb: ; @_ZN9rocsparseL41csrgemm_numeric_fill_block_per_row_kernelILj1024ELj32ELj2048ELj137ELj64Eli21rocsparse_complex_numIdEEEvT5_PKS3_S5_NS_24const_host_device_scalarIT6_EEPKT4_S5_PKS7_SB_S5_SD_S8_SB_S5_SD_SB_S5_PS7_21rocsparse_index_base_SF_SF_SF_bbb
; %bb.0:
	s_clause 0x3
	s_load_b32 s12, s[0:1], 0xa8
	s_load_b128 s[8:11], s[0:1], 0x18
	s_load_b128 s[4:7], s[0:1], 0x58
	;; [unrolled: 1-line block ×3, first 2 shown]
	v_mov_b64_e32 v[6:7], 0
	v_mov_b64_e32 v[10:11], 0
	;; [unrolled: 1-line block ×3, first 2 shown]
	v_mbcnt_lo_u32_b32 v29, -1, 0
	s_wait_kmcnt 0x0
	s_bitcmp1_b32 s12, 0
	v_mov_b64_e32 v[2:3], s[8:9]
	s_cselect_b32 s3, -1, 0
	s_bitcmp1_b32 s12, 16
	v_mov_b64_e32 v[4:5], s[4:5]
	s_cselect_b32 s2, -1, 0
	s_clause 0x1
	scratch_store_b64 off, v[2:3], off offset:16
	scratch_store_b64 off, v[4:5], off offset:24
	s_xor_b32 s13, s2, -1
	s_bitcmp0_b32 s12, 0
	v_cndmask_b32_e64 v1, 0, 1, s13
	s_delay_alu instid0(VALU_DEP_1)
	v_cmp_ne_u32_e32 vcc_lo, 1, v1
	s_cbranch_scc1 .LBB229_3
; %bb.1:
	s_wait_xcnt 0x1
	v_dual_mov_b32 v2, 16 :: v_dual_lshlrev_b32 v3, 20, v29
	v_mov_b64_e32 v[12:13], s[10:11]
	s_and_b32 vcc_lo, exec_lo, vcc_lo
	s_delay_alu instid0(VALU_DEP_2) | instskip(NEXT) | instid1(VALU_DEP_1)
	v_add_nc_u64_e32 v[2:3], src_flat_scratch_base_lo, v[2:3]
	v_cndmask_b32_e64 v3, s9, v3, s2
	s_delay_alu instid0(VALU_DEP_2)
	v_cndmask_b32_e64 v2, s8, v2, s2
	flat_load_b64 v[10:11], v[2:3]
	s_cbranch_vccnz .LBB229_3
; %bb.2:
	v_mov_b32_e32 v1, 0
	flat_load_b64 v[12:13], v1, s[8:9] offset:8
.LBB229_3:
	s_load_b128 s[28:31], s[0:1], 0x8
	v_mov_b64_e32 v[8:9], 0
	s_bitcmp1_b32 s12, 8
	s_cselect_b32 s36, -1, 0
	s_bfe_u32 s8, s12, 0x10008
	s_delay_alu instid0(SALU_CYCLE_1)
	s_cmp_eq_u32 s8, 0
	s_cbranch_scc1 .LBB229_6
; %bb.4:
	v_dual_mov_b32 v2, 24 :: v_dual_lshlrev_b32 v3, 20, v29
	v_mov_b64_e32 v[6:7], s[6:7]
	s_and_not1_b32 vcc_lo, exec_lo, s13
	s_delay_alu instid0(VALU_DEP_2) | instskip(NEXT) | instid1(VALU_DEP_1)
	v_add_nc_u64_e32 v[2:3], src_flat_scratch_base_lo, v[2:3]
	v_cndmask_b32_e64 v3, s5, v3, s2
	s_delay_alu instid0(VALU_DEP_2)
	v_cndmask_b32_e64 v2, s4, v2, s2
	flat_load_b64 v[8:9], v[2:3]
	s_cbranch_vccnz .LBB229_6
; %bb.5:
	v_mov_b32_e32 v1, 0
	flat_load_b64 v[6:7], v1, s[4:5] offset:8
.LBB229_6:
	s_clause 0x4
	s_load_b32 s33, s[0:1], 0x0
	s_load_b64 s[34:35], s[0:1], 0x90
	s_load_b256 s[12:19], s[0:1], 0x68
	s_load_b128 s[24:27], s[0:1], 0x48
	s_load_b256 s[4:11], s[0:1], 0x28
	v_or_b32_e32 v26, 0xfffffc00, v0
	v_lshlrev_b32_e32 v1, 4, v0
	s_wait_xcnt 0x0
	s_mov_b32 s0, 0
	v_lshl_add_u32 v27, v0, 2, 0
	s_mov_b32 s1, s0
	v_mov_b32_e32 v14, v26
	v_add3_u32 v28, v1, 0, 0x2000
	s_mov_b32 s38, s0
	s_mov_b32 s39, s0
	v_mov_b64_e32 v[2:3], s[0:1]
	v_mov_b64_e32 v[4:5], s[38:39]
	v_dual_mov_b32 v1, v27 :: v_dual_mov_b32 v16, v28
	s_wait_kmcnt 0x0
	v_mov_b32_e32 v15, s33
.LBB229_7:                              ; =>This Inner Loop Header: Depth=1
	v_add_co_u32 v14, s1, 0x400, v14
	s_xor_b32 s1, s1, -1
	ds_store_b32 v1, v15
	ds_store_2addr_b64 v16, v[2:3], v[4:5] offset1:1
	v_add_nc_u32_e32 v16, 0x4000, v16
	v_add_nc_u32_e32 v1, 0x1000, v1
	s_and_b32 s1, exec_lo, s1
	s_delay_alu instid0(SALU_CYCLE_1) | instskip(NEXT) | instid1(SALU_CYCLE_1)
	s_or_b32 s0, s1, s0
	s_and_not1_b32 exec_lo, exec_lo, s0
	s_cbranch_execnz .LBB229_7
; %bb.8:
	s_or_b32 exec_lo, exec_lo, s0
	s_wait_storecnt 0x0
	s_wait_loadcnt_dscnt 0x0
	s_barrier_signal -1
	s_barrier_wait -1
	s_load_b32 s0, s[28:29], 0x0
	s_bfe_u32 s1, ttmp6, 0x4000c
	s_and_b32 s2, ttmp6, 15
	s_add_co_i32 s1, s1, 1
	s_wait_xcnt 0x0
	s_getreg_b32 s28, hwreg(HW_REG_IB_STS2, 6, 4)
	s_mul_i32 s1, ttmp9, s1
	s_delay_alu instid0(SALU_CYCLE_1)
	s_add_co_i32 s2, s2, s1
	s_cmp_eq_u32 s28, 0
	s_cselect_b32 s1, ttmp9, s2
	s_and_b32 vcc_lo, exec_lo, s3
	s_wait_kmcnt 0x0
	s_add_co_i32 s0, s0, s1
	s_mov_b32 s1, 0
	s_load_b32 s28, s[30:31], s0 offset:0x0 scale_offset
	s_cbranch_vccz .LBB229_26
; %bb.9:
	s_wait_kmcnt 0x0
	s_ashr_i32 s29, s28, 31
	v_dual_mov_b32 v3, 0 :: v_dual_lshrrev_b32 v2, 5, v0
	s_lshl_b64 s[2:3], s[28:29], 3
	s_mov_b32 s0, s20
	s_add_nc_u64 s[2:3], s[4:5], s[2:3]
	s_mov_b32 s4, exec_lo
	s_load_b128 s[40:43], s[2:3], 0x0
	v_sub_nc_u64_e64 v[4:5], v[2:3], s[0:1]
	s_wait_kmcnt 0x0
	s_delay_alu instid0(VALU_DEP_1)
	v_add_nc_u64_e32 v[14:15], s[40:41], v[4:5]
	s_sub_nc_u64 s[0:1], s[42:43], s[0:1]
	s_delay_alu instid0(VALU_DEP_1) | instid1(SALU_CYCLE_1)
	v_cmpx_gt_i64_e64 s[0:1], v[14:15]
	s_cbranch_execz .LBB229_25
; %bb.10:
	v_and_b32_e32 v2, 31, v0
	s_mov_b32 s3, 0
	s_mov_b32 s2, s21
	;; [unrolled: 1-line block ×3, first 2 shown]
	s_delay_alu instid0(VALU_DEP_1)
	v_sub_nc_u64_e64 v[16:17], v[2:3], s[2:3]
	s_branch .LBB229_12
.LBB229_11:                             ;   in Loop: Header=BB229_12 Depth=1
	s_or_b32 exec_lo, exec_lo, s29
	v_add_nc_u64_e32 v[14:15], 32, v[14:15]
	s_delay_alu instid0(VALU_DEP_1) | instskip(SKIP_1) | instid1(SALU_CYCLE_1)
	v_cmp_le_i64_e32 vcc_lo, s[0:1], v[14:15]
	s_or_b32 s5, vcc_lo, s5
	s_and_not1_b32 exec_lo, exec_lo, s5
	s_cbranch_execz .LBB229_25
.LBB229_12:                             ; =>This Loop Header: Depth=1
                                        ;     Child Loop BB229_16 Depth 2
                                        ;       Child Loop BB229_19 Depth 3
	v_lshl_add_u64 v[2:3], v[14:15], 2, s[6:7]
	s_mov_b32 s29, exec_lo
	global_load_b32 v1, v[2:3], off
	s_wait_loadcnt 0x0
	s_wait_xcnt 0x0
	v_subrev_nc_u32_e32 v2, s20, v1
	s_delay_alu instid0(VALU_DEP_1) | instskip(NEXT) | instid1(VALU_DEP_1)
	v_ashrrev_i32_e32 v3, 31, v2
	v_lshl_add_u64 v[2:3], v[2:3], 3, s[10:11]
	global_load_b128 v[2:5], v[2:3], off
	s_wait_loadcnt 0x0
	v_sub_nc_u64_e64 v[18:19], v[4:5], s[2:3]
	v_add_nc_u64_e32 v[20:21], v[2:3], v[16:17]
	s_wait_xcnt 0x0
	s_delay_alu instid0(VALU_DEP_1)
	v_cmpx_lt_i64_e64 v[20:21], v[18:19]
	s_cbranch_execz .LBB229_11
; %bb.13:                               ;   in Loop: Header=BB229_12 Depth=1
	v_lshl_add_u64 v[2:3], v[14:15], 4, s[8:9]
	s_mov_b32 s30, 0
	global_load_b128 v[2:5], v[2:3], off
	s_wait_loadcnt 0x0
	v_mul_f64_e64 v[22:23], v[4:5], -v[12:13]
	v_mul_f64_e32 v[24:25], v[10:11], v[4:5]
	s_delay_alu instid0(VALU_DEP_2) | instskip(NEXT) | instid1(VALU_DEP_2)
	v_fmac_f64_e32 v[22:23], v[10:11], v[2:3]
	v_fmac_f64_e32 v[24:25], v[12:13], v[2:3]
	s_branch .LBB229_16
.LBB229_14:                             ;   in Loop: Header=BB229_16 Depth=2
	s_or_b32 exec_lo, exec_lo, s37
.LBB229_15:                             ;   in Loop: Header=BB229_16 Depth=2
	s_delay_alu instid0(SALU_CYCLE_1)
	s_or_b32 exec_lo, exec_lo, s31
	s_wait_loadcnt 0x0
	v_mul_f64_e64 v[30:31], v[4:5], -v[24:25]
	v_mul_f64_e32 v[4:5], v[22:23], v[4:5]
	v_lshl_add_u32 v1, v1, 4, 0
	v_add_nc_u64_e32 v[20:21], 32, v[20:21]
	s_delay_alu instid0(VALU_DEP_1)
	v_cmp_ge_i64_e32 vcc_lo, v[20:21], v[18:19]
	s_or_b32 s30, vcc_lo, s30
	v_fmac_f64_e32 v[30:31], v[22:23], v[2:3]
	v_fmac_f64_e32 v[4:5], v[24:25], v[2:3]
	ds_add_f64 v1, v[30:31] offset:8192
	ds_add_f64 v1, v[4:5] offset:8200
	s_and_not1_b32 exec_lo, exec_lo, s30
	s_cbranch_execz .LBB229_11
.LBB229_16:                             ;   Parent Loop BB229_12 Depth=1
                                        ; =>  This Loop Header: Depth=2
                                        ;       Child Loop BB229_19 Depth 3
	s_wait_xcnt 0x0
	v_lshl_add_u64 v[2:3], v[20:21], 2, s[24:25]
	s_mov_b32 s31, exec_lo
	global_load_b32 v1, v[2:3], off
	s_wait_xcnt 0x0
	v_lshl_add_u64 v[2:3], v[20:21], 4, s[26:27]
	global_load_b128 v[2:5], v[2:3], off
	s_wait_loadcnt 0x1
	v_subrev_nc_u32_e32 v30, s21, v1
	s_delay_alu instid0(VALU_DEP_1) | instskip(NEXT) | instid1(VALU_DEP_1)
	v_mul_lo_u32 v1, 0x89, v30
	v_and_b32_e32 v1, 0x7ff, v1
	s_delay_alu instid0(VALU_DEP_1)
	v_lshl_add_u32 v31, v1, 2, 0
	ds_load_b32 v32, v31
	s_wait_dscnt 0x0
	s_wait_xcnt 0x0
	v_cmpx_ne_u32_e64 v32, v30
	s_cbranch_execz .LBB229_15
; %bb.17:                               ;   in Loop: Header=BB229_16 Depth=2
	s_mov_b32 s37, 0
	s_branch .LBB229_19
.LBB229_18:                             ;   in Loop: Header=BB229_19 Depth=3
	s_or_b32 exec_lo, exec_lo, s40
	s_delay_alu instid0(SALU_CYCLE_1) | instskip(NEXT) | instid1(SALU_CYCLE_1)
	s_and_b32 s38, exec_lo, s39
	s_or_b32 s37, s38, s37
	s_delay_alu instid0(SALU_CYCLE_1)
	s_and_not1_b32 exec_lo, exec_lo, s37
	s_cbranch_execz .LBB229_14
.LBB229_19:                             ;   Parent Loop BB229_12 Depth=1
                                        ;     Parent Loop BB229_16 Depth=2
                                        ; =>    This Inner Loop Header: Depth=3
	s_mov_b32 s38, 0
	s_mov_b32 s39, exec_lo
	v_cmpx_ne_u32_e64 s33, v32
	s_xor_b32 s39, exec_lo, s39
	s_cbranch_execz .LBB229_21
; %bb.20:                               ;   in Loop: Header=BB229_19 Depth=3
	v_add_nc_u32_e32 v1, 1, v1
	s_mov_b32 s38, exec_lo
                                        ; implicit-def: $vgpr31
	s_delay_alu instid0(VALU_DEP_1)
	v_and_b32_e32 v1, 0x7ff, v1
	s_and_not1_saveexec_b32 s39, s39
	s_cbranch_execz .LBB229_23
	s_branch .LBB229_22
.LBB229_21:                             ;   in Loop: Header=BB229_19 Depth=3
	s_and_not1_saveexec_b32 s39, s39
	s_cbranch_execz .LBB229_23
.LBB229_22:                             ;   in Loop: Header=BB229_19 Depth=3
	v_mov_b32_e32 v32, s33
	s_and_not1_b32 s38, s38, exec_lo
	ds_cmpstore_rtn_b32 v31, v31, v30, v32
	s_wait_dscnt 0x0
	v_cmp_ne_u32_e32 vcc_lo, s33, v31
	s_and_b32 s40, vcc_lo, exec_lo
	s_delay_alu instid0(SALU_CYCLE_1)
	s_or_b32 s38, s38, s40
.LBB229_23:                             ;   in Loop: Header=BB229_19 Depth=3
	s_or_b32 exec_lo, exec_lo, s39
	s_mov_b32 s39, -1
                                        ; implicit-def: $vgpr31
                                        ; implicit-def: $vgpr32
	s_and_saveexec_b32 s40, s38
	s_cbranch_execz .LBB229_18
; %bb.24:                               ;   in Loop: Header=BB229_19 Depth=3
	v_lshl_add_u32 v31, v1, 2, 0
	ds_load_b32 v32, v31
	s_wait_dscnt 0x0
	v_cmp_eq_u32_e32 vcc_lo, v32, v30
	s_or_not1_b32 s39, vcc_lo, exec_lo
	s_branch .LBB229_18
.LBB229_25:
	s_or_b32 exec_lo, exec_lo, s4
.LBB229_26:
	s_delay_alu instid0(SALU_CYCLE_1)
	s_and_not1_b32 vcc_lo, exec_lo, s36
	s_cbranch_vccnz .LBB229_29
; %bb.27:
	s_wait_kmcnt 0x0
	s_ashr_i32 s29, s28, 31
	v_mov_b32_e32 v1, 0
	s_lshl_b64 s[0:1], s[28:29], 3
	s_delay_alu instid0(SALU_CYCLE_1) | instskip(SKIP_4) | instid1(SALU_CYCLE_1)
	s_add_nc_u64 s[0:1], s[12:13], s[0:1]
	s_load_b128 s[4:7], s[0:1], 0x0
	s_wait_xcnt 0x0
	s_mov_b32 s1, 0
	s_mov_b32 s0, s23
	v_sub_nc_u64_e64 v[2:3], v[0:1], s[0:1]
	s_wait_kmcnt 0x0
	s_delay_alu instid0(VALU_DEP_1) | instskip(SKIP_2) | instid1(VALU_DEP_1)
	v_add_nc_u64_e32 v[10:11], s[4:5], v[2:3]
	s_sub_nc_u64 s[2:3], s[6:7], s[0:1]
	s_mov_b32 s0, exec_lo
	v_cmpx_gt_i64_e64 s[2:3], v[10:11]
	s_cbranch_execnz .LBB229_67
.LBB229_28:
	s_or_b32 exec_lo, exec_lo, s0
.LBB229_29:
	v_dual_lshrrev_b32 v2, 4, v0 :: v_dual_bitop2_b32 v3, 31, v29 bitop3:0x14
	v_mov_b32_e32 v1, 0
	s_wait_xcnt 0x0
	v_cmp_lt_u32_e64 s0, 63, v0
	v_cmp_lt_u32_e64 s1, 0x7f, v0
	v_and_b32_e32 v4, 60, v2
	v_cmp_lt_u32_e64 s2, 0xbf, v0
	v_lshrrev_b32_e64 v2, v3, -1
	v_cmp_lt_u32_e64 s3, 0xff, v0
	v_cmp_lt_u32_e64 s4, 0x13f, v0
	v_dual_mov_b32 v4, 0 :: v_dual_add_nc_u32 v3, 0, v4
	v_cmp_lt_u32_e64 s5, 0x17f, v0
	v_cmp_lt_u32_e64 s6, 0x1bf, v0
	;; [unrolled: 1-line block ×10, first 2 shown]
	s_mov_b32 s16, 0
	s_wait_dscnt 0x0
	v_cmp_eq_u32_e32 vcc_lo, 0x3ff, v0
	s_barrier_signal -1
	s_barrier_wait -1
	s_branch .LBB229_31
.LBB229_30:                             ;   in Loop: Header=BB229_31 Depth=1
	s_or_b32 exec_lo, exec_lo, s15
	s_wait_dscnt 0x0
	s_barrier_signal -1
	s_barrier_wait -1
	ds_load_b32 v5, v1 offset:41020
	v_add_co_u32 v26, s15, 0x400, v26
	s_xor_b32 s15, s15, -1
	v_add_nc_u32_e32 v28, 0x4000, v28
	v_add_nc_u32_e32 v27, 0x1000, v27
	s_and_b32 s15, exec_lo, s15
	s_delay_alu instid0(SALU_CYCLE_1)
	s_or_b32 s16, s15, s16
	s_wait_dscnt 0x0
	v_add_nc_u32_e32 v4, v5, v4
	s_and_not1_b32 exec_lo, exec_lo, s16
	s_cbranch_execz .LBB229_76
.LBB229_31:                             ; =>This Inner Loop Header: Depth=1
	ds_load_b32 v5, v27
	ds_load_2addr_b64 v[6:9], v28 offset1:1
	s_wait_dscnt 0x1
	v_cmp_gt_i32_e64 s15, s33, v5
	s_wait_dscnt 0x0
	scratch_store_b128 off, v[6:9], off
	s_wait_storecnt 0x0
	s_barrier_signal -1
	s_barrier_wait -1
	s_bcnt1_i32_b32 s17, s15
	s_wait_xcnt 0x0
	v_dual_mov_b32 v7, s17 :: v_dual_bitop2_b32 v6, s15, v2 bitop3:0x40
	s_delay_alu instid0(VALU_DEP_1)
	v_bcnt_u32_b32 v6, v6, 0
	ds_store_b32 v3, v7 offset:40960
	s_wait_dscnt 0x0
	s_barrier_signal -1
	s_barrier_wait -1
	s_and_saveexec_b32 s17, s0
	s_cbranch_execz .LBB229_48
; %bb.32:                               ;   in Loop: Header=BB229_31 Depth=1
	ds_load_b32 v7, v1 offset:40960
	s_wait_dscnt 0x0
	v_add_nc_u32_e32 v6, v7, v6
	s_or_b32 exec_lo, exec_lo, s17
	s_and_saveexec_b32 s17, s1
	s_cbranch_execnz .LBB229_49
.LBB229_33:                             ;   in Loop: Header=BB229_31 Depth=1
	s_or_b32 exec_lo, exec_lo, s17
	s_and_saveexec_b32 s17, s2
	s_cbranch_execz .LBB229_50
.LBB229_34:                             ;   in Loop: Header=BB229_31 Depth=1
	ds_load_b32 v7, v1 offset:40968
	s_wait_dscnt 0x0
	v_add_nc_u32_e32 v6, v7, v6
	s_or_b32 exec_lo, exec_lo, s17
	s_and_saveexec_b32 s17, s3
	s_cbranch_execnz .LBB229_51
.LBB229_35:                             ;   in Loop: Header=BB229_31 Depth=1
	s_or_b32 exec_lo, exec_lo, s17
	s_and_saveexec_b32 s17, s4
	s_cbranch_execz .LBB229_52
.LBB229_36:                             ;   in Loop: Header=BB229_31 Depth=1
	ds_load_b32 v7, v1 offset:40976
	s_wait_dscnt 0x0
	v_add_nc_u32_e32 v6, v7, v6
	s_or_b32 exec_lo, exec_lo, s17
	s_and_saveexec_b32 s17, s5
	s_cbranch_execnz .LBB229_53
.LBB229_37:                             ;   in Loop: Header=BB229_31 Depth=1
	s_or_b32 exec_lo, exec_lo, s17
	s_and_saveexec_b32 s17, s6
	s_cbranch_execz .LBB229_54
.LBB229_38:                             ;   in Loop: Header=BB229_31 Depth=1
	ds_load_b32 v7, v1 offset:40984
	s_wait_dscnt 0x0
	v_add_nc_u32_e32 v6, v7, v6
	s_or_b32 exec_lo, exec_lo, s17
	s_and_saveexec_b32 s17, s7
	s_cbranch_execnz .LBB229_55
.LBB229_39:                             ;   in Loop: Header=BB229_31 Depth=1
	s_or_b32 exec_lo, exec_lo, s17
	s_and_saveexec_b32 s17, s8
	s_cbranch_execz .LBB229_56
.LBB229_40:                             ;   in Loop: Header=BB229_31 Depth=1
	ds_load_b32 v7, v1 offset:40992
	s_wait_dscnt 0x0
	v_add_nc_u32_e32 v6, v7, v6
	s_or_b32 exec_lo, exec_lo, s17
	s_and_saveexec_b32 s17, s9
	s_cbranch_execnz .LBB229_57
.LBB229_41:                             ;   in Loop: Header=BB229_31 Depth=1
	s_or_b32 exec_lo, exec_lo, s17
	s_and_saveexec_b32 s17, s10
	s_cbranch_execz .LBB229_58
.LBB229_42:                             ;   in Loop: Header=BB229_31 Depth=1
	ds_load_b32 v7, v1 offset:41000
	s_wait_dscnt 0x0
	v_add_nc_u32_e32 v6, v7, v6
	s_or_b32 exec_lo, exec_lo, s17
	s_and_saveexec_b32 s17, s11
	s_cbranch_execnz .LBB229_59
.LBB229_43:                             ;   in Loop: Header=BB229_31 Depth=1
	s_or_b32 exec_lo, exec_lo, s17
	s_and_saveexec_b32 s17, s12
	s_cbranch_execz .LBB229_60
.LBB229_44:                             ;   in Loop: Header=BB229_31 Depth=1
	ds_load_b32 v7, v1 offset:41008
	s_wait_dscnt 0x0
	v_add_nc_u32_e32 v6, v7, v6
	s_or_b32 exec_lo, exec_lo, s17
	s_and_saveexec_b32 s17, s13
	s_cbranch_execnz .LBB229_61
.LBB229_45:                             ;   in Loop: Header=BB229_31 Depth=1
	s_or_b32 exec_lo, exec_lo, s17
	s_and_saveexec_b32 s17, s14
	s_cbranch_execz .LBB229_62
.LBB229_46:                             ;   in Loop: Header=BB229_31 Depth=1
	ds_load_b32 v7, v1 offset:41016
	s_wait_dscnt 0x0
	v_add_nc_u32_e32 v6, v7, v6
	s_or_b32 exec_lo, exec_lo, s17
	s_and_saveexec_b32 s17, s15
	s_cbranch_execnz .LBB229_63
.LBB229_47:                             ;   in Loop: Header=BB229_31 Depth=1
	s_or_b32 exec_lo, exec_lo, s17
	s_and_saveexec_b32 s15, vcc_lo
	s_cbranch_execz .LBB229_30
	s_branch .LBB229_64
.LBB229_48:                             ;   in Loop: Header=BB229_31 Depth=1
	s_or_b32 exec_lo, exec_lo, s17
	s_and_saveexec_b32 s17, s1
	s_cbranch_execz .LBB229_33
.LBB229_49:                             ;   in Loop: Header=BB229_31 Depth=1
	ds_load_b32 v7, v1 offset:40964
	s_wait_dscnt 0x0
	v_add_nc_u32_e32 v6, v7, v6
	s_or_b32 exec_lo, exec_lo, s17
	s_and_saveexec_b32 s17, s2
	s_cbranch_execnz .LBB229_34
.LBB229_50:                             ;   in Loop: Header=BB229_31 Depth=1
	s_or_b32 exec_lo, exec_lo, s17
	s_and_saveexec_b32 s17, s3
	s_cbranch_execz .LBB229_35
.LBB229_51:                             ;   in Loop: Header=BB229_31 Depth=1
	ds_load_b32 v7, v1 offset:40972
	s_wait_dscnt 0x0
	v_add_nc_u32_e32 v6, v7, v6
	s_or_b32 exec_lo, exec_lo, s17
	s_and_saveexec_b32 s17, s4
	s_cbranch_execnz .LBB229_36
.LBB229_52:                             ;   in Loop: Header=BB229_31 Depth=1
	s_or_b32 exec_lo, exec_lo, s17
	s_and_saveexec_b32 s17, s5
	s_cbranch_execz .LBB229_37
.LBB229_53:                             ;   in Loop: Header=BB229_31 Depth=1
	ds_load_b32 v7, v1 offset:40980
	s_wait_dscnt 0x0
	v_add_nc_u32_e32 v6, v7, v6
	s_or_b32 exec_lo, exec_lo, s17
	s_and_saveexec_b32 s17, s6
	s_cbranch_execnz .LBB229_38
.LBB229_54:                             ;   in Loop: Header=BB229_31 Depth=1
	s_or_b32 exec_lo, exec_lo, s17
	s_and_saveexec_b32 s17, s7
	s_cbranch_execz .LBB229_39
.LBB229_55:                             ;   in Loop: Header=BB229_31 Depth=1
	ds_load_b32 v7, v1 offset:40988
	s_wait_dscnt 0x0
	v_add_nc_u32_e32 v6, v7, v6
	s_or_b32 exec_lo, exec_lo, s17
	s_and_saveexec_b32 s17, s8
	s_cbranch_execnz .LBB229_40
.LBB229_56:                             ;   in Loop: Header=BB229_31 Depth=1
	s_or_b32 exec_lo, exec_lo, s17
	s_and_saveexec_b32 s17, s9
	s_cbranch_execz .LBB229_41
.LBB229_57:                             ;   in Loop: Header=BB229_31 Depth=1
	ds_load_b32 v7, v1 offset:40996
	s_wait_dscnt 0x0
	v_add_nc_u32_e32 v6, v7, v6
	s_or_b32 exec_lo, exec_lo, s17
	s_and_saveexec_b32 s17, s10
	s_cbranch_execnz .LBB229_42
.LBB229_58:                             ;   in Loop: Header=BB229_31 Depth=1
	s_or_b32 exec_lo, exec_lo, s17
	s_and_saveexec_b32 s17, s11
	s_cbranch_execz .LBB229_43
.LBB229_59:                             ;   in Loop: Header=BB229_31 Depth=1
	ds_load_b32 v7, v1 offset:41004
	s_wait_dscnt 0x0
	v_add_nc_u32_e32 v6, v7, v6
	s_or_b32 exec_lo, exec_lo, s17
	s_and_saveexec_b32 s17, s12
	s_cbranch_execnz .LBB229_44
.LBB229_60:                             ;   in Loop: Header=BB229_31 Depth=1
	s_or_b32 exec_lo, exec_lo, s17
	s_and_saveexec_b32 s17, s13
	s_cbranch_execz .LBB229_45
.LBB229_61:                             ;   in Loop: Header=BB229_31 Depth=1
	ds_load_b32 v7, v1 offset:41012
	s_wait_dscnt 0x0
	v_add_nc_u32_e32 v6, v7, v6
	s_or_b32 exec_lo, exec_lo, s17
	s_and_saveexec_b32 s17, s14
	s_cbranch_execnz .LBB229_46
.LBB229_62:                             ;   in Loop: Header=BB229_31 Depth=1
	s_or_b32 exec_lo, exec_lo, s17
	s_and_saveexec_b32 s17, s15
	s_cbranch_execz .LBB229_47
.LBB229_63:                             ;   in Loop: Header=BB229_31 Depth=1
	scratch_load_b128 v[8:11], off, off
	v_add3_u32 v7, v4, -1, v6
	v_add_lshl_u32 v12, v4, v6, 4
	s_delay_alu instid0(VALU_DEP_2) | instskip(NEXT) | instid1(VALU_DEP_2)
	v_lshl_add_u32 v7, v7, 2, 0
	v_add3_u32 v12, 0, v12, 0x1ff0
	ds_store_b32 v7, v5
	s_wait_loadcnt 0x0
	ds_store_2addr_b64 v12, v[8:9], v[10:11] offset1:1
	s_or_b32 exec_lo, exec_lo, s17
	s_and_saveexec_b32 s15, vcc_lo
	s_cbranch_execz .LBB229_30
.LBB229_64:                             ;   in Loop: Header=BB229_31 Depth=1
	ds_store_b32 v1, v6 offset:41020
	s_branch .LBB229_30
.LBB229_65:                             ;   in Loop: Header=BB229_67 Depth=1
	s_or_b32 exec_lo, exec_lo, s5
.LBB229_66:                             ;   in Loop: Header=BB229_67 Depth=1
	s_delay_alu instid0(SALU_CYCLE_1)
	s_or_b32 exec_lo, exec_lo, s4
	s_wait_loadcnt 0x0
	v_mul_f64_e64 v[12:13], v[4:5], -v[6:7]
	v_mul_f64_e32 v[4:5], v[8:9], v[4:5]
	v_lshl_add_u32 v1, v1, 4, 0
	v_add_nc_u64_e32 v[10:11], 0x400, v[10:11]
	s_delay_alu instid0(VALU_DEP_1)
	v_cmp_le_i64_e32 vcc_lo, s[2:3], v[10:11]
	s_or_b32 s1, vcc_lo, s1
	v_fmac_f64_e32 v[12:13], v[8:9], v[2:3]
	v_fmac_f64_e32 v[4:5], v[6:7], v[2:3]
	ds_add_f64 v1, v[12:13] offset:8192
	ds_add_f64 v1, v[4:5] offset:8200
	s_and_not1_b32 exec_lo, exec_lo, s1
	s_cbranch_execz .LBB229_28
.LBB229_67:                             ; =>This Loop Header: Depth=1
                                        ;     Child Loop BB229_70 Depth 2
	v_lshl_add_u64 v[2:3], v[10:11], 2, s[14:15]
	s_mov_b32 s4, exec_lo
	global_load_b32 v1, v[2:3], off
	s_wait_xcnt 0x0
	v_lshl_add_u64 v[2:3], v[10:11], 4, s[16:17]
	global_load_b128 v[2:5], v[2:3], off
	s_wait_loadcnt 0x1
	v_subrev_nc_u32_e32 v12, s23, v1
	s_delay_alu instid0(VALU_DEP_1) | instskip(NEXT) | instid1(VALU_DEP_1)
	v_mul_lo_u32 v1, 0x89, v12
	v_and_b32_e32 v1, 0x7ff, v1
	s_delay_alu instid0(VALU_DEP_1)
	v_lshl_add_u32 v13, v1, 2, 0
	ds_load_b32 v14, v13
	s_wait_dscnt 0x0
	s_wait_xcnt 0x0
	v_cmpx_ne_u32_e64 v14, v12
	s_cbranch_execz .LBB229_66
; %bb.68:                               ;   in Loop: Header=BB229_67 Depth=1
	s_mov_b32 s5, 0
	s_branch .LBB229_70
.LBB229_69:                             ;   in Loop: Header=BB229_70 Depth=2
	s_or_b32 exec_lo, exec_lo, s8
	s_delay_alu instid0(SALU_CYCLE_1) | instskip(NEXT) | instid1(SALU_CYCLE_1)
	s_and_b32 s6, exec_lo, s7
	s_or_b32 s5, s6, s5
	s_delay_alu instid0(SALU_CYCLE_1)
	s_and_not1_b32 exec_lo, exec_lo, s5
	s_cbranch_execz .LBB229_65
.LBB229_70:                             ;   Parent Loop BB229_67 Depth=1
                                        ; =>  This Inner Loop Header: Depth=2
	s_mov_b32 s6, 0
	s_mov_b32 s7, exec_lo
	v_cmpx_ne_u32_e64 s33, v14
	s_xor_b32 s7, exec_lo, s7
	s_cbranch_execz .LBB229_72
; %bb.71:                               ;   in Loop: Header=BB229_70 Depth=2
	v_add_nc_u32_e32 v1, 1, v1
	s_mov_b32 s6, exec_lo
                                        ; implicit-def: $vgpr13
	s_delay_alu instid0(VALU_DEP_1)
	v_and_b32_e32 v1, 0x7ff, v1
	s_and_not1_saveexec_b32 s7, s7
	s_cbranch_execz .LBB229_74
	s_branch .LBB229_73
.LBB229_72:                             ;   in Loop: Header=BB229_70 Depth=2
	s_and_not1_saveexec_b32 s7, s7
	s_cbranch_execz .LBB229_74
.LBB229_73:                             ;   in Loop: Header=BB229_70 Depth=2
	v_mov_b32_e32 v14, s33
	s_and_not1_b32 s6, s6, exec_lo
	ds_cmpstore_rtn_b32 v13, v13, v12, v14
	s_wait_dscnt 0x0
	v_cmp_ne_u32_e32 vcc_lo, s33, v13
	s_and_b32 s8, vcc_lo, exec_lo
	s_delay_alu instid0(SALU_CYCLE_1)
	s_or_b32 s6, s6, s8
.LBB229_74:                             ;   in Loop: Header=BB229_70 Depth=2
	s_or_b32 exec_lo, exec_lo, s7
	s_mov_b32 s7, -1
                                        ; implicit-def: $vgpr13
                                        ; implicit-def: $vgpr14
	s_and_saveexec_b32 s8, s6
	s_cbranch_execz .LBB229_69
; %bb.75:                               ;   in Loop: Header=BB229_70 Depth=2
	v_lshl_add_u32 v13, v1, 2, 0
	ds_load_b32 v14, v13
	s_wait_dscnt 0x0
	v_cmp_eq_u32_e32 vcc_lo, v14, v12
	s_or_not1_b32 s7, vcc_lo, exec_lo
	s_branch .LBB229_69
.LBB229_76:
	s_or_b32 exec_lo, exec_lo, s16
	s_wait_kmcnt 0x0
	s_ashr_i32 s29, s28, 31
	s_delay_alu instid0(SALU_CYCLE_1) | instskip(NEXT) | instid1(SALU_CYCLE_1)
	s_lshl_b64 s[0:1], s[28:29], 3
	s_add_nc_u64 s[4:5], s[18:19], s[0:1]
	s_load_b128 s[0:3], s[4:5], 0x0
	s_wait_xcnt 0x0
	s_mov_b32 s4, exec_lo
	s_wait_kmcnt 0x0
	s_sub_co_i32 s3, s2, s0
	s_delay_alu instid0(SALU_CYCLE_1)
	v_cmpx_gt_i32_e64 s3, v0
	s_cbranch_execz .LBB229_86
; %bb.77:
	s_sub_co_i32 s4, s0, s2
	s_and_b32 s2, s3, 7
	s_cmp_lt_u32 s4, -7
	s_mov_b32 s23, 0
	s_cselect_b32 s4, -1, 0
	s_and_b32 s5, s3, -8
	s_cmp_lg_u32 s2, 0
	s_sub_nc_u64 s[0:1], s[0:1], s[22:23]
	s_cselect_b32 s6, -1, 0
	s_mov_b32 s7, 0
	s_branch .LBB229_79
.LBB229_78:                             ;   in Loop: Header=BB229_79 Depth=1
	s_wait_dscnt 0x0
	v_mul_lo_u32 v4, v0, 12
	v_add_nc_u32_e32 v0, 0x400, v0
	s_delay_alu instid0(VALU_DEP_3) | instskip(NEXT) | instid1(VALU_DEP_2)
	v_lshl_add_u64 v[2:3], v[2:3], 4, s[34:35]
	v_cmp_le_i32_e32 vcc_lo, s3, v0
	s_or_b32 s7, vcc_lo, s7
	s_delay_alu instid0(VALU_DEP_4)
	v_add3_u32 v1, v1, v4, 0x2000
	ds_load_2addr_b64 v[4:7], v1 offset1:1
	s_wait_dscnt 0x0
	global_store_b128 v[2:3], v[4:7], off
	s_wait_xcnt 0x0
	s_and_not1_b32 exec_lo, exec_lo, s7
	s_cbranch_execz .LBB229_86
.LBB229_79:                             ; =>This Loop Header: Depth=1
                                        ;     Child Loop BB229_81 Depth 2
                                        ;     Child Loop BB229_85 Depth 2
	v_lshl_add_u32 v1, v0, 2, 0
	v_mov_b64_e32 v[2:3], s[0:1]
	s_and_not1_b32 vcc_lo, exec_lo, s4
	s_mov_b32 s8, 0
	ds_load_b32 v4, v1
	s_cbranch_vccnz .LBB229_83
; %bb.80:                               ;   in Loop: Header=BB229_79 Depth=1
	v_mov_b64_e32 v[2:3], s[0:1]
	s_mov_b32 s9, 0
.LBB229_81:                             ;   Parent Loop BB229_79 Depth=1
                                        ; =>  This Inner Loop Header: Depth=2
	s_delay_alu instid0(SALU_CYCLE_1)
	v_dual_mov_b32 v5, s9 :: v_dual_mov_b32 v11, s23
	v_mov_b32_e32 v17, s23
	s_add_co_i32 s8, s8, 8
	s_add_co_i32 s9, s9, 32
	ds_load_2addr_b32 v[6:7], v5 offset1:1
	ds_load_2addr_b32 v[8:9], v5 offset0:2 offset1:3
	ds_load_2addr_b32 v[12:13], v5 offset0:4 offset1:5
	;; [unrolled: 1-line block ×3, first 2 shown]
	s_cmp_eq_u32 s5, s8
	s_wait_dscnt 0x3
	v_cmp_gt_i32_e32 vcc_lo, v4, v6
	v_cndmask_b32_e64 v10, 0, 1, vcc_lo
	v_cmp_gt_i32_e32 vcc_lo, v4, v7
	v_mov_b32_e32 v7, s23
	s_delay_alu instid0(VALU_DEP_3) | instskip(SKIP_4) | instid1(VALU_DEP_3)
	v_add_nc_u64_e32 v[2:3], v[2:3], v[10:11]
	v_cndmask_b32_e64 v16, 0, 1, vcc_lo
	s_wait_dscnt 0x2
	v_cmp_gt_i32_e32 vcc_lo, v4, v8
	v_cndmask_b32_e64 v6, 0, 1, vcc_lo
	v_add_nc_u64_e32 v[2:3], v[2:3], v[16:17]
	v_cmp_gt_i32_e32 vcc_lo, v4, v9
	v_mov_b32_e32 v9, s23
	v_cndmask_b32_e64 v10, 0, 1, vcc_lo
	s_delay_alu instid0(VALU_DEP_4) | instskip(SKIP_3) | instid1(VALU_DEP_3)
	v_add_nc_u64_e32 v[2:3], v[2:3], v[6:7]
	s_wait_dscnt 0x1
	v_cmp_gt_i32_e32 vcc_lo, v4, v12
	v_cndmask_b32_e64 v6, 0, 1, vcc_lo
	v_add_nc_u64_e32 v[2:3], v[2:3], v[10:11]
	v_cmp_gt_i32_e32 vcc_lo, v4, v13
	v_cndmask_b32_e64 v8, 0, 1, vcc_lo
	s_delay_alu instid0(VALU_DEP_3) | instskip(SKIP_3) | instid1(VALU_DEP_3)
	v_add_nc_u64_e32 v[2:3], v[2:3], v[6:7]
	s_wait_dscnt 0x0
	v_cmp_gt_i32_e32 vcc_lo, v4, v14
	v_cndmask_b32_e64 v6, 0, 1, vcc_lo
	v_add_nc_u64_e32 v[2:3], v[2:3], v[8:9]
	v_cmp_gt_i32_e32 vcc_lo, v4, v15
	v_cndmask_b32_e64 v8, 0, 1, vcc_lo
	s_delay_alu instid0(VALU_DEP_3) | instskip(NEXT) | instid1(VALU_DEP_1)
	v_add_nc_u64_e32 v[2:3], v[2:3], v[6:7]
	v_add_nc_u64_e32 v[2:3], v[2:3], v[8:9]
	s_cbranch_scc0 .LBB229_81
; %bb.82:                               ;   in Loop: Header=BB229_79 Depth=1
	s_mov_b32 s8, s5
.LBB229_83:                             ;   in Loop: Header=BB229_79 Depth=1
	s_and_not1_b32 vcc_lo, exec_lo, s6
	s_cbranch_vccnz .LBB229_78
; %bb.84:                               ;   in Loop: Header=BB229_79 Depth=1
	s_lshl_b32 s8, s8, 2
	s_mov_b32 s9, s2
	s_add_co_i32 s8, s8, 0
.LBB229_85:                             ;   Parent Loop BB229_79 Depth=1
                                        ; =>  This Inner Loop Header: Depth=2
	s_delay_alu instid0(SALU_CYCLE_1)
	v_dual_mov_b32 v5, s8 :: v_dual_mov_b32 v7, s23
	s_add_co_i32 s9, s9, -1
	s_add_co_i32 s8, s8, 4
	s_cmp_lg_u32 s9, 0
	ds_load_b32 v5, v5
	s_wait_dscnt 0x0
	v_cmp_gt_i32_e32 vcc_lo, v4, v5
	v_cndmask_b32_e64 v6, 0, 1, vcc_lo
	s_delay_alu instid0(VALU_DEP_1)
	v_add_nc_u64_e32 v[2:3], v[2:3], v[6:7]
	s_cbranch_scc1 .LBB229_85
	s_branch .LBB229_78
.LBB229_86:
	s_endpgm
	.section	.rodata,"a",@progbits
	.p2align	6, 0x0
	.amdhsa_kernel _ZN9rocsparseL41csrgemm_numeric_fill_block_per_row_kernelILj1024ELj32ELj2048ELj137ELj64Eli21rocsparse_complex_numIdEEEvT5_PKS3_S5_NS_24const_host_device_scalarIT6_EEPKT4_S5_PKS7_SB_S5_SD_S8_SB_S5_SD_SB_S5_PS7_21rocsparse_index_base_SF_SF_SF_bbb
		.amdhsa_group_segment_fixed_size 0
		.amdhsa_private_segment_fixed_size 40
		.amdhsa_kernarg_size 172
		.amdhsa_user_sgpr_count 2
		.amdhsa_user_sgpr_dispatch_ptr 0
		.amdhsa_user_sgpr_queue_ptr 0
		.amdhsa_user_sgpr_kernarg_segment_ptr 1
		.amdhsa_user_sgpr_dispatch_id 0
		.amdhsa_user_sgpr_kernarg_preload_length 0
		.amdhsa_user_sgpr_kernarg_preload_offset 0
		.amdhsa_user_sgpr_private_segment_size 0
		.amdhsa_wavefront_size32 1
		.amdhsa_uses_dynamic_stack 0
		.amdhsa_enable_private_segment 1
		.amdhsa_system_sgpr_workgroup_id_x 1
		.amdhsa_system_sgpr_workgroup_id_y 0
		.amdhsa_system_sgpr_workgroup_id_z 0
		.amdhsa_system_sgpr_workgroup_info 0
		.amdhsa_system_vgpr_workitem_id 0
		.amdhsa_next_free_vgpr 33
		.amdhsa_next_free_sgpr 44
		.amdhsa_named_barrier_count 0
		.amdhsa_reserve_vcc 1
		.amdhsa_float_round_mode_32 0
		.amdhsa_float_round_mode_16_64 0
		.amdhsa_float_denorm_mode_32 3
		.amdhsa_float_denorm_mode_16_64 3
		.amdhsa_fp16_overflow 0
		.amdhsa_memory_ordered 1
		.amdhsa_forward_progress 1
		.amdhsa_inst_pref_size 28
		.amdhsa_round_robin_scheduling 0
		.amdhsa_exception_fp_ieee_invalid_op 0
		.amdhsa_exception_fp_denorm_src 0
		.amdhsa_exception_fp_ieee_div_zero 0
		.amdhsa_exception_fp_ieee_overflow 0
		.amdhsa_exception_fp_ieee_underflow 0
		.amdhsa_exception_fp_ieee_inexact 0
		.amdhsa_exception_int_div_zero 0
	.end_amdhsa_kernel
	.section	.text._ZN9rocsparseL41csrgemm_numeric_fill_block_per_row_kernelILj1024ELj32ELj2048ELj137ELj64Eli21rocsparse_complex_numIdEEEvT5_PKS3_S5_NS_24const_host_device_scalarIT6_EEPKT4_S5_PKS7_SB_S5_SD_S8_SB_S5_SD_SB_S5_PS7_21rocsparse_index_base_SF_SF_SF_bbb,"axG",@progbits,_ZN9rocsparseL41csrgemm_numeric_fill_block_per_row_kernelILj1024ELj32ELj2048ELj137ELj64Eli21rocsparse_complex_numIdEEEvT5_PKS3_S5_NS_24const_host_device_scalarIT6_EEPKT4_S5_PKS7_SB_S5_SD_S8_SB_S5_SD_SB_S5_PS7_21rocsparse_index_base_SF_SF_SF_bbb,comdat
.Lfunc_end229:
	.size	_ZN9rocsparseL41csrgemm_numeric_fill_block_per_row_kernelILj1024ELj32ELj2048ELj137ELj64Eli21rocsparse_complex_numIdEEEvT5_PKS3_S5_NS_24const_host_device_scalarIT6_EEPKT4_S5_PKS7_SB_S5_SD_S8_SB_S5_SD_SB_S5_PS7_21rocsparse_index_base_SF_SF_SF_bbb, .Lfunc_end229-_ZN9rocsparseL41csrgemm_numeric_fill_block_per_row_kernelILj1024ELj32ELj2048ELj137ELj64Eli21rocsparse_complex_numIdEEEvT5_PKS3_S5_NS_24const_host_device_scalarIT6_EEPKT4_S5_PKS7_SB_S5_SD_S8_SB_S5_SD_SB_S5_PS7_21rocsparse_index_base_SF_SF_SF_bbb
                                        ; -- End function
	.set _ZN9rocsparseL41csrgemm_numeric_fill_block_per_row_kernelILj1024ELj32ELj2048ELj137ELj64Eli21rocsparse_complex_numIdEEEvT5_PKS3_S5_NS_24const_host_device_scalarIT6_EEPKT4_S5_PKS7_SB_S5_SD_S8_SB_S5_SD_SB_S5_PS7_21rocsparse_index_base_SF_SF_SF_bbb.num_vgpr, 33
	.set _ZN9rocsparseL41csrgemm_numeric_fill_block_per_row_kernelILj1024ELj32ELj2048ELj137ELj64Eli21rocsparse_complex_numIdEEEvT5_PKS3_S5_NS_24const_host_device_scalarIT6_EEPKT4_S5_PKS7_SB_S5_SD_S8_SB_S5_SD_SB_S5_PS7_21rocsparse_index_base_SF_SF_SF_bbb.num_agpr, 0
	.set _ZN9rocsparseL41csrgemm_numeric_fill_block_per_row_kernelILj1024ELj32ELj2048ELj137ELj64Eli21rocsparse_complex_numIdEEEvT5_PKS3_S5_NS_24const_host_device_scalarIT6_EEPKT4_S5_PKS7_SB_S5_SD_S8_SB_S5_SD_SB_S5_PS7_21rocsparse_index_base_SF_SF_SF_bbb.numbered_sgpr, 44
	.set _ZN9rocsparseL41csrgemm_numeric_fill_block_per_row_kernelILj1024ELj32ELj2048ELj137ELj64Eli21rocsparse_complex_numIdEEEvT5_PKS3_S5_NS_24const_host_device_scalarIT6_EEPKT4_S5_PKS7_SB_S5_SD_S8_SB_S5_SD_SB_S5_PS7_21rocsparse_index_base_SF_SF_SF_bbb.num_named_barrier, 0
	.set _ZN9rocsparseL41csrgemm_numeric_fill_block_per_row_kernelILj1024ELj32ELj2048ELj137ELj64Eli21rocsparse_complex_numIdEEEvT5_PKS3_S5_NS_24const_host_device_scalarIT6_EEPKT4_S5_PKS7_SB_S5_SD_S8_SB_S5_SD_SB_S5_PS7_21rocsparse_index_base_SF_SF_SF_bbb.private_seg_size, 40
	.set _ZN9rocsparseL41csrgemm_numeric_fill_block_per_row_kernelILj1024ELj32ELj2048ELj137ELj64Eli21rocsparse_complex_numIdEEEvT5_PKS3_S5_NS_24const_host_device_scalarIT6_EEPKT4_S5_PKS7_SB_S5_SD_S8_SB_S5_SD_SB_S5_PS7_21rocsparse_index_base_SF_SF_SF_bbb.uses_vcc, 1
	.set _ZN9rocsparseL41csrgemm_numeric_fill_block_per_row_kernelILj1024ELj32ELj2048ELj137ELj64Eli21rocsparse_complex_numIdEEEvT5_PKS3_S5_NS_24const_host_device_scalarIT6_EEPKT4_S5_PKS7_SB_S5_SD_S8_SB_S5_SD_SB_S5_PS7_21rocsparse_index_base_SF_SF_SF_bbb.uses_flat_scratch, 1
	.set _ZN9rocsparseL41csrgemm_numeric_fill_block_per_row_kernelILj1024ELj32ELj2048ELj137ELj64Eli21rocsparse_complex_numIdEEEvT5_PKS3_S5_NS_24const_host_device_scalarIT6_EEPKT4_S5_PKS7_SB_S5_SD_S8_SB_S5_SD_SB_S5_PS7_21rocsparse_index_base_SF_SF_SF_bbb.has_dyn_sized_stack, 0
	.set _ZN9rocsparseL41csrgemm_numeric_fill_block_per_row_kernelILj1024ELj32ELj2048ELj137ELj64Eli21rocsparse_complex_numIdEEEvT5_PKS3_S5_NS_24const_host_device_scalarIT6_EEPKT4_S5_PKS7_SB_S5_SD_S8_SB_S5_SD_SB_S5_PS7_21rocsparse_index_base_SF_SF_SF_bbb.has_recursion, 0
	.set _ZN9rocsparseL41csrgemm_numeric_fill_block_per_row_kernelILj1024ELj32ELj2048ELj137ELj64Eli21rocsparse_complex_numIdEEEvT5_PKS3_S5_NS_24const_host_device_scalarIT6_EEPKT4_S5_PKS7_SB_S5_SD_S8_SB_S5_SD_SB_S5_PS7_21rocsparse_index_base_SF_SF_SF_bbb.has_indirect_call, 0
	.section	.AMDGPU.csdata,"",@progbits
; Kernel info:
; codeLenInByte = 3540
; TotalNumSgprs: 46
; NumVgprs: 33
; ScratchSize: 40
; MemoryBound: 0
; FloatMode: 240
; IeeeMode: 1
; LDSByteSize: 0 bytes/workgroup (compile time only)
; SGPRBlocks: 0
; VGPRBlocks: 2
; NumSGPRsForWavesPerEU: 46
; NumVGPRsForWavesPerEU: 33
; NamedBarCnt: 0
; Occupancy: 16
; WaveLimiterHint : 1
; COMPUTE_PGM_RSRC2:SCRATCH_EN: 1
; COMPUTE_PGM_RSRC2:USER_SGPR: 2
; COMPUTE_PGM_RSRC2:TRAP_HANDLER: 0
; COMPUTE_PGM_RSRC2:TGID_X_EN: 1
; COMPUTE_PGM_RSRC2:TGID_Y_EN: 0
; COMPUTE_PGM_RSRC2:TGID_Z_EN: 0
; COMPUTE_PGM_RSRC2:TIDIG_COMP_CNT: 0
	.section	.text._ZN9rocsparseL41csrgemm_numeric_fill_block_per_row_kernelILj1024ELj64ELj4096ELj137ELj32Eli21rocsparse_complex_numIdEEEvT5_PKS3_S5_NS_24const_host_device_scalarIT6_EEPKT4_S5_PKS7_SB_S5_SD_S8_SB_S5_SD_SB_S5_PS7_21rocsparse_index_base_SF_SF_SF_bbb,"axG",@progbits,_ZN9rocsparseL41csrgemm_numeric_fill_block_per_row_kernelILj1024ELj64ELj4096ELj137ELj32Eli21rocsparse_complex_numIdEEEvT5_PKS3_S5_NS_24const_host_device_scalarIT6_EEPKT4_S5_PKS7_SB_S5_SD_S8_SB_S5_SD_SB_S5_PS7_21rocsparse_index_base_SF_SF_SF_bbb,comdat
	.globl	_ZN9rocsparseL41csrgemm_numeric_fill_block_per_row_kernelILj1024ELj64ELj4096ELj137ELj32Eli21rocsparse_complex_numIdEEEvT5_PKS3_S5_NS_24const_host_device_scalarIT6_EEPKT4_S5_PKS7_SB_S5_SD_S8_SB_S5_SD_SB_S5_PS7_21rocsparse_index_base_SF_SF_SF_bbb ; -- Begin function _ZN9rocsparseL41csrgemm_numeric_fill_block_per_row_kernelILj1024ELj64ELj4096ELj137ELj32Eli21rocsparse_complex_numIdEEEvT5_PKS3_S5_NS_24const_host_device_scalarIT6_EEPKT4_S5_PKS7_SB_S5_SD_S8_SB_S5_SD_SB_S5_PS7_21rocsparse_index_base_SF_SF_SF_bbb
	.p2align	8
	.type	_ZN9rocsparseL41csrgemm_numeric_fill_block_per_row_kernelILj1024ELj64ELj4096ELj137ELj32Eli21rocsparse_complex_numIdEEEvT5_PKS3_S5_NS_24const_host_device_scalarIT6_EEPKT4_S5_PKS7_SB_S5_SD_S8_SB_S5_SD_SB_S5_PS7_21rocsparse_index_base_SF_SF_SF_bbb,@function
_ZN9rocsparseL41csrgemm_numeric_fill_block_per_row_kernelILj1024ELj64ELj4096ELj137ELj32Eli21rocsparse_complex_numIdEEEvT5_PKS3_S5_NS_24const_host_device_scalarIT6_EEPKT4_S5_PKS7_SB_S5_SD_S8_SB_S5_SD_SB_S5_PS7_21rocsparse_index_base_SF_SF_SF_bbb: ; @_ZN9rocsparseL41csrgemm_numeric_fill_block_per_row_kernelILj1024ELj64ELj4096ELj137ELj32Eli21rocsparse_complex_numIdEEEvT5_PKS3_S5_NS_24const_host_device_scalarIT6_EEPKT4_S5_PKS7_SB_S5_SD_S8_SB_S5_SD_SB_S5_PS7_21rocsparse_index_base_SF_SF_SF_bbb
; %bb.0:
	s_clause 0x3
	s_load_b32 s12, s[0:1], 0xa8
	s_load_b128 s[8:11], s[0:1], 0x18
	s_load_b128 s[4:7], s[0:1], 0x58
	;; [unrolled: 1-line block ×3, first 2 shown]
	v_mov_b64_e32 v[6:7], 0
	v_mov_b64_e32 v[10:11], 0
	;; [unrolled: 1-line block ×3, first 2 shown]
	v_mbcnt_lo_u32_b32 v29, -1, 0
	s_wait_kmcnt 0x0
	s_bitcmp1_b32 s12, 0
	v_mov_b64_e32 v[2:3], s[8:9]
	s_cselect_b32 s3, -1, 0
	s_bitcmp1_b32 s12, 16
	v_mov_b64_e32 v[4:5], s[4:5]
	s_cselect_b32 s2, -1, 0
	s_clause 0x1
	scratch_store_b64 off, v[2:3], off offset:16
	scratch_store_b64 off, v[4:5], off offset:24
	s_xor_b32 s13, s2, -1
	s_bitcmp0_b32 s12, 0
	v_cndmask_b32_e64 v1, 0, 1, s13
	s_delay_alu instid0(VALU_DEP_1)
	v_cmp_ne_u32_e32 vcc_lo, 1, v1
	s_cbranch_scc1 .LBB230_3
; %bb.1:
	s_wait_xcnt 0x1
	v_dual_mov_b32 v2, 16 :: v_dual_lshlrev_b32 v3, 20, v29
	v_mov_b64_e32 v[12:13], s[10:11]
	s_and_b32 vcc_lo, exec_lo, vcc_lo
	s_delay_alu instid0(VALU_DEP_2) | instskip(NEXT) | instid1(VALU_DEP_1)
	v_add_nc_u64_e32 v[2:3], src_flat_scratch_base_lo, v[2:3]
	v_cndmask_b32_e64 v3, s9, v3, s2
	s_delay_alu instid0(VALU_DEP_2)
	v_cndmask_b32_e64 v2, s8, v2, s2
	flat_load_b64 v[10:11], v[2:3]
	s_cbranch_vccnz .LBB230_3
; %bb.2:
	v_mov_b32_e32 v1, 0
	flat_load_b64 v[12:13], v1, s[8:9] offset:8
.LBB230_3:
	s_load_b128 s[16:19], s[0:1], 0x8
	v_mov_b64_e32 v[8:9], 0
	s_bitcmp1_b32 s12, 8
	s_cselect_b32 s20, -1, 0
	s_bfe_u32 s8, s12, 0x10008
	s_delay_alu instid0(SALU_CYCLE_1)
	s_cmp_eq_u32 s8, 0
	s_cbranch_scc1 .LBB230_6
; %bb.4:
	v_dual_mov_b32 v2, 24 :: v_dual_lshlrev_b32 v3, 20, v29
	v_mov_b64_e32 v[6:7], s[6:7]
	s_and_not1_b32 vcc_lo, exec_lo, s13
	s_delay_alu instid0(VALU_DEP_2) | instskip(NEXT) | instid1(VALU_DEP_1)
	v_add_nc_u64_e32 v[2:3], src_flat_scratch_base_lo, v[2:3]
	v_cndmask_b32_e64 v3, s5, v3, s2
	s_delay_alu instid0(VALU_DEP_2)
	v_cndmask_b32_e64 v2, s4, v2, s2
	flat_load_b64 v[8:9], v[2:3]
	s_cbranch_vccnz .LBB230_6
; %bb.5:
	v_mov_b32_e32 v1, 0
	flat_load_b64 v[6:7], v1, s[4:5] offset:8
.LBB230_6:
	s_clause 0x4
	s_load_b32 s33, s[0:1], 0x0
	s_load_b64 s[34:35], s[0:1], 0x90
	s_load_b256 s[36:43], s[0:1], 0x68
	s_load_b128 s[12:15], s[0:1], 0x48
	s_load_b256 s[4:11], s[0:1], 0x28
	v_or_b32_e32 v26, 0xfffffc00, v0
	v_lshlrev_b32_e32 v1, 4, v0
	s_wait_xcnt 0x0
	s_mov_b32 s0, 0
	v_lshl_add_u32 v27, v0, 2, 0
	s_mov_b32 s1, s0
	v_mov_b32_e32 v14, v26
	v_add3_u32 v28, v1, 0, 0x4000
	s_mov_b32 s22, s0
	s_mov_b32 s23, s0
	v_mov_b64_e32 v[2:3], s[0:1]
	v_mov_b64_e32 v[4:5], s[22:23]
	v_dual_mov_b32 v1, v27 :: v_dual_mov_b32 v16, v28
	s_wait_kmcnt 0x0
	v_mov_b32_e32 v15, s33
.LBB230_7:                              ; =>This Inner Loop Header: Depth=1
	v_add_nc_u32_e32 v14, 0x400, v14
	ds_store_b32 v1, v15
	ds_store_2addr_b64 v16, v[2:3], v[4:5] offset1:1
	v_add_nc_u32_e32 v16, 0x4000, v16
	v_add_nc_u32_e32 v1, 0x1000, v1
	v_cmp_lt_u32_e32 vcc_lo, 0xbff, v14
	s_or_b32 s0, vcc_lo, s0
	s_delay_alu instid0(SALU_CYCLE_1)
	s_and_not1_b32 exec_lo, exec_lo, s0
	s_cbranch_execnz .LBB230_7
; %bb.8:
	s_or_b32 exec_lo, exec_lo, s0
	s_wait_storecnt 0x0
	s_wait_loadcnt_dscnt 0x0
	s_barrier_signal -1
	s_barrier_wait -1
	s_load_b32 s0, s[16:17], 0x0
	s_bfe_u32 s1, ttmp6, 0x4000c
	s_and_b32 s2, ttmp6, 15
	s_add_co_i32 s1, s1, 1
	s_wait_xcnt 0x0
	s_getreg_b32 s16, hwreg(HW_REG_IB_STS2, 6, 4)
	s_mul_i32 s1, ttmp9, s1
	s_delay_alu instid0(SALU_CYCLE_1)
	s_add_co_i32 s2, s2, s1
	s_cmp_eq_u32 s16, 0
	s_cselect_b32 s1, ttmp9, s2
	s_and_b32 vcc_lo, exec_lo, s3
	s_wait_kmcnt 0x0
	s_add_co_i32 s0, s0, s1
	s_mov_b32 s1, 0
	s_load_b32 s48, s[18:19], s0 offset:0x0 scale_offset
	s_cbranch_vccz .LBB230_26
; %bb.9:
	s_wait_kmcnt 0x0
	s_ashr_i32 s49, s48, 31
	v_dual_mov_b32 v3, 0 :: v_dual_lshrrev_b32 v2, 6, v0
	s_lshl_b64 s[2:3], s[48:49], 3
	s_mov_b32 s0, s44
	s_add_nc_u64 s[2:3], s[4:5], s[2:3]
	s_mov_b32 s4, exec_lo
	s_load_b128 s[16:19], s[2:3], 0x0
	v_sub_nc_u64_e64 v[4:5], v[2:3], s[0:1]
	s_wait_kmcnt 0x0
	s_delay_alu instid0(VALU_DEP_1)
	v_add_nc_u64_e32 v[14:15], s[16:17], v[4:5]
	s_sub_nc_u64 s[0:1], s[18:19], s[0:1]
	s_delay_alu instid0(VALU_DEP_1) | instid1(SALU_CYCLE_1)
	v_cmpx_gt_i64_e64 s[0:1], v[14:15]
	s_cbranch_execz .LBB230_25
; %bb.10:
	v_and_b32_e32 v2, 63, v0
	s_mov_b32 s3, 0
	s_mov_b32 s2, s45
	;; [unrolled: 1-line block ×3, first 2 shown]
	s_delay_alu instid0(VALU_DEP_1)
	v_sub_nc_u64_e64 v[16:17], v[2:3], s[2:3]
	s_branch .LBB230_12
.LBB230_11:                             ;   in Loop: Header=BB230_12 Depth=1
	s_or_b32 exec_lo, exec_lo, s16
	v_add_nc_u64_e32 v[14:15], 16, v[14:15]
	s_delay_alu instid0(VALU_DEP_1) | instskip(SKIP_1) | instid1(SALU_CYCLE_1)
	v_cmp_le_i64_e32 vcc_lo, s[0:1], v[14:15]
	s_or_b32 s5, vcc_lo, s5
	s_and_not1_b32 exec_lo, exec_lo, s5
	s_cbranch_execz .LBB230_25
.LBB230_12:                             ; =>This Loop Header: Depth=1
                                        ;     Child Loop BB230_16 Depth 2
                                        ;       Child Loop BB230_19 Depth 3
	v_lshl_add_u64 v[2:3], v[14:15], 2, s[6:7]
	s_mov_b32 s16, exec_lo
	global_load_b32 v1, v[2:3], off
	s_wait_loadcnt 0x0
	s_wait_xcnt 0x0
	v_subrev_nc_u32_e32 v2, s44, v1
	s_delay_alu instid0(VALU_DEP_1) | instskip(NEXT) | instid1(VALU_DEP_1)
	v_ashrrev_i32_e32 v3, 31, v2
	v_lshl_add_u64 v[2:3], v[2:3], 3, s[10:11]
	global_load_b128 v[2:5], v[2:3], off
	s_wait_loadcnt 0x0
	v_sub_nc_u64_e64 v[18:19], v[4:5], s[2:3]
	v_add_nc_u64_e32 v[20:21], v[2:3], v[16:17]
	s_wait_xcnt 0x0
	s_delay_alu instid0(VALU_DEP_1)
	v_cmpx_lt_i64_e64 v[20:21], v[18:19]
	s_cbranch_execz .LBB230_11
; %bb.13:                               ;   in Loop: Header=BB230_12 Depth=1
	v_lshl_add_u64 v[2:3], v[14:15], 4, s[8:9]
	s_mov_b32 s17, 0
	global_load_b128 v[2:5], v[2:3], off
	s_wait_loadcnt 0x0
	v_mul_f64_e64 v[22:23], v[4:5], -v[12:13]
	v_mul_f64_e32 v[24:25], v[10:11], v[4:5]
	s_delay_alu instid0(VALU_DEP_2) | instskip(NEXT) | instid1(VALU_DEP_2)
	v_fmac_f64_e32 v[22:23], v[10:11], v[2:3]
	v_fmac_f64_e32 v[24:25], v[12:13], v[2:3]
	s_branch .LBB230_16
.LBB230_14:                             ;   in Loop: Header=BB230_16 Depth=2
	s_or_b32 exec_lo, exec_lo, s19
.LBB230_15:                             ;   in Loop: Header=BB230_16 Depth=2
	s_delay_alu instid0(SALU_CYCLE_1)
	s_or_b32 exec_lo, exec_lo, s18
	s_wait_loadcnt 0x0
	v_mul_f64_e64 v[30:31], v[4:5], -v[24:25]
	v_mul_f64_e32 v[4:5], v[22:23], v[4:5]
	v_lshl_add_u32 v1, v1, 4, 0
	v_add_nc_u64_e32 v[20:21], 64, v[20:21]
	s_delay_alu instid0(VALU_DEP_1)
	v_cmp_ge_i64_e32 vcc_lo, v[20:21], v[18:19]
	s_or_b32 s17, vcc_lo, s17
	v_fmac_f64_e32 v[30:31], v[22:23], v[2:3]
	v_fmac_f64_e32 v[4:5], v[24:25], v[2:3]
	ds_add_f64 v1, v[30:31] offset:16384
	ds_add_f64 v1, v[4:5] offset:16392
	s_and_not1_b32 exec_lo, exec_lo, s17
	s_cbranch_execz .LBB230_11
.LBB230_16:                             ;   Parent Loop BB230_12 Depth=1
                                        ; =>  This Loop Header: Depth=2
                                        ;       Child Loop BB230_19 Depth 3
	s_wait_xcnt 0x0
	v_lshl_add_u64 v[2:3], v[20:21], 2, s[12:13]
	s_mov_b32 s18, exec_lo
	global_load_b32 v1, v[2:3], off
	s_wait_xcnt 0x0
	v_lshl_add_u64 v[2:3], v[20:21], 4, s[14:15]
	global_load_b128 v[2:5], v[2:3], off
	s_wait_loadcnt 0x1
	v_subrev_nc_u32_e32 v30, s45, v1
	s_delay_alu instid0(VALU_DEP_1) | instskip(NEXT) | instid1(VALU_DEP_1)
	v_mul_lo_u32 v1, 0x89, v30
	v_and_b32_e32 v1, 0xfff, v1
	s_delay_alu instid0(VALU_DEP_1)
	v_lshl_add_u32 v31, v1, 2, 0
	ds_load_b32 v32, v31
	s_wait_dscnt 0x0
	s_wait_xcnt 0x0
	v_cmpx_ne_u32_e64 v32, v30
	s_cbranch_execz .LBB230_15
; %bb.17:                               ;   in Loop: Header=BB230_16 Depth=2
	s_mov_b32 s19, 0
	s_branch .LBB230_19
.LBB230_18:                             ;   in Loop: Header=BB230_19 Depth=3
	s_or_b32 exec_lo, exec_lo, s23
	s_delay_alu instid0(SALU_CYCLE_1) | instskip(NEXT) | instid1(SALU_CYCLE_1)
	s_and_b32 s21, exec_lo, s22
	s_or_b32 s19, s21, s19
	s_delay_alu instid0(SALU_CYCLE_1)
	s_and_not1_b32 exec_lo, exec_lo, s19
	s_cbranch_execz .LBB230_14
.LBB230_19:                             ;   Parent Loop BB230_12 Depth=1
                                        ;     Parent Loop BB230_16 Depth=2
                                        ; =>    This Inner Loop Header: Depth=3
	s_mov_b32 s21, 0
	s_mov_b32 s22, exec_lo
	v_cmpx_ne_u32_e64 s33, v32
	s_xor_b32 s22, exec_lo, s22
	s_cbranch_execz .LBB230_21
; %bb.20:                               ;   in Loop: Header=BB230_19 Depth=3
	v_add_nc_u32_e32 v1, 1, v1
	s_mov_b32 s21, exec_lo
                                        ; implicit-def: $vgpr31
	s_delay_alu instid0(VALU_DEP_1)
	v_and_b32_e32 v1, 0xfff, v1
	s_and_not1_saveexec_b32 s22, s22
	s_cbranch_execz .LBB230_23
	s_branch .LBB230_22
.LBB230_21:                             ;   in Loop: Header=BB230_19 Depth=3
	s_and_not1_saveexec_b32 s22, s22
	s_cbranch_execz .LBB230_23
.LBB230_22:                             ;   in Loop: Header=BB230_19 Depth=3
	v_mov_b32_e32 v32, s33
	s_and_not1_b32 s21, s21, exec_lo
	ds_cmpstore_rtn_b32 v31, v31, v30, v32
	s_wait_dscnt 0x0
	v_cmp_ne_u32_e32 vcc_lo, s33, v31
	s_and_b32 s23, vcc_lo, exec_lo
	s_delay_alu instid0(SALU_CYCLE_1)
	s_or_b32 s21, s21, s23
.LBB230_23:                             ;   in Loop: Header=BB230_19 Depth=3
	s_or_b32 exec_lo, exec_lo, s22
	s_mov_b32 s22, -1
                                        ; implicit-def: $vgpr31
                                        ; implicit-def: $vgpr32
	s_and_saveexec_b32 s23, s21
	s_cbranch_execz .LBB230_18
; %bb.24:                               ;   in Loop: Header=BB230_19 Depth=3
	v_lshl_add_u32 v31, v1, 2, 0
	ds_load_b32 v32, v31
	s_wait_dscnt 0x0
	v_cmp_eq_u32_e32 vcc_lo, v32, v30
	s_or_not1_b32 s22, vcc_lo, exec_lo
	s_branch .LBB230_18
.LBB230_25:
	s_or_b32 exec_lo, exec_lo, s4
.LBB230_26:
	s_delay_alu instid0(SALU_CYCLE_1)
	s_and_not1_b32 vcc_lo, exec_lo, s20
	s_cbranch_vccnz .LBB230_29
; %bb.27:
	s_wait_kmcnt 0x0
	s_ashr_i32 s49, s48, 31
	v_mov_b32_e32 v1, 0
	s_lshl_b64 s[0:1], s[48:49], 3
	s_delay_alu instid0(SALU_CYCLE_1) | instskip(SKIP_4) | instid1(SALU_CYCLE_1)
	s_add_nc_u64 s[0:1], s[36:37], s[0:1]
	s_load_b128 s[4:7], s[0:1], 0x0
	s_wait_xcnt 0x0
	s_mov_b32 s1, 0
	s_mov_b32 s0, s47
	v_sub_nc_u64_e64 v[2:3], v[0:1], s[0:1]
	s_wait_kmcnt 0x0
	s_delay_alu instid0(VALU_DEP_1) | instskip(SKIP_2) | instid1(VALU_DEP_1)
	v_add_nc_u64_e32 v[10:11], s[4:5], v[2:3]
	s_sub_nc_u64 s[2:3], s[6:7], s[0:1]
	s_mov_b32 s0, exec_lo
	v_cmpx_gt_i64_e64 s[2:3], v[10:11]
	s_cbranch_execnz .LBB230_99
.LBB230_28:
	s_or_b32 exec_lo, exec_lo, s0
.LBB230_29:
	v_dual_lshrrev_b32 v1, 3, v0 :: v_dual_bitop2_b32 v2, 31, v29 bitop3:0x14
	s_wait_xcnt 0x0
	v_cmp_lt_u32_e64 s0, 31, v0
	v_cmp_lt_u32_e64 s1, 63, v0
	;; [unrolled: 1-line block ×3, first 2 shown]
	v_and_b32_e32 v3, 0x7c, v1
	v_mov_b32_e32 v1, 0
	v_lshrrev_b32_e64 v2, v2, -1
	v_cmp_lt_u32_e64 s3, 0x7f, v0
	v_cmp_lt_u32_e64 s4, 0x9f, v0
	v_add3_u32 v3, 0x14000, 0, v3
	v_cmp_lt_u32_e64 s5, 0xbf, v0
	v_cmp_lt_u32_e64 s6, 0xdf, v0
	;; [unrolled: 1-line block ×26, first 2 shown]
	s_mov_b32 s36, 0
	s_add_co_i32 s37, 0, 0x14000
	s_add_co_i32 s38, 0, 0x14004
	;; [unrolled: 1-line block ×32, first 2 shown]
	s_wait_dscnt 0x0
	s_barrier_signal -1
	s_barrier_wait -1
	v_cmp_eq_u32_e32 vcc_lo, 0x3ff, v0
	s_branch .LBB230_31
.LBB230_30:                             ;   in Loop: Header=BB230_31 Depth=1
	s_or_b32 exec_lo, exec_lo, s31
	v_dual_mov_b32 v4, s72 :: v_dual_add_nc_u32 v27, 0x1000, v27
	s_wait_dscnt 0x0
	s_barrier_signal -1
	s_barrier_wait -1
	ds_load_b32 v4, v4
	v_add_nc_u32_e32 v26, 0x400, v26
	v_add_nc_u32_e32 v28, 0x4000, v28
	s_delay_alu instid0(VALU_DEP_2)
	v_cmp_lt_u32_e64 s31, 0xbff, v26
	s_or_b32 s36, s31, s36
	s_wait_dscnt 0x0
	v_add_nc_u32_e32 v1, v4, v1
	s_and_not1_b32 exec_lo, exec_lo, s36
	s_cbranch_execz .LBB230_108
.LBB230_31:                             ; =>This Inner Loop Header: Depth=1
	ds_load_b32 v4, v27
	ds_load_2addr_b64 v[6:9], v28 offset1:1
	s_wait_dscnt 0x1
	v_cmp_gt_i32_e64 s31, s33, v4
	s_wait_dscnt 0x0
	scratch_store_b128 off, v[6:9], off
	s_wait_storecnt 0x0
	s_barrier_signal -1
	s_barrier_wait -1
	s_bcnt1_i32_b32 s73, s31
	s_wait_xcnt 0x0
	v_dual_mov_b32 v6, s73 :: v_dual_bitop2_b32 v5, s31, v2 bitop3:0x40
	s_delay_alu instid0(VALU_DEP_1)
	v_bcnt_u32_b32 v5, v5, 0
	ds_store_b32 v3, v6
	s_wait_dscnt 0x0
	s_barrier_signal -1
	s_barrier_wait -1
	s_and_saveexec_b32 s73, s0
	s_cbranch_execz .LBB230_64
; %bb.32:                               ;   in Loop: Header=BB230_31 Depth=1
	v_mov_b32_e32 v6, s37
	ds_load_b32 v6, v6
	s_wait_dscnt 0x0
	v_add_nc_u32_e32 v5, v6, v5
	s_or_b32 exec_lo, exec_lo, s73
	s_and_saveexec_b32 s73, s1
	s_cbranch_execnz .LBB230_65
.LBB230_33:                             ;   in Loop: Header=BB230_31 Depth=1
	s_or_b32 exec_lo, exec_lo, s73
	s_and_saveexec_b32 s73, s2
	s_cbranch_execz .LBB230_66
.LBB230_34:                             ;   in Loop: Header=BB230_31 Depth=1
	v_mov_b32_e32 v6, s39
	ds_load_b32 v6, v6
	s_wait_dscnt 0x0
	v_add_nc_u32_e32 v5, v6, v5
	s_or_b32 exec_lo, exec_lo, s73
	s_and_saveexec_b32 s73, s3
	s_cbranch_execnz .LBB230_67
.LBB230_35:                             ;   in Loop: Header=BB230_31 Depth=1
	s_or_b32 exec_lo, exec_lo, s73
	s_and_saveexec_b32 s73, s4
	s_cbranch_execz .LBB230_68
.LBB230_36:                             ;   in Loop: Header=BB230_31 Depth=1
	v_mov_b32_e32 v6, s41
	ds_load_b32 v6, v6
	s_wait_dscnt 0x0
	v_add_nc_u32_e32 v5, v6, v5
	s_or_b32 exec_lo, exec_lo, s73
	s_and_saveexec_b32 s73, s5
	s_cbranch_execnz .LBB230_69
.LBB230_37:                             ;   in Loop: Header=BB230_31 Depth=1
	s_or_b32 exec_lo, exec_lo, s73
	s_and_saveexec_b32 s73, s6
	s_cbranch_execz .LBB230_70
.LBB230_38:                             ;   in Loop: Header=BB230_31 Depth=1
	v_mov_b32_e32 v6, s45
	ds_load_b32 v6, v6
	s_wait_dscnt 0x0
	v_add_nc_u32_e32 v5, v6, v5
	s_or_b32 exec_lo, exec_lo, s73
	s_and_saveexec_b32 s73, s7
	s_cbranch_execnz .LBB230_71
.LBB230_39:                             ;   in Loop: Header=BB230_31 Depth=1
	s_or_b32 exec_lo, exec_lo, s73
	s_and_saveexec_b32 s73, s8
	s_cbranch_execz .LBB230_72
.LBB230_40:                             ;   in Loop: Header=BB230_31 Depth=1
	v_mov_b32_e32 v6, s49
	ds_load_b32 v6, v6
	s_wait_dscnt 0x0
	v_add_nc_u32_e32 v5, v6, v5
	s_or_b32 exec_lo, exec_lo, s73
	s_and_saveexec_b32 s73, s9
	s_cbranch_execnz .LBB230_73
.LBB230_41:                             ;   in Loop: Header=BB230_31 Depth=1
	s_or_b32 exec_lo, exec_lo, s73
	s_and_saveexec_b32 s73, s10
	s_cbranch_execz .LBB230_74
.LBB230_42:                             ;   in Loop: Header=BB230_31 Depth=1
	v_mov_b32_e32 v6, s51
	ds_load_b32 v6, v6
	s_wait_dscnt 0x0
	v_add_nc_u32_e32 v5, v6, v5
	s_or_b32 exec_lo, exec_lo, s73
	s_and_saveexec_b32 s73, s11
	s_cbranch_execnz .LBB230_75
.LBB230_43:                             ;   in Loop: Header=BB230_31 Depth=1
	s_or_b32 exec_lo, exec_lo, s73
	s_and_saveexec_b32 s73, s12
	s_cbranch_execz .LBB230_76
.LBB230_44:                             ;   in Loop: Header=BB230_31 Depth=1
	v_mov_b32_e32 v6, s53
	ds_load_b32 v6, v6
	s_wait_dscnt 0x0
	v_add_nc_u32_e32 v5, v6, v5
	s_or_b32 exec_lo, exec_lo, s73
	s_and_saveexec_b32 s73, s13
	s_cbranch_execnz .LBB230_77
.LBB230_45:                             ;   in Loop: Header=BB230_31 Depth=1
	s_or_b32 exec_lo, exec_lo, s73
	s_and_saveexec_b32 s73, s14
	s_cbranch_execz .LBB230_78
.LBB230_46:                             ;   in Loop: Header=BB230_31 Depth=1
	v_mov_b32_e32 v6, s55
	ds_load_b32 v6, v6
	s_wait_dscnt 0x0
	v_add_nc_u32_e32 v5, v6, v5
	s_or_b32 exec_lo, exec_lo, s73
	s_and_saveexec_b32 s73, s15
	s_cbranch_execnz .LBB230_79
.LBB230_47:                             ;   in Loop: Header=BB230_31 Depth=1
	s_or_b32 exec_lo, exec_lo, s73
	s_and_saveexec_b32 s73, s16
	s_cbranch_execz .LBB230_80
.LBB230_48:                             ;   in Loop: Header=BB230_31 Depth=1
	v_mov_b32_e32 v6, s57
	ds_load_b32 v6, v6
	s_wait_dscnt 0x0
	v_add_nc_u32_e32 v5, v6, v5
	s_or_b32 exec_lo, exec_lo, s73
	s_and_saveexec_b32 s73, s17
	s_cbranch_execnz .LBB230_81
.LBB230_49:                             ;   in Loop: Header=BB230_31 Depth=1
	s_or_b32 exec_lo, exec_lo, s73
	s_and_saveexec_b32 s73, s18
	s_cbranch_execz .LBB230_82
.LBB230_50:                             ;   in Loop: Header=BB230_31 Depth=1
	v_mov_b32_e32 v6, s59
	ds_load_b32 v6, v6
	s_wait_dscnt 0x0
	v_add_nc_u32_e32 v5, v6, v5
	s_or_b32 exec_lo, exec_lo, s73
	s_and_saveexec_b32 s73, s19
	s_cbranch_execnz .LBB230_83
.LBB230_51:                             ;   in Loop: Header=BB230_31 Depth=1
	s_or_b32 exec_lo, exec_lo, s73
	s_and_saveexec_b32 s73, s20
	s_cbranch_execz .LBB230_84
.LBB230_52:                             ;   in Loop: Header=BB230_31 Depth=1
	v_mov_b32_e32 v6, s61
	ds_load_b32 v6, v6
	s_wait_dscnt 0x0
	v_add_nc_u32_e32 v5, v6, v5
	s_or_b32 exec_lo, exec_lo, s73
	s_and_saveexec_b32 s73, s21
	s_cbranch_execnz .LBB230_85
.LBB230_53:                             ;   in Loop: Header=BB230_31 Depth=1
	s_or_b32 exec_lo, exec_lo, s73
	s_and_saveexec_b32 s73, s22
	s_cbranch_execz .LBB230_86
.LBB230_54:                             ;   in Loop: Header=BB230_31 Depth=1
	v_mov_b32_e32 v6, s63
	ds_load_b32 v6, v6
	s_wait_dscnt 0x0
	v_add_nc_u32_e32 v5, v6, v5
	s_or_b32 exec_lo, exec_lo, s73
	s_and_saveexec_b32 s73, s23
	s_cbranch_execnz .LBB230_87
.LBB230_55:                             ;   in Loop: Header=BB230_31 Depth=1
	s_or_b32 exec_lo, exec_lo, s73
	s_and_saveexec_b32 s73, s24
	s_cbranch_execz .LBB230_88
.LBB230_56:                             ;   in Loop: Header=BB230_31 Depth=1
	v_mov_b32_e32 v6, s65
	ds_load_b32 v6, v6
	s_wait_dscnt 0x0
	v_add_nc_u32_e32 v5, v6, v5
	s_or_b32 exec_lo, exec_lo, s73
	s_and_saveexec_b32 s73, s25
	s_cbranch_execnz .LBB230_89
.LBB230_57:                             ;   in Loop: Header=BB230_31 Depth=1
	s_or_b32 exec_lo, exec_lo, s73
	s_and_saveexec_b32 s73, s26
	s_cbranch_execz .LBB230_90
.LBB230_58:                             ;   in Loop: Header=BB230_31 Depth=1
	v_mov_b32_e32 v6, s67
	ds_load_b32 v6, v6
	s_wait_dscnt 0x0
	v_add_nc_u32_e32 v5, v6, v5
	s_or_b32 exec_lo, exec_lo, s73
	s_and_saveexec_b32 s73, s27
	s_cbranch_execnz .LBB230_91
.LBB230_59:                             ;   in Loop: Header=BB230_31 Depth=1
	s_or_b32 exec_lo, exec_lo, s73
	s_and_saveexec_b32 s73, s28
	s_cbranch_execz .LBB230_92
.LBB230_60:                             ;   in Loop: Header=BB230_31 Depth=1
	v_mov_b32_e32 v6, s69
	ds_load_b32 v6, v6
	s_wait_dscnt 0x0
	v_add_nc_u32_e32 v5, v6, v5
	s_or_b32 exec_lo, exec_lo, s73
	s_and_saveexec_b32 s73, s29
	s_cbranch_execnz .LBB230_93
.LBB230_61:                             ;   in Loop: Header=BB230_31 Depth=1
	s_or_b32 exec_lo, exec_lo, s73
	s_and_saveexec_b32 s73, s30
	s_cbranch_execz .LBB230_94
.LBB230_62:                             ;   in Loop: Header=BB230_31 Depth=1
	v_mov_b32_e32 v6, s71
	ds_load_b32 v6, v6
	s_wait_dscnt 0x0
	v_add_nc_u32_e32 v5, v6, v5
	s_or_b32 exec_lo, exec_lo, s73
	s_and_saveexec_b32 s73, s31
	s_cbranch_execnz .LBB230_95
.LBB230_63:                             ;   in Loop: Header=BB230_31 Depth=1
	s_or_b32 exec_lo, exec_lo, s73
	s_and_saveexec_b32 s31, vcc_lo
	s_cbranch_execz .LBB230_30
	s_branch .LBB230_96
.LBB230_64:                             ;   in Loop: Header=BB230_31 Depth=1
	s_or_b32 exec_lo, exec_lo, s73
	s_and_saveexec_b32 s73, s1
	s_cbranch_execz .LBB230_33
.LBB230_65:                             ;   in Loop: Header=BB230_31 Depth=1
	v_mov_b32_e32 v6, s38
	ds_load_b32 v6, v6
	s_wait_dscnt 0x0
	v_add_nc_u32_e32 v5, v6, v5
	s_or_b32 exec_lo, exec_lo, s73
	s_and_saveexec_b32 s73, s2
	s_cbranch_execnz .LBB230_34
.LBB230_66:                             ;   in Loop: Header=BB230_31 Depth=1
	s_or_b32 exec_lo, exec_lo, s73
	s_and_saveexec_b32 s73, s3
	s_cbranch_execz .LBB230_35
.LBB230_67:                             ;   in Loop: Header=BB230_31 Depth=1
	v_mov_b32_e32 v6, s40
	ds_load_b32 v6, v6
	s_wait_dscnt 0x0
	v_add_nc_u32_e32 v5, v6, v5
	s_or_b32 exec_lo, exec_lo, s73
	s_and_saveexec_b32 s73, s4
	s_cbranch_execnz .LBB230_36
.LBB230_68:                             ;   in Loop: Header=BB230_31 Depth=1
	s_or_b32 exec_lo, exec_lo, s73
	s_and_saveexec_b32 s73, s5
	s_cbranch_execz .LBB230_37
.LBB230_69:                             ;   in Loop: Header=BB230_31 Depth=1
	v_mov_b32_e32 v6, s44
	ds_load_b32 v6, v6
	s_wait_dscnt 0x0
	v_add_nc_u32_e32 v5, v6, v5
	s_or_b32 exec_lo, exec_lo, s73
	s_and_saveexec_b32 s73, s6
	s_cbranch_execnz .LBB230_38
.LBB230_70:                             ;   in Loop: Header=BB230_31 Depth=1
	s_or_b32 exec_lo, exec_lo, s73
	s_and_saveexec_b32 s73, s7
	s_cbranch_execz .LBB230_39
.LBB230_71:                             ;   in Loop: Header=BB230_31 Depth=1
	v_mov_b32_e32 v6, s47
	ds_load_b32 v6, v6
	s_wait_dscnt 0x0
	v_add_nc_u32_e32 v5, v6, v5
	s_or_b32 exec_lo, exec_lo, s73
	s_and_saveexec_b32 s73, s8
	s_cbranch_execnz .LBB230_40
.LBB230_72:                             ;   in Loop: Header=BB230_31 Depth=1
	s_or_b32 exec_lo, exec_lo, s73
	s_and_saveexec_b32 s73, s9
	s_cbranch_execz .LBB230_41
.LBB230_73:                             ;   in Loop: Header=BB230_31 Depth=1
	v_mov_b32_e32 v6, s50
	ds_load_b32 v6, v6
	s_wait_dscnt 0x0
	v_add_nc_u32_e32 v5, v6, v5
	s_or_b32 exec_lo, exec_lo, s73
	s_and_saveexec_b32 s73, s10
	s_cbranch_execnz .LBB230_42
.LBB230_74:                             ;   in Loop: Header=BB230_31 Depth=1
	s_or_b32 exec_lo, exec_lo, s73
	s_and_saveexec_b32 s73, s11
	s_cbranch_execz .LBB230_43
.LBB230_75:                             ;   in Loop: Header=BB230_31 Depth=1
	v_mov_b32_e32 v6, s52
	ds_load_b32 v6, v6
	s_wait_dscnt 0x0
	v_add_nc_u32_e32 v5, v6, v5
	s_or_b32 exec_lo, exec_lo, s73
	s_and_saveexec_b32 s73, s12
	s_cbranch_execnz .LBB230_44
.LBB230_76:                             ;   in Loop: Header=BB230_31 Depth=1
	s_or_b32 exec_lo, exec_lo, s73
	s_and_saveexec_b32 s73, s13
	s_cbranch_execz .LBB230_45
.LBB230_77:                             ;   in Loop: Header=BB230_31 Depth=1
	v_mov_b32_e32 v6, s54
	ds_load_b32 v6, v6
	s_wait_dscnt 0x0
	v_add_nc_u32_e32 v5, v6, v5
	s_or_b32 exec_lo, exec_lo, s73
	s_and_saveexec_b32 s73, s14
	s_cbranch_execnz .LBB230_46
.LBB230_78:                             ;   in Loop: Header=BB230_31 Depth=1
	s_or_b32 exec_lo, exec_lo, s73
	s_and_saveexec_b32 s73, s15
	s_cbranch_execz .LBB230_47
.LBB230_79:                             ;   in Loop: Header=BB230_31 Depth=1
	v_mov_b32_e32 v6, s56
	ds_load_b32 v6, v6
	s_wait_dscnt 0x0
	v_add_nc_u32_e32 v5, v6, v5
	s_or_b32 exec_lo, exec_lo, s73
	s_and_saveexec_b32 s73, s16
	s_cbranch_execnz .LBB230_48
.LBB230_80:                             ;   in Loop: Header=BB230_31 Depth=1
	s_or_b32 exec_lo, exec_lo, s73
	s_and_saveexec_b32 s73, s17
	s_cbranch_execz .LBB230_49
.LBB230_81:                             ;   in Loop: Header=BB230_31 Depth=1
	v_mov_b32_e32 v6, s58
	ds_load_b32 v6, v6
	s_wait_dscnt 0x0
	v_add_nc_u32_e32 v5, v6, v5
	s_or_b32 exec_lo, exec_lo, s73
	s_and_saveexec_b32 s73, s18
	s_cbranch_execnz .LBB230_50
.LBB230_82:                             ;   in Loop: Header=BB230_31 Depth=1
	s_or_b32 exec_lo, exec_lo, s73
	s_and_saveexec_b32 s73, s19
	s_cbranch_execz .LBB230_51
.LBB230_83:                             ;   in Loop: Header=BB230_31 Depth=1
	v_mov_b32_e32 v6, s60
	ds_load_b32 v6, v6
	s_wait_dscnt 0x0
	v_add_nc_u32_e32 v5, v6, v5
	s_or_b32 exec_lo, exec_lo, s73
	s_and_saveexec_b32 s73, s20
	s_cbranch_execnz .LBB230_52
.LBB230_84:                             ;   in Loop: Header=BB230_31 Depth=1
	s_or_b32 exec_lo, exec_lo, s73
	s_and_saveexec_b32 s73, s21
	s_cbranch_execz .LBB230_53
.LBB230_85:                             ;   in Loop: Header=BB230_31 Depth=1
	v_mov_b32_e32 v6, s62
	ds_load_b32 v6, v6
	s_wait_dscnt 0x0
	v_add_nc_u32_e32 v5, v6, v5
	s_or_b32 exec_lo, exec_lo, s73
	s_and_saveexec_b32 s73, s22
	s_cbranch_execnz .LBB230_54
.LBB230_86:                             ;   in Loop: Header=BB230_31 Depth=1
	s_or_b32 exec_lo, exec_lo, s73
	s_and_saveexec_b32 s73, s23
	s_cbranch_execz .LBB230_55
.LBB230_87:                             ;   in Loop: Header=BB230_31 Depth=1
	v_mov_b32_e32 v6, s64
	ds_load_b32 v6, v6
	s_wait_dscnt 0x0
	v_add_nc_u32_e32 v5, v6, v5
	s_or_b32 exec_lo, exec_lo, s73
	s_and_saveexec_b32 s73, s24
	s_cbranch_execnz .LBB230_56
.LBB230_88:                             ;   in Loop: Header=BB230_31 Depth=1
	s_or_b32 exec_lo, exec_lo, s73
	s_and_saveexec_b32 s73, s25
	s_cbranch_execz .LBB230_57
.LBB230_89:                             ;   in Loop: Header=BB230_31 Depth=1
	v_mov_b32_e32 v6, s66
	ds_load_b32 v6, v6
	s_wait_dscnt 0x0
	v_add_nc_u32_e32 v5, v6, v5
	s_or_b32 exec_lo, exec_lo, s73
	s_and_saveexec_b32 s73, s26
	s_cbranch_execnz .LBB230_58
.LBB230_90:                             ;   in Loop: Header=BB230_31 Depth=1
	s_or_b32 exec_lo, exec_lo, s73
	s_and_saveexec_b32 s73, s27
	s_cbranch_execz .LBB230_59
.LBB230_91:                             ;   in Loop: Header=BB230_31 Depth=1
	v_mov_b32_e32 v6, s68
	ds_load_b32 v6, v6
	s_wait_dscnt 0x0
	v_add_nc_u32_e32 v5, v6, v5
	s_or_b32 exec_lo, exec_lo, s73
	s_and_saveexec_b32 s73, s28
	s_cbranch_execnz .LBB230_60
.LBB230_92:                             ;   in Loop: Header=BB230_31 Depth=1
	s_or_b32 exec_lo, exec_lo, s73
	s_and_saveexec_b32 s73, s29
	s_cbranch_execz .LBB230_61
.LBB230_93:                             ;   in Loop: Header=BB230_31 Depth=1
	v_mov_b32_e32 v6, s70
	ds_load_b32 v6, v6
	s_wait_dscnt 0x0
	v_add_nc_u32_e32 v5, v6, v5
	s_or_b32 exec_lo, exec_lo, s73
	s_and_saveexec_b32 s73, s30
	s_cbranch_execnz .LBB230_62
.LBB230_94:                             ;   in Loop: Header=BB230_31 Depth=1
	s_or_b32 exec_lo, exec_lo, s73
	s_and_saveexec_b32 s73, s31
	s_cbranch_execz .LBB230_63
.LBB230_95:                             ;   in Loop: Header=BB230_31 Depth=1
	scratch_load_b128 v[6:9], off, off
	v_add3_u32 v10, v1, -1, v5
	v_add_lshl_u32 v11, v1, v5, 4
	s_delay_alu instid0(VALU_DEP_2) | instskip(NEXT) | instid1(VALU_DEP_2)
	v_lshl_add_u32 v10, v10, 2, 0
	v_add3_u32 v11, 0, v11, 0x3ff0
	ds_store_b32 v10, v4
	s_wait_loadcnt 0x0
	ds_store_2addr_b64 v11, v[6:7], v[8:9] offset1:1
	s_or_b32 exec_lo, exec_lo, s73
	s_and_saveexec_b32 s31, vcc_lo
	s_cbranch_execz .LBB230_30
.LBB230_96:                             ;   in Loop: Header=BB230_31 Depth=1
	v_mov_b32_e32 v4, s72
	ds_store_b32 v4, v5
	s_branch .LBB230_30
.LBB230_97:                             ;   in Loop: Header=BB230_99 Depth=1
	s_or_b32 exec_lo, exec_lo, s5
.LBB230_98:                             ;   in Loop: Header=BB230_99 Depth=1
	s_delay_alu instid0(SALU_CYCLE_1)
	s_or_b32 exec_lo, exec_lo, s4
	s_wait_loadcnt 0x0
	v_mul_f64_e64 v[12:13], v[4:5], -v[6:7]
	v_mul_f64_e32 v[4:5], v[8:9], v[4:5]
	v_lshl_add_u32 v1, v1, 4, 0
	v_add_nc_u64_e32 v[10:11], 0x400, v[10:11]
	s_delay_alu instid0(VALU_DEP_1)
	v_cmp_le_i64_e32 vcc_lo, s[2:3], v[10:11]
	s_or_b32 s1, vcc_lo, s1
	v_fmac_f64_e32 v[12:13], v[8:9], v[2:3]
	v_fmac_f64_e32 v[4:5], v[6:7], v[2:3]
	ds_add_f64 v1, v[12:13] offset:16384
	ds_add_f64 v1, v[4:5] offset:16392
	s_and_not1_b32 exec_lo, exec_lo, s1
	s_cbranch_execz .LBB230_28
.LBB230_99:                             ; =>This Loop Header: Depth=1
                                        ;     Child Loop BB230_102 Depth 2
	v_lshl_add_u64 v[2:3], v[10:11], 2, s[38:39]
	s_mov_b32 s4, exec_lo
	global_load_b32 v1, v[2:3], off
	s_wait_xcnt 0x0
	v_lshl_add_u64 v[2:3], v[10:11], 4, s[40:41]
	global_load_b128 v[2:5], v[2:3], off
	s_wait_loadcnt 0x1
	v_subrev_nc_u32_e32 v12, s47, v1
	s_delay_alu instid0(VALU_DEP_1) | instskip(NEXT) | instid1(VALU_DEP_1)
	v_mul_lo_u32 v1, 0x89, v12
	v_and_b32_e32 v1, 0xfff, v1
	s_delay_alu instid0(VALU_DEP_1)
	v_lshl_add_u32 v13, v1, 2, 0
	ds_load_b32 v14, v13
	s_wait_dscnt 0x0
	s_wait_xcnt 0x0
	v_cmpx_ne_u32_e64 v14, v12
	s_cbranch_execz .LBB230_98
; %bb.100:                              ;   in Loop: Header=BB230_99 Depth=1
	s_mov_b32 s5, 0
	s_branch .LBB230_102
.LBB230_101:                            ;   in Loop: Header=BB230_102 Depth=2
	s_or_b32 exec_lo, exec_lo, s8
	s_delay_alu instid0(SALU_CYCLE_1) | instskip(NEXT) | instid1(SALU_CYCLE_1)
	s_and_b32 s6, exec_lo, s7
	s_or_b32 s5, s6, s5
	s_delay_alu instid0(SALU_CYCLE_1)
	s_and_not1_b32 exec_lo, exec_lo, s5
	s_cbranch_execz .LBB230_97
.LBB230_102:                            ;   Parent Loop BB230_99 Depth=1
                                        ; =>  This Inner Loop Header: Depth=2
	s_mov_b32 s6, 0
	s_mov_b32 s7, exec_lo
	v_cmpx_ne_u32_e64 s33, v14
	s_xor_b32 s7, exec_lo, s7
	s_cbranch_execz .LBB230_104
; %bb.103:                              ;   in Loop: Header=BB230_102 Depth=2
	v_add_nc_u32_e32 v1, 1, v1
	s_mov_b32 s6, exec_lo
                                        ; implicit-def: $vgpr13
	s_delay_alu instid0(VALU_DEP_1)
	v_and_b32_e32 v1, 0xfff, v1
	s_and_not1_saveexec_b32 s7, s7
	s_cbranch_execz .LBB230_106
	s_branch .LBB230_105
.LBB230_104:                            ;   in Loop: Header=BB230_102 Depth=2
	s_and_not1_saveexec_b32 s7, s7
	s_cbranch_execz .LBB230_106
.LBB230_105:                            ;   in Loop: Header=BB230_102 Depth=2
	v_mov_b32_e32 v14, s33
	s_and_not1_b32 s6, s6, exec_lo
	ds_cmpstore_rtn_b32 v13, v13, v12, v14
	s_wait_dscnt 0x0
	v_cmp_ne_u32_e32 vcc_lo, s33, v13
	s_and_b32 s8, vcc_lo, exec_lo
	s_delay_alu instid0(SALU_CYCLE_1)
	s_or_b32 s6, s6, s8
.LBB230_106:                            ;   in Loop: Header=BB230_102 Depth=2
	s_or_b32 exec_lo, exec_lo, s7
	s_mov_b32 s7, -1
                                        ; implicit-def: $vgpr13
                                        ; implicit-def: $vgpr14
	s_and_saveexec_b32 s8, s6
	s_cbranch_execz .LBB230_101
; %bb.107:                              ;   in Loop: Header=BB230_102 Depth=2
	v_lshl_add_u32 v13, v1, 2, 0
	ds_load_b32 v14, v13
	s_wait_dscnt 0x0
	v_cmp_eq_u32_e32 vcc_lo, v14, v12
	s_or_not1_b32 s7, vcc_lo, exec_lo
	s_branch .LBB230_101
.LBB230_108:
	s_or_b32 exec_lo, exec_lo, s36
	s_wait_kmcnt 0x0
	s_ashr_i32 s49, s48, 31
	s_delay_alu instid0(SALU_CYCLE_1) | instskip(NEXT) | instid1(SALU_CYCLE_1)
	s_lshl_b64 s[0:1], s[48:49], 3
	s_add_nc_u64 s[4:5], s[42:43], s[0:1]
	s_load_b128 s[0:3], s[4:5], 0x0
	s_wait_xcnt 0x0
	s_mov_b32 s4, exec_lo
	s_wait_kmcnt 0x0
	s_sub_co_i32 s3, s2, s0
	s_delay_alu instid0(SALU_CYCLE_1)
	v_cmpx_gt_i32_e64 s3, v0
	s_cbranch_execz .LBB230_118
; %bb.109:
	s_sub_co_i32 s4, s0, s2
	s_and_b32 s2, s3, 7
	s_cmp_lt_u32 s4, -7
	s_mov_b32 s47, 0
	s_cselect_b32 s4, -1, 0
	s_and_b32 s5, s3, -8
	s_cmp_lg_u32 s2, 0
	s_sub_nc_u64 s[0:1], s[0:1], s[46:47]
	s_cselect_b32 s6, -1, 0
	s_mov_b32 s7, 0
	s_branch .LBB230_111
.LBB230_110:                            ;   in Loop: Header=BB230_111 Depth=1
	s_wait_dscnt 0x0
	v_mul_lo_u32 v4, v0, 12
	v_add_nc_u32_e32 v0, 0x400, v0
	s_delay_alu instid0(VALU_DEP_3) | instskip(NEXT) | instid1(VALU_DEP_2)
	v_lshl_add_u64 v[2:3], v[2:3], 4, s[34:35]
	v_cmp_le_i32_e32 vcc_lo, s3, v0
	s_or_b32 s7, vcc_lo, s7
	s_delay_alu instid0(VALU_DEP_4)
	v_add3_u32 v1, v1, v4, 0x4000
	ds_load_2addr_b64 v[4:7], v1 offset1:1
	s_wait_dscnt 0x0
	global_store_b128 v[2:3], v[4:7], off
	s_wait_xcnt 0x0
	s_and_not1_b32 exec_lo, exec_lo, s7
	s_cbranch_execz .LBB230_118
.LBB230_111:                            ; =>This Loop Header: Depth=1
                                        ;     Child Loop BB230_113 Depth 2
                                        ;     Child Loop BB230_117 Depth 2
	v_lshl_add_u32 v1, v0, 2, 0
	v_mov_b64_e32 v[2:3], s[0:1]
	s_and_not1_b32 vcc_lo, exec_lo, s4
	s_mov_b32 s8, 0
	ds_load_b32 v4, v1
	s_cbranch_vccnz .LBB230_115
; %bb.112:                              ;   in Loop: Header=BB230_111 Depth=1
	v_mov_b64_e32 v[2:3], s[0:1]
	s_mov_b32 s9, 0
.LBB230_113:                            ;   Parent Loop BB230_111 Depth=1
                                        ; =>  This Inner Loop Header: Depth=2
	s_delay_alu instid0(SALU_CYCLE_1)
	v_dual_mov_b32 v5, s9 :: v_dual_mov_b32 v11, s47
	v_mov_b32_e32 v17, s47
	s_add_co_i32 s8, s8, 8
	s_add_co_i32 s9, s9, 32
	ds_load_2addr_b32 v[6:7], v5 offset1:1
	ds_load_2addr_b32 v[8:9], v5 offset0:2 offset1:3
	ds_load_2addr_b32 v[12:13], v5 offset0:4 offset1:5
	;; [unrolled: 1-line block ×3, first 2 shown]
	s_cmp_eq_u32 s5, s8
	s_wait_dscnt 0x3
	v_cmp_gt_i32_e32 vcc_lo, v4, v6
	v_cndmask_b32_e64 v10, 0, 1, vcc_lo
	v_cmp_gt_i32_e32 vcc_lo, v4, v7
	v_mov_b32_e32 v7, s47
	s_delay_alu instid0(VALU_DEP_3) | instskip(SKIP_4) | instid1(VALU_DEP_3)
	v_add_nc_u64_e32 v[2:3], v[2:3], v[10:11]
	v_cndmask_b32_e64 v16, 0, 1, vcc_lo
	s_wait_dscnt 0x2
	v_cmp_gt_i32_e32 vcc_lo, v4, v8
	v_cndmask_b32_e64 v6, 0, 1, vcc_lo
	v_add_nc_u64_e32 v[2:3], v[2:3], v[16:17]
	v_cmp_gt_i32_e32 vcc_lo, v4, v9
	v_mov_b32_e32 v9, s47
	v_cndmask_b32_e64 v10, 0, 1, vcc_lo
	s_delay_alu instid0(VALU_DEP_4) | instskip(SKIP_3) | instid1(VALU_DEP_3)
	v_add_nc_u64_e32 v[2:3], v[2:3], v[6:7]
	s_wait_dscnt 0x1
	v_cmp_gt_i32_e32 vcc_lo, v4, v12
	v_cndmask_b32_e64 v6, 0, 1, vcc_lo
	v_add_nc_u64_e32 v[2:3], v[2:3], v[10:11]
	v_cmp_gt_i32_e32 vcc_lo, v4, v13
	v_cndmask_b32_e64 v8, 0, 1, vcc_lo
	s_delay_alu instid0(VALU_DEP_3) | instskip(SKIP_3) | instid1(VALU_DEP_3)
	v_add_nc_u64_e32 v[2:3], v[2:3], v[6:7]
	s_wait_dscnt 0x0
	v_cmp_gt_i32_e32 vcc_lo, v4, v14
	v_cndmask_b32_e64 v6, 0, 1, vcc_lo
	v_add_nc_u64_e32 v[2:3], v[2:3], v[8:9]
	v_cmp_gt_i32_e32 vcc_lo, v4, v15
	v_cndmask_b32_e64 v8, 0, 1, vcc_lo
	s_delay_alu instid0(VALU_DEP_3) | instskip(NEXT) | instid1(VALU_DEP_1)
	v_add_nc_u64_e32 v[2:3], v[2:3], v[6:7]
	v_add_nc_u64_e32 v[2:3], v[2:3], v[8:9]
	s_cbranch_scc0 .LBB230_113
; %bb.114:                              ;   in Loop: Header=BB230_111 Depth=1
	s_mov_b32 s8, s5
.LBB230_115:                            ;   in Loop: Header=BB230_111 Depth=1
	s_and_not1_b32 vcc_lo, exec_lo, s6
	s_cbranch_vccnz .LBB230_110
; %bb.116:                              ;   in Loop: Header=BB230_111 Depth=1
	s_lshl_b32 s8, s8, 2
	s_mov_b32 s9, s2
	s_add_co_i32 s8, s8, 0
.LBB230_117:                            ;   Parent Loop BB230_111 Depth=1
                                        ; =>  This Inner Loop Header: Depth=2
	s_delay_alu instid0(SALU_CYCLE_1)
	v_dual_mov_b32 v5, s8 :: v_dual_mov_b32 v7, s47
	s_add_co_i32 s9, s9, -1
	s_add_co_i32 s8, s8, 4
	s_cmp_lg_u32 s9, 0
	ds_load_b32 v5, v5
	s_wait_dscnt 0x0
	v_cmp_gt_i32_e32 vcc_lo, v4, v5
	v_cndmask_b32_e64 v6, 0, 1, vcc_lo
	s_delay_alu instid0(VALU_DEP_1)
	v_add_nc_u64_e32 v[2:3], v[2:3], v[6:7]
	s_cbranch_scc1 .LBB230_117
	s_branch .LBB230_110
.LBB230_118:
	s_endpgm
	.section	.rodata,"a",@progbits
	.p2align	6, 0x0
	.amdhsa_kernel _ZN9rocsparseL41csrgemm_numeric_fill_block_per_row_kernelILj1024ELj64ELj4096ELj137ELj32Eli21rocsparse_complex_numIdEEEvT5_PKS3_S5_NS_24const_host_device_scalarIT6_EEPKT4_S5_PKS7_SB_S5_SD_S8_SB_S5_SD_SB_S5_PS7_21rocsparse_index_base_SF_SF_SF_bbb
		.amdhsa_group_segment_fixed_size 0
		.amdhsa_private_segment_fixed_size 40
		.amdhsa_kernarg_size 172
		.amdhsa_user_sgpr_count 2
		.amdhsa_user_sgpr_dispatch_ptr 0
		.amdhsa_user_sgpr_queue_ptr 0
		.amdhsa_user_sgpr_kernarg_segment_ptr 1
		.amdhsa_user_sgpr_dispatch_id 0
		.amdhsa_user_sgpr_kernarg_preload_length 0
		.amdhsa_user_sgpr_kernarg_preload_offset 0
		.amdhsa_user_sgpr_private_segment_size 0
		.amdhsa_wavefront_size32 1
		.amdhsa_uses_dynamic_stack 0
		.amdhsa_enable_private_segment 1
		.amdhsa_system_sgpr_workgroup_id_x 1
		.amdhsa_system_sgpr_workgroup_id_y 0
		.amdhsa_system_sgpr_workgroup_id_z 0
		.amdhsa_system_sgpr_workgroup_info 0
		.amdhsa_system_vgpr_workitem_id 0
		.amdhsa_next_free_vgpr 33
		.amdhsa_next_free_sgpr 74
		.amdhsa_named_barrier_count 0
		.amdhsa_reserve_vcc 1
		.amdhsa_float_round_mode_32 0
		.amdhsa_float_round_mode_16_64 0
		.amdhsa_float_denorm_mode_32 3
		.amdhsa_float_denorm_mode_16_64 3
		.amdhsa_fp16_overflow 0
		.amdhsa_memory_ordered 1
		.amdhsa_forward_progress 1
		.amdhsa_inst_pref_size 38
		.amdhsa_round_robin_scheduling 0
		.amdhsa_exception_fp_ieee_invalid_op 0
		.amdhsa_exception_fp_denorm_src 0
		.amdhsa_exception_fp_ieee_div_zero 0
		.amdhsa_exception_fp_ieee_overflow 0
		.amdhsa_exception_fp_ieee_underflow 0
		.amdhsa_exception_fp_ieee_inexact 0
		.amdhsa_exception_int_div_zero 0
	.end_amdhsa_kernel
	.section	.text._ZN9rocsparseL41csrgemm_numeric_fill_block_per_row_kernelILj1024ELj64ELj4096ELj137ELj32Eli21rocsparse_complex_numIdEEEvT5_PKS3_S5_NS_24const_host_device_scalarIT6_EEPKT4_S5_PKS7_SB_S5_SD_S8_SB_S5_SD_SB_S5_PS7_21rocsparse_index_base_SF_SF_SF_bbb,"axG",@progbits,_ZN9rocsparseL41csrgemm_numeric_fill_block_per_row_kernelILj1024ELj64ELj4096ELj137ELj32Eli21rocsparse_complex_numIdEEEvT5_PKS3_S5_NS_24const_host_device_scalarIT6_EEPKT4_S5_PKS7_SB_S5_SD_S8_SB_S5_SD_SB_S5_PS7_21rocsparse_index_base_SF_SF_SF_bbb,comdat
.Lfunc_end230:
	.size	_ZN9rocsparseL41csrgemm_numeric_fill_block_per_row_kernelILj1024ELj64ELj4096ELj137ELj32Eli21rocsparse_complex_numIdEEEvT5_PKS3_S5_NS_24const_host_device_scalarIT6_EEPKT4_S5_PKS7_SB_S5_SD_S8_SB_S5_SD_SB_S5_PS7_21rocsparse_index_base_SF_SF_SF_bbb, .Lfunc_end230-_ZN9rocsparseL41csrgemm_numeric_fill_block_per_row_kernelILj1024ELj64ELj4096ELj137ELj32Eli21rocsparse_complex_numIdEEEvT5_PKS3_S5_NS_24const_host_device_scalarIT6_EEPKT4_S5_PKS7_SB_S5_SD_S8_SB_S5_SD_SB_S5_PS7_21rocsparse_index_base_SF_SF_SF_bbb
                                        ; -- End function
	.set _ZN9rocsparseL41csrgemm_numeric_fill_block_per_row_kernelILj1024ELj64ELj4096ELj137ELj32Eli21rocsparse_complex_numIdEEEvT5_PKS3_S5_NS_24const_host_device_scalarIT6_EEPKT4_S5_PKS7_SB_S5_SD_S8_SB_S5_SD_SB_S5_PS7_21rocsparse_index_base_SF_SF_SF_bbb.num_vgpr, 33
	.set _ZN9rocsparseL41csrgemm_numeric_fill_block_per_row_kernelILj1024ELj64ELj4096ELj137ELj32Eli21rocsparse_complex_numIdEEEvT5_PKS3_S5_NS_24const_host_device_scalarIT6_EEPKT4_S5_PKS7_SB_S5_SD_S8_SB_S5_SD_SB_S5_PS7_21rocsparse_index_base_SF_SF_SF_bbb.num_agpr, 0
	.set _ZN9rocsparseL41csrgemm_numeric_fill_block_per_row_kernelILj1024ELj64ELj4096ELj137ELj32Eli21rocsparse_complex_numIdEEEvT5_PKS3_S5_NS_24const_host_device_scalarIT6_EEPKT4_S5_PKS7_SB_S5_SD_S8_SB_S5_SD_SB_S5_PS7_21rocsparse_index_base_SF_SF_SF_bbb.numbered_sgpr, 74
	.set _ZN9rocsparseL41csrgemm_numeric_fill_block_per_row_kernelILj1024ELj64ELj4096ELj137ELj32Eli21rocsparse_complex_numIdEEEvT5_PKS3_S5_NS_24const_host_device_scalarIT6_EEPKT4_S5_PKS7_SB_S5_SD_S8_SB_S5_SD_SB_S5_PS7_21rocsparse_index_base_SF_SF_SF_bbb.num_named_barrier, 0
	.set _ZN9rocsparseL41csrgemm_numeric_fill_block_per_row_kernelILj1024ELj64ELj4096ELj137ELj32Eli21rocsparse_complex_numIdEEEvT5_PKS3_S5_NS_24const_host_device_scalarIT6_EEPKT4_S5_PKS7_SB_S5_SD_S8_SB_S5_SD_SB_S5_PS7_21rocsparse_index_base_SF_SF_SF_bbb.private_seg_size, 40
	.set _ZN9rocsparseL41csrgemm_numeric_fill_block_per_row_kernelILj1024ELj64ELj4096ELj137ELj32Eli21rocsparse_complex_numIdEEEvT5_PKS3_S5_NS_24const_host_device_scalarIT6_EEPKT4_S5_PKS7_SB_S5_SD_S8_SB_S5_SD_SB_S5_PS7_21rocsparse_index_base_SF_SF_SF_bbb.uses_vcc, 1
	.set _ZN9rocsparseL41csrgemm_numeric_fill_block_per_row_kernelILj1024ELj64ELj4096ELj137ELj32Eli21rocsparse_complex_numIdEEEvT5_PKS3_S5_NS_24const_host_device_scalarIT6_EEPKT4_S5_PKS7_SB_S5_SD_S8_SB_S5_SD_SB_S5_PS7_21rocsparse_index_base_SF_SF_SF_bbb.uses_flat_scratch, 1
	.set _ZN9rocsparseL41csrgemm_numeric_fill_block_per_row_kernelILj1024ELj64ELj4096ELj137ELj32Eli21rocsparse_complex_numIdEEEvT5_PKS3_S5_NS_24const_host_device_scalarIT6_EEPKT4_S5_PKS7_SB_S5_SD_S8_SB_S5_SD_SB_S5_PS7_21rocsparse_index_base_SF_SF_SF_bbb.has_dyn_sized_stack, 0
	.set _ZN9rocsparseL41csrgemm_numeric_fill_block_per_row_kernelILj1024ELj64ELj4096ELj137ELj32Eli21rocsparse_complex_numIdEEEvT5_PKS3_S5_NS_24const_host_device_scalarIT6_EEPKT4_S5_PKS7_SB_S5_SD_S8_SB_S5_SD_SB_S5_PS7_21rocsparse_index_base_SF_SF_SF_bbb.has_recursion, 0
	.set _ZN9rocsparseL41csrgemm_numeric_fill_block_per_row_kernelILj1024ELj64ELj4096ELj137ELj32Eli21rocsparse_complex_numIdEEEvT5_PKS3_S5_NS_24const_host_device_scalarIT6_EEPKT4_S5_PKS7_SB_S5_SD_S8_SB_S5_SD_SB_S5_PS7_21rocsparse_index_base_SF_SF_SF_bbb.has_indirect_call, 0
	.section	.AMDGPU.csdata,"",@progbits
; Kernel info:
; codeLenInByte = 4760
; TotalNumSgprs: 76
; NumVgprs: 33
; ScratchSize: 40
; MemoryBound: 0
; FloatMode: 240
; IeeeMode: 1
; LDSByteSize: 0 bytes/workgroup (compile time only)
; SGPRBlocks: 0
; VGPRBlocks: 2
; NumSGPRsForWavesPerEU: 76
; NumVGPRsForWavesPerEU: 33
; NamedBarCnt: 0
; Occupancy: 16
; WaveLimiterHint : 1
; COMPUTE_PGM_RSRC2:SCRATCH_EN: 1
; COMPUTE_PGM_RSRC2:USER_SGPR: 2
; COMPUTE_PGM_RSRC2:TRAP_HANDLER: 0
; COMPUTE_PGM_RSRC2:TGID_X_EN: 1
; COMPUTE_PGM_RSRC2:TGID_Y_EN: 0
; COMPUTE_PGM_RSRC2:TGID_Z_EN: 0
; COMPUTE_PGM_RSRC2:TIDIG_COMP_CNT: 0
	.section	.text._ZN9rocsparseL41csrgemm_numeric_fill_block_per_row_kernelILj1024ELj64ELj4096ELj137ELj64Eli21rocsparse_complex_numIdEEEvT5_PKS3_S5_NS_24const_host_device_scalarIT6_EEPKT4_S5_PKS7_SB_S5_SD_S8_SB_S5_SD_SB_S5_PS7_21rocsparse_index_base_SF_SF_SF_bbb,"axG",@progbits,_ZN9rocsparseL41csrgemm_numeric_fill_block_per_row_kernelILj1024ELj64ELj4096ELj137ELj64Eli21rocsparse_complex_numIdEEEvT5_PKS3_S5_NS_24const_host_device_scalarIT6_EEPKT4_S5_PKS7_SB_S5_SD_S8_SB_S5_SD_SB_S5_PS7_21rocsparse_index_base_SF_SF_SF_bbb,comdat
	.globl	_ZN9rocsparseL41csrgemm_numeric_fill_block_per_row_kernelILj1024ELj64ELj4096ELj137ELj64Eli21rocsparse_complex_numIdEEEvT5_PKS3_S5_NS_24const_host_device_scalarIT6_EEPKT4_S5_PKS7_SB_S5_SD_S8_SB_S5_SD_SB_S5_PS7_21rocsparse_index_base_SF_SF_SF_bbb ; -- Begin function _ZN9rocsparseL41csrgemm_numeric_fill_block_per_row_kernelILj1024ELj64ELj4096ELj137ELj64Eli21rocsparse_complex_numIdEEEvT5_PKS3_S5_NS_24const_host_device_scalarIT6_EEPKT4_S5_PKS7_SB_S5_SD_S8_SB_S5_SD_SB_S5_PS7_21rocsparse_index_base_SF_SF_SF_bbb
	.p2align	8
	.type	_ZN9rocsparseL41csrgemm_numeric_fill_block_per_row_kernelILj1024ELj64ELj4096ELj137ELj64Eli21rocsparse_complex_numIdEEEvT5_PKS3_S5_NS_24const_host_device_scalarIT6_EEPKT4_S5_PKS7_SB_S5_SD_S8_SB_S5_SD_SB_S5_PS7_21rocsparse_index_base_SF_SF_SF_bbb,@function
_ZN9rocsparseL41csrgemm_numeric_fill_block_per_row_kernelILj1024ELj64ELj4096ELj137ELj64Eli21rocsparse_complex_numIdEEEvT5_PKS3_S5_NS_24const_host_device_scalarIT6_EEPKT4_S5_PKS7_SB_S5_SD_S8_SB_S5_SD_SB_S5_PS7_21rocsparse_index_base_SF_SF_SF_bbb: ; @_ZN9rocsparseL41csrgemm_numeric_fill_block_per_row_kernelILj1024ELj64ELj4096ELj137ELj64Eli21rocsparse_complex_numIdEEEvT5_PKS3_S5_NS_24const_host_device_scalarIT6_EEPKT4_S5_PKS7_SB_S5_SD_S8_SB_S5_SD_SB_S5_PS7_21rocsparse_index_base_SF_SF_SF_bbb
; %bb.0:
	s_clause 0x3
	s_load_b32 s12, s[0:1], 0xa8
	s_load_b128 s[8:11], s[0:1], 0x18
	s_load_b128 s[4:7], s[0:1], 0x58
	;; [unrolled: 1-line block ×3, first 2 shown]
	v_mov_b64_e32 v[6:7], 0
	v_mov_b64_e32 v[12:13], 0
	v_mov_b64_e32 v[14:15], 0
	v_mbcnt_lo_u32_b32 v31, -1, 0
	s_wait_kmcnt 0x0
	s_bitcmp1_b32 s12, 0
	v_mov_b64_e32 v[2:3], s[8:9]
	s_cselect_b32 s3, -1, 0
	s_bitcmp1_b32 s12, 16
	v_mov_b64_e32 v[4:5], s[4:5]
	s_cselect_b32 s2, -1, 0
	s_clause 0x1
	scratch_store_b64 off, v[2:3], off offset:16
	scratch_store_b64 off, v[4:5], off offset:24
	s_xor_b32 s13, s2, -1
	s_bitcmp0_b32 s12, 0
	v_cndmask_b32_e64 v1, 0, 1, s13
	s_delay_alu instid0(VALU_DEP_1)
	v_cmp_ne_u32_e32 vcc_lo, 1, v1
	s_cbranch_scc1 .LBB231_3
; %bb.1:
	s_wait_xcnt 0x1
	v_dual_mov_b32 v2, 16 :: v_dual_lshlrev_b32 v3, 20, v31
	v_mov_b64_e32 v[14:15], s[10:11]
	s_and_b32 vcc_lo, exec_lo, vcc_lo
	s_delay_alu instid0(VALU_DEP_2) | instskip(NEXT) | instid1(VALU_DEP_1)
	v_add_nc_u64_e32 v[2:3], src_flat_scratch_base_lo, v[2:3]
	v_cndmask_b32_e64 v3, s9, v3, s2
	s_delay_alu instid0(VALU_DEP_2)
	v_cndmask_b32_e64 v2, s8, v2, s2
	flat_load_b64 v[12:13], v[2:3]
	s_cbranch_vccnz .LBB231_3
; %bb.2:
	v_mov_b32_e32 v1, 0
	flat_load_b64 v[14:15], v1, s[8:9] offset:8
.LBB231_3:
	s_load_b128 s[28:31], s[0:1], 0x8
	v_mov_b64_e32 v[8:9], 0
	s_bitcmp1_b32 s12, 8
	s_cselect_b32 s36, -1, 0
	s_bfe_u32 s8, s12, 0x10008
	s_delay_alu instid0(SALU_CYCLE_1)
	s_cmp_eq_u32 s8, 0
	s_cbranch_scc1 .LBB231_6
; %bb.4:
	v_dual_mov_b32 v2, 24 :: v_dual_lshlrev_b32 v3, 20, v31
	v_mov_b64_e32 v[6:7], s[6:7]
	s_and_not1_b32 vcc_lo, exec_lo, s13
	s_delay_alu instid0(VALU_DEP_2) | instskip(NEXT) | instid1(VALU_DEP_1)
	v_add_nc_u64_e32 v[2:3], src_flat_scratch_base_lo, v[2:3]
	v_cndmask_b32_e64 v3, s5, v3, s2
	s_delay_alu instid0(VALU_DEP_2)
	v_cndmask_b32_e64 v2, s4, v2, s2
	flat_load_b64 v[8:9], v[2:3]
	s_cbranch_vccnz .LBB231_6
; %bb.5:
	v_mov_b32_e32 v1, 0
	flat_load_b64 v[6:7], v1, s[4:5] offset:8
.LBB231_6:
	s_clause 0x4
	s_load_b32 s33, s[0:1], 0x0
	s_load_b64 s[34:35], s[0:1], 0x90
	s_load_b256 s[12:19], s[0:1], 0x68
	s_load_b128 s[24:27], s[0:1], 0x48
	s_load_b256 s[4:11], s[0:1], 0x28
	v_or_b32_e32 v28, 0xfffffc00, v0
	v_lshlrev_b32_e32 v1, 4, v0
	s_wait_xcnt 0x0
	s_mov_b32 s0, 0
	v_lshl_add_u32 v29, v0, 2, 0
	s_mov_b32 s1, s0
	v_mov_b32_e32 v10, v28
	v_add3_u32 v30, v1, 0, 0x4000
	s_mov_b32 s38, s0
	s_mov_b32 s39, s0
	v_mov_b64_e32 v[2:3], s[0:1]
	v_mov_b64_e32 v[4:5], s[38:39]
	v_dual_mov_b32 v1, v29 :: v_dual_mov_b32 v16, v30
	s_wait_kmcnt 0x0
	v_mov_b32_e32 v11, s33
.LBB231_7:                              ; =>This Inner Loop Header: Depth=1
	v_add_nc_u32_e32 v10, 0x400, v10
	ds_store_b32 v1, v11
	ds_store_2addr_b64 v16, v[2:3], v[4:5] offset1:1
	v_add_nc_u32_e32 v16, 0x4000, v16
	v_add_nc_u32_e32 v1, 0x1000, v1
	v_cmp_lt_u32_e32 vcc_lo, 0xbff, v10
	s_or_b32 s0, vcc_lo, s0
	s_delay_alu instid0(SALU_CYCLE_1)
	s_and_not1_b32 exec_lo, exec_lo, s0
	s_cbranch_execnz .LBB231_7
; %bb.8:
	s_or_b32 exec_lo, exec_lo, s0
	s_wait_storecnt 0x0
	s_wait_loadcnt_dscnt 0x0
	s_barrier_signal -1
	s_barrier_wait -1
	s_load_b32 s0, s[28:29], 0x0
	s_bfe_u32 s1, ttmp6, 0x4000c
	s_and_b32 s2, ttmp6, 15
	s_add_co_i32 s1, s1, 1
	s_wait_xcnt 0x0
	s_getreg_b32 s28, hwreg(HW_REG_IB_STS2, 6, 4)
	s_mul_i32 s1, ttmp9, s1
	v_lshrrev_b32_e32 v10, 6, v0
	s_add_co_i32 s2, s2, s1
	s_cmp_eq_u32 s28, 0
	s_cselect_b32 s1, ttmp9, s2
	s_and_b32 vcc_lo, exec_lo, s3
	s_wait_kmcnt 0x0
	s_add_co_i32 s0, s0, s1
	s_mov_b32 s1, 0
	s_load_b32 s28, s[30:31], s0 offset:0x0 scale_offset
	s_cbranch_vccz .LBB231_26
; %bb.9:
	s_wait_kmcnt 0x0
	s_ashr_i32 s29, s28, 31
	v_mov_b32_e32 v11, 0
	s_lshl_b64 s[2:3], s[28:29], 3
	s_mov_b32 s0, s20
	s_add_nc_u64 s[2:3], s[4:5], s[2:3]
	s_mov_b32 s4, exec_lo
	s_load_b128 s[40:43], s[2:3], 0x0
	v_sub_nc_u64_e64 v[2:3], v[10:11], s[0:1]
	s_wait_kmcnt 0x0
	s_delay_alu instid0(VALU_DEP_1)
	v_add_nc_u64_e32 v[16:17], s[40:41], v[2:3]
	s_sub_nc_u64 s[0:1], s[42:43], s[0:1]
	s_delay_alu instid0(VALU_DEP_1) | instid1(SALU_CYCLE_1)
	v_cmpx_gt_i64_e64 s[0:1], v[16:17]
	s_cbranch_execz .LBB231_25
; %bb.10:
	v_dual_mov_b32 v3, v11 :: v_dual_bitop2_b32 v2, 63, v0 bitop3:0x40
	s_mov_b32 s3, 0
	s_mov_b32 s2, s21
	;; [unrolled: 1-line block ×3, first 2 shown]
	s_delay_alu instid0(VALU_DEP_1)
	v_sub_nc_u64_e64 v[18:19], v[2:3], s[2:3]
	s_branch .LBB231_12
.LBB231_11:                             ;   in Loop: Header=BB231_12 Depth=1
	s_or_b32 exec_lo, exec_lo, s29
	v_add_nc_u64_e32 v[16:17], 16, v[16:17]
	s_delay_alu instid0(VALU_DEP_1) | instskip(SKIP_1) | instid1(SALU_CYCLE_1)
	v_cmp_le_i64_e32 vcc_lo, s[0:1], v[16:17]
	s_or_b32 s5, vcc_lo, s5
	s_and_not1_b32 exec_lo, exec_lo, s5
	s_cbranch_execz .LBB231_25
.LBB231_12:                             ; =>This Loop Header: Depth=1
                                        ;     Child Loop BB231_16 Depth 2
                                        ;       Child Loop BB231_19 Depth 3
	v_lshl_add_u64 v[2:3], v[16:17], 2, s[6:7]
	s_mov_b32 s29, exec_lo
	global_load_b32 v1, v[2:3], off
	s_wait_loadcnt 0x0
	s_wait_xcnt 0x0
	v_subrev_nc_u32_e32 v2, s20, v1
	s_delay_alu instid0(VALU_DEP_1) | instskip(NEXT) | instid1(VALU_DEP_1)
	v_ashrrev_i32_e32 v3, 31, v2
	v_lshl_add_u64 v[2:3], v[2:3], 3, s[10:11]
	global_load_b128 v[2:5], v[2:3], off
	s_wait_loadcnt 0x0
	v_sub_nc_u64_e64 v[20:21], v[4:5], s[2:3]
	v_add_nc_u64_e32 v[22:23], v[2:3], v[18:19]
	s_wait_xcnt 0x0
	s_delay_alu instid0(VALU_DEP_1)
	v_cmpx_lt_i64_e64 v[22:23], v[20:21]
	s_cbranch_execz .LBB231_11
; %bb.13:                               ;   in Loop: Header=BB231_12 Depth=1
	v_lshl_add_u64 v[2:3], v[16:17], 4, s[8:9]
	s_mov_b32 s30, 0
	global_load_b128 v[2:5], v[2:3], off
	s_wait_loadcnt 0x0
	v_mul_f64_e64 v[24:25], v[4:5], -v[14:15]
	v_mul_f64_e32 v[26:27], v[12:13], v[4:5]
	s_delay_alu instid0(VALU_DEP_2) | instskip(NEXT) | instid1(VALU_DEP_2)
	v_fmac_f64_e32 v[24:25], v[12:13], v[2:3]
	v_fmac_f64_e32 v[26:27], v[14:15], v[2:3]
	s_branch .LBB231_16
.LBB231_14:                             ;   in Loop: Header=BB231_16 Depth=2
	s_or_b32 exec_lo, exec_lo, s37
.LBB231_15:                             ;   in Loop: Header=BB231_16 Depth=2
	s_delay_alu instid0(SALU_CYCLE_1)
	s_or_b32 exec_lo, exec_lo, s31
	s_wait_loadcnt 0x0
	v_mul_f64_e64 v[32:33], v[4:5], -v[26:27]
	v_mul_f64_e32 v[4:5], v[24:25], v[4:5]
	v_lshl_add_u32 v1, v1, 4, 0
	v_add_nc_u64_e32 v[22:23], 64, v[22:23]
	s_delay_alu instid0(VALU_DEP_1)
	v_cmp_ge_i64_e32 vcc_lo, v[22:23], v[20:21]
	s_or_b32 s30, vcc_lo, s30
	v_fmac_f64_e32 v[32:33], v[24:25], v[2:3]
	v_fmac_f64_e32 v[4:5], v[26:27], v[2:3]
	ds_add_f64 v1, v[32:33] offset:16384
	ds_add_f64 v1, v[4:5] offset:16392
	s_and_not1_b32 exec_lo, exec_lo, s30
	s_cbranch_execz .LBB231_11
.LBB231_16:                             ;   Parent Loop BB231_12 Depth=1
                                        ; =>  This Loop Header: Depth=2
                                        ;       Child Loop BB231_19 Depth 3
	s_wait_xcnt 0x0
	v_lshl_add_u64 v[2:3], v[22:23], 2, s[24:25]
	s_mov_b32 s31, exec_lo
	global_load_b32 v1, v[2:3], off
	s_wait_xcnt 0x0
	v_lshl_add_u64 v[2:3], v[22:23], 4, s[26:27]
	global_load_b128 v[2:5], v[2:3], off
	s_wait_loadcnt 0x1
	v_subrev_nc_u32_e32 v11, s21, v1
	s_delay_alu instid0(VALU_DEP_1) | instskip(NEXT) | instid1(VALU_DEP_1)
	v_mul_lo_u32 v1, 0x89, v11
	v_and_b32_e32 v1, 0xfff, v1
	s_delay_alu instid0(VALU_DEP_1)
	v_lshl_add_u32 v32, v1, 2, 0
	ds_load_b32 v33, v32
	s_wait_dscnt 0x0
	s_wait_xcnt 0x0
	v_cmpx_ne_u32_e64 v33, v11
	s_cbranch_execz .LBB231_15
; %bb.17:                               ;   in Loop: Header=BB231_16 Depth=2
	s_mov_b32 s37, 0
	s_branch .LBB231_19
.LBB231_18:                             ;   in Loop: Header=BB231_19 Depth=3
	s_or_b32 exec_lo, exec_lo, s40
	s_delay_alu instid0(SALU_CYCLE_1) | instskip(NEXT) | instid1(SALU_CYCLE_1)
	s_and_b32 s38, exec_lo, s39
	s_or_b32 s37, s38, s37
	s_delay_alu instid0(SALU_CYCLE_1)
	s_and_not1_b32 exec_lo, exec_lo, s37
	s_cbranch_execz .LBB231_14
.LBB231_19:                             ;   Parent Loop BB231_12 Depth=1
                                        ;     Parent Loop BB231_16 Depth=2
                                        ; =>    This Inner Loop Header: Depth=3
	s_mov_b32 s38, 0
	s_mov_b32 s39, exec_lo
	v_cmpx_ne_u32_e64 s33, v33
	s_xor_b32 s39, exec_lo, s39
	s_cbranch_execz .LBB231_21
; %bb.20:                               ;   in Loop: Header=BB231_19 Depth=3
	v_add_nc_u32_e32 v1, 1, v1
	s_mov_b32 s38, exec_lo
                                        ; implicit-def: $vgpr32
	s_delay_alu instid0(VALU_DEP_1)
	v_and_b32_e32 v1, 0xfff, v1
	s_and_not1_saveexec_b32 s39, s39
	s_cbranch_execz .LBB231_23
	s_branch .LBB231_22
.LBB231_21:                             ;   in Loop: Header=BB231_19 Depth=3
	s_and_not1_saveexec_b32 s39, s39
	s_cbranch_execz .LBB231_23
.LBB231_22:                             ;   in Loop: Header=BB231_19 Depth=3
	v_mov_b32_e32 v33, s33
	s_and_not1_b32 s38, s38, exec_lo
	ds_cmpstore_rtn_b32 v32, v32, v11, v33
	s_wait_dscnt 0x0
	v_cmp_ne_u32_e32 vcc_lo, s33, v32
	s_and_b32 s40, vcc_lo, exec_lo
	s_delay_alu instid0(SALU_CYCLE_1)
	s_or_b32 s38, s38, s40
.LBB231_23:                             ;   in Loop: Header=BB231_19 Depth=3
	s_or_b32 exec_lo, exec_lo, s39
	s_mov_b32 s39, -1
                                        ; implicit-def: $vgpr32
                                        ; implicit-def: $vgpr33
	s_and_saveexec_b32 s40, s38
	s_cbranch_execz .LBB231_18
; %bb.24:                               ;   in Loop: Header=BB231_19 Depth=3
	v_lshl_add_u32 v32, v1, 2, 0
	ds_load_b32 v33, v32
	s_wait_dscnt 0x0
	v_cmp_eq_u32_e32 vcc_lo, v33, v11
	s_or_not1_b32 s39, vcc_lo, exec_lo
	s_branch .LBB231_18
.LBB231_25:
	s_or_b32 exec_lo, exec_lo, s4
.LBB231_26:
	s_delay_alu instid0(SALU_CYCLE_1)
	s_and_not1_b32 vcc_lo, exec_lo, s36
	s_cbranch_vccnz .LBB231_29
; %bb.27:
	s_wait_kmcnt 0x0
	s_ashr_i32 s29, s28, 31
	v_mov_b32_e32 v1, 0
	s_lshl_b64 s[0:1], s[28:29], 3
	s_delay_alu instid0(SALU_CYCLE_1) | instskip(SKIP_4) | instid1(SALU_CYCLE_1)
	s_add_nc_u64 s[0:1], s[12:13], s[0:1]
	s_load_b128 s[4:7], s[0:1], 0x0
	s_wait_xcnt 0x0
	s_mov_b32 s1, 0
	s_mov_b32 s0, s23
	v_sub_nc_u64_e64 v[2:3], v[0:1], s[0:1]
	s_wait_kmcnt 0x0
	s_delay_alu instid0(VALU_DEP_1) | instskip(SKIP_2) | instid1(VALU_DEP_1)
	v_add_nc_u64_e32 v[12:13], s[4:5], v[2:3]
	s_sub_nc_u64 s[2:3], s[6:7], s[0:1]
	s_mov_b32 s0, exec_lo
	v_cmpx_gt_i64_e64 s[2:3], v[12:13]
	s_cbranch_execnz .LBB231_67
.LBB231_28:
	s_or_b32 exec_lo, exec_lo, s0
.LBB231_29:
	v_dual_lshlrev_b32 v3, 2, v10 :: v_dual_bitop2_b32 v1, 31, v31 bitop3:0x14
	s_add_co_i32 s36, 0, 0x1403c
	s_wait_xcnt 0x0
	v_cmp_lt_u32_e64 s0, 63, v0
	v_cmp_lt_u32_e64 s1, 0x7f, v0
	v_lshrrev_b32_e64 v2, v1, -1
	v_dual_mov_b32 v1, 0 :: v_dual_mov_b32 v4, s36
	v_add3_u32 v3, 0x14000, 0, v3
	v_cmp_lt_u32_e64 s2, 0xbf, v0
	v_cmp_lt_u32_e64 s3, 0xff, v0
	;; [unrolled: 1-line block ×13, first 2 shown]
	s_mov_b32 s16, 0
	s_add_co_i32 s17, 0, 0x14000
	s_add_co_i32 s20, 0, 0x14004
	;; [unrolled: 1-line block ×15, first 2 shown]
	s_wait_dscnt 0x0
	s_barrier_signal -1
	s_barrier_wait -1
	v_cmp_eq_u32_e32 vcc_lo, 0x3ff, v0
	s_branch .LBB231_31
.LBB231_30:                             ;   in Loop: Header=BB231_31 Depth=1
	s_or_b32 exec_lo, exec_lo, s15
	s_wait_dscnt 0x0
	s_barrier_signal -1
	s_barrier_wait -1
	ds_load_b32 v5, v4
	v_add_nc_u32_e32 v28, 0x400, v28
	v_add_nc_u32_e32 v30, 0x4000, v30
	;; [unrolled: 1-line block ×3, first 2 shown]
	s_delay_alu instid0(VALU_DEP_3)
	v_cmp_lt_u32_e64 s15, 0xbff, v28
	s_or_b32 s16, s15, s16
	s_wait_dscnt 0x0
	v_add_nc_u32_e32 v1, v5, v1
	s_and_not1_b32 exec_lo, exec_lo, s16
	s_cbranch_execz .LBB231_76
.LBB231_31:                             ; =>This Inner Loop Header: Depth=1
	ds_load_b32 v5, v29
	ds_load_2addr_b64 v[6:9], v30 offset1:1
	s_wait_dscnt 0x1
	v_cmp_gt_i32_e64 s15, s33, v5
	s_wait_dscnt 0x0
	scratch_store_b128 off, v[6:9], off
	s_wait_storecnt 0x0
	s_barrier_signal -1
	s_barrier_wait -1
	s_bcnt1_i32_b32 s41, s15
	s_wait_xcnt 0x0
	v_dual_mov_b32 v7, s41 :: v_dual_bitop2_b32 v6, s15, v2 bitop3:0x40
	s_delay_alu instid0(VALU_DEP_1)
	v_bcnt_u32_b32 v6, v6, 0
	ds_store_b32 v3, v7
	s_wait_dscnt 0x0
	s_barrier_signal -1
	s_barrier_wait -1
	s_and_saveexec_b32 s41, s0
	s_cbranch_execz .LBB231_48
; %bb.32:                               ;   in Loop: Header=BB231_31 Depth=1
	v_mov_b32_e32 v7, s17
	ds_load_b32 v7, v7
	s_wait_dscnt 0x0
	v_add_nc_u32_e32 v6, v7, v6
	s_or_b32 exec_lo, exec_lo, s41
	s_and_saveexec_b32 s41, s1
	s_cbranch_execnz .LBB231_49
.LBB231_33:                             ;   in Loop: Header=BB231_31 Depth=1
	s_or_b32 exec_lo, exec_lo, s41
	s_and_saveexec_b32 s41, s2
	s_cbranch_execz .LBB231_50
.LBB231_34:                             ;   in Loop: Header=BB231_31 Depth=1
	v_mov_b32_e32 v7, s21
	ds_load_b32 v7, v7
	s_wait_dscnt 0x0
	v_add_nc_u32_e32 v6, v7, v6
	s_or_b32 exec_lo, exec_lo, s41
	s_and_saveexec_b32 s41, s3
	s_cbranch_execnz .LBB231_51
.LBB231_35:                             ;   in Loop: Header=BB231_31 Depth=1
	s_or_b32 exec_lo, exec_lo, s41
	s_and_saveexec_b32 s41, s4
	s_cbranch_execz .LBB231_52
.LBB231_36:                             ;   in Loop: Header=BB231_31 Depth=1
	v_mov_b32_e32 v7, s24
	ds_load_b32 v7, v7
	s_wait_dscnt 0x0
	v_add_nc_u32_e32 v6, v7, v6
	s_or_b32 exec_lo, exec_lo, s41
	s_and_saveexec_b32 s41, s5
	s_cbranch_execnz .LBB231_53
.LBB231_37:                             ;   in Loop: Header=BB231_31 Depth=1
	s_or_b32 exec_lo, exec_lo, s41
	s_and_saveexec_b32 s41, s6
	s_cbranch_execz .LBB231_54
.LBB231_38:                             ;   in Loop: Header=BB231_31 Depth=1
	v_mov_b32_e32 v7, s26
	ds_load_b32 v7, v7
	s_wait_dscnt 0x0
	v_add_nc_u32_e32 v6, v7, v6
	s_or_b32 exec_lo, exec_lo, s41
	s_and_saveexec_b32 s41, s7
	s_cbranch_execnz .LBB231_55
.LBB231_39:                             ;   in Loop: Header=BB231_31 Depth=1
	s_or_b32 exec_lo, exec_lo, s41
	s_and_saveexec_b32 s41, s8
	s_cbranch_execz .LBB231_56
.LBB231_40:                             ;   in Loop: Header=BB231_31 Depth=1
	v_mov_b32_e32 v7, s29
	ds_load_b32 v7, v7
	s_wait_dscnt 0x0
	v_add_nc_u32_e32 v6, v7, v6
	s_or_b32 exec_lo, exec_lo, s41
	s_and_saveexec_b32 s41, s9
	s_cbranch_execnz .LBB231_57
.LBB231_41:                             ;   in Loop: Header=BB231_31 Depth=1
	s_or_b32 exec_lo, exec_lo, s41
	s_and_saveexec_b32 s41, s10
	s_cbranch_execz .LBB231_58
.LBB231_42:                             ;   in Loop: Header=BB231_31 Depth=1
	v_mov_b32_e32 v7, s31
	ds_load_b32 v7, v7
	s_wait_dscnt 0x0
	v_add_nc_u32_e32 v6, v7, v6
	s_or_b32 exec_lo, exec_lo, s41
	s_and_saveexec_b32 s41, s11
	s_cbranch_execnz .LBB231_59
.LBB231_43:                             ;   in Loop: Header=BB231_31 Depth=1
	s_or_b32 exec_lo, exec_lo, s41
	s_and_saveexec_b32 s41, s12
	s_cbranch_execz .LBB231_60
.LBB231_44:                             ;   in Loop: Header=BB231_31 Depth=1
	v_mov_b32_e32 v7, s38
	ds_load_b32 v7, v7
	s_wait_dscnt 0x0
	v_add_nc_u32_e32 v6, v7, v6
	s_or_b32 exec_lo, exec_lo, s41
	s_and_saveexec_b32 s41, s13
	s_cbranch_execnz .LBB231_61
.LBB231_45:                             ;   in Loop: Header=BB231_31 Depth=1
	s_or_b32 exec_lo, exec_lo, s41
	s_and_saveexec_b32 s41, s14
	s_cbranch_execz .LBB231_62
.LBB231_46:                             ;   in Loop: Header=BB231_31 Depth=1
	v_mov_b32_e32 v7, s40
	ds_load_b32 v7, v7
	s_wait_dscnt 0x0
	v_add_nc_u32_e32 v6, v7, v6
	s_or_b32 exec_lo, exec_lo, s41
	s_and_saveexec_b32 s41, s15
	s_cbranch_execnz .LBB231_63
.LBB231_47:                             ;   in Loop: Header=BB231_31 Depth=1
	s_or_b32 exec_lo, exec_lo, s41
	s_and_saveexec_b32 s15, vcc_lo
	s_cbranch_execz .LBB231_30
	s_branch .LBB231_64
.LBB231_48:                             ;   in Loop: Header=BB231_31 Depth=1
	s_or_b32 exec_lo, exec_lo, s41
	s_and_saveexec_b32 s41, s1
	s_cbranch_execz .LBB231_33
.LBB231_49:                             ;   in Loop: Header=BB231_31 Depth=1
	v_mov_b32_e32 v7, s20
	ds_load_b32 v7, v7
	s_wait_dscnt 0x0
	v_add_nc_u32_e32 v6, v7, v6
	s_or_b32 exec_lo, exec_lo, s41
	s_and_saveexec_b32 s41, s2
	s_cbranch_execnz .LBB231_34
.LBB231_50:                             ;   in Loop: Header=BB231_31 Depth=1
	s_or_b32 exec_lo, exec_lo, s41
	s_and_saveexec_b32 s41, s3
	s_cbranch_execz .LBB231_35
.LBB231_51:                             ;   in Loop: Header=BB231_31 Depth=1
	v_mov_b32_e32 v7, s23
	ds_load_b32 v7, v7
	s_wait_dscnt 0x0
	v_add_nc_u32_e32 v6, v7, v6
	s_or_b32 exec_lo, exec_lo, s41
	s_and_saveexec_b32 s41, s4
	s_cbranch_execnz .LBB231_36
.LBB231_52:                             ;   in Loop: Header=BB231_31 Depth=1
	s_or_b32 exec_lo, exec_lo, s41
	s_and_saveexec_b32 s41, s5
	s_cbranch_execz .LBB231_37
.LBB231_53:                             ;   in Loop: Header=BB231_31 Depth=1
	v_mov_b32_e32 v7, s25
	ds_load_b32 v7, v7
	s_wait_dscnt 0x0
	v_add_nc_u32_e32 v6, v7, v6
	s_or_b32 exec_lo, exec_lo, s41
	s_and_saveexec_b32 s41, s6
	s_cbranch_execnz .LBB231_38
.LBB231_54:                             ;   in Loop: Header=BB231_31 Depth=1
	s_or_b32 exec_lo, exec_lo, s41
	s_and_saveexec_b32 s41, s7
	s_cbranch_execz .LBB231_39
.LBB231_55:                             ;   in Loop: Header=BB231_31 Depth=1
	v_mov_b32_e32 v7, s27
	ds_load_b32 v7, v7
	s_wait_dscnt 0x0
	v_add_nc_u32_e32 v6, v7, v6
	s_or_b32 exec_lo, exec_lo, s41
	s_and_saveexec_b32 s41, s8
	s_cbranch_execnz .LBB231_40
.LBB231_56:                             ;   in Loop: Header=BB231_31 Depth=1
	s_or_b32 exec_lo, exec_lo, s41
	s_and_saveexec_b32 s41, s9
	s_cbranch_execz .LBB231_41
.LBB231_57:                             ;   in Loop: Header=BB231_31 Depth=1
	v_mov_b32_e32 v7, s30
	ds_load_b32 v7, v7
	s_wait_dscnt 0x0
	v_add_nc_u32_e32 v6, v7, v6
	s_or_b32 exec_lo, exec_lo, s41
	s_and_saveexec_b32 s41, s10
	s_cbranch_execnz .LBB231_42
.LBB231_58:                             ;   in Loop: Header=BB231_31 Depth=1
	s_or_b32 exec_lo, exec_lo, s41
	s_and_saveexec_b32 s41, s11
	s_cbranch_execz .LBB231_43
.LBB231_59:                             ;   in Loop: Header=BB231_31 Depth=1
	v_mov_b32_e32 v7, s37
	ds_load_b32 v7, v7
	s_wait_dscnt 0x0
	v_add_nc_u32_e32 v6, v7, v6
	s_or_b32 exec_lo, exec_lo, s41
	s_and_saveexec_b32 s41, s12
	s_cbranch_execnz .LBB231_44
.LBB231_60:                             ;   in Loop: Header=BB231_31 Depth=1
	s_or_b32 exec_lo, exec_lo, s41
	s_and_saveexec_b32 s41, s13
	s_cbranch_execz .LBB231_45
.LBB231_61:                             ;   in Loop: Header=BB231_31 Depth=1
	v_mov_b32_e32 v7, s39
	ds_load_b32 v7, v7
	s_wait_dscnt 0x0
	v_add_nc_u32_e32 v6, v7, v6
	s_or_b32 exec_lo, exec_lo, s41
	s_and_saveexec_b32 s41, s14
	s_cbranch_execnz .LBB231_46
.LBB231_62:                             ;   in Loop: Header=BB231_31 Depth=1
	s_or_b32 exec_lo, exec_lo, s41
	s_and_saveexec_b32 s41, s15
	s_cbranch_execz .LBB231_47
.LBB231_63:                             ;   in Loop: Header=BB231_31 Depth=1
	scratch_load_b128 v[8:11], off, off
	v_add3_u32 v7, v1, -1, v6
	v_add_lshl_u32 v12, v1, v6, 4
	s_delay_alu instid0(VALU_DEP_2) | instskip(NEXT) | instid1(VALU_DEP_2)
	v_lshl_add_u32 v7, v7, 2, 0
	v_add3_u32 v12, 0, v12, 0x3ff0
	ds_store_b32 v7, v5
	s_wait_loadcnt 0x0
	ds_store_2addr_b64 v12, v[8:9], v[10:11] offset1:1
	s_or_b32 exec_lo, exec_lo, s41
	s_and_saveexec_b32 s15, vcc_lo
	s_cbranch_execz .LBB231_30
.LBB231_64:                             ;   in Loop: Header=BB231_31 Depth=1
	v_mov_b32_e32 v5, s36
	ds_store_b32 v5, v6
	s_branch .LBB231_30
.LBB231_65:                             ;   in Loop: Header=BB231_67 Depth=1
	s_or_b32 exec_lo, exec_lo, s5
.LBB231_66:                             ;   in Loop: Header=BB231_67 Depth=1
	s_delay_alu instid0(SALU_CYCLE_1)
	s_or_b32 exec_lo, exec_lo, s4
	s_wait_loadcnt 0x0
	v_mul_f64_e64 v[14:15], v[4:5], -v[6:7]
	v_mul_f64_e32 v[4:5], v[8:9], v[4:5]
	v_lshl_add_u32 v1, v1, 4, 0
	v_add_nc_u64_e32 v[12:13], 0x400, v[12:13]
	s_delay_alu instid0(VALU_DEP_1)
	v_cmp_le_i64_e32 vcc_lo, s[2:3], v[12:13]
	s_or_b32 s1, vcc_lo, s1
	v_fmac_f64_e32 v[14:15], v[8:9], v[2:3]
	v_fmac_f64_e32 v[4:5], v[6:7], v[2:3]
	ds_add_f64 v1, v[14:15] offset:16384
	ds_add_f64 v1, v[4:5] offset:16392
	s_and_not1_b32 exec_lo, exec_lo, s1
	s_cbranch_execz .LBB231_28
.LBB231_67:                             ; =>This Loop Header: Depth=1
                                        ;     Child Loop BB231_70 Depth 2
	v_lshl_add_u64 v[2:3], v[12:13], 2, s[14:15]
	s_mov_b32 s4, exec_lo
	global_load_b32 v1, v[2:3], off
	s_wait_xcnt 0x0
	v_lshl_add_u64 v[2:3], v[12:13], 4, s[16:17]
	global_load_b128 v[2:5], v[2:3], off
	s_wait_loadcnt 0x1
	v_subrev_nc_u32_e32 v11, s23, v1
	s_delay_alu instid0(VALU_DEP_1) | instskip(NEXT) | instid1(VALU_DEP_1)
	v_mul_lo_u32 v1, 0x89, v11
	v_and_b32_e32 v1, 0xfff, v1
	s_delay_alu instid0(VALU_DEP_1)
	v_lshl_add_u32 v14, v1, 2, 0
	ds_load_b32 v15, v14
	s_wait_dscnt 0x0
	s_wait_xcnt 0x0
	v_cmpx_ne_u32_e64 v15, v11
	s_cbranch_execz .LBB231_66
; %bb.68:                               ;   in Loop: Header=BB231_67 Depth=1
	s_mov_b32 s5, 0
	s_branch .LBB231_70
.LBB231_69:                             ;   in Loop: Header=BB231_70 Depth=2
	s_or_b32 exec_lo, exec_lo, s8
	s_delay_alu instid0(SALU_CYCLE_1) | instskip(NEXT) | instid1(SALU_CYCLE_1)
	s_and_b32 s6, exec_lo, s7
	s_or_b32 s5, s6, s5
	s_delay_alu instid0(SALU_CYCLE_1)
	s_and_not1_b32 exec_lo, exec_lo, s5
	s_cbranch_execz .LBB231_65
.LBB231_70:                             ;   Parent Loop BB231_67 Depth=1
                                        ; =>  This Inner Loop Header: Depth=2
	s_mov_b32 s6, 0
	s_mov_b32 s7, exec_lo
	v_cmpx_ne_u32_e64 s33, v15
	s_xor_b32 s7, exec_lo, s7
	s_cbranch_execz .LBB231_72
; %bb.71:                               ;   in Loop: Header=BB231_70 Depth=2
	v_add_nc_u32_e32 v1, 1, v1
	s_mov_b32 s6, exec_lo
                                        ; implicit-def: $vgpr14
	s_delay_alu instid0(VALU_DEP_1)
	v_and_b32_e32 v1, 0xfff, v1
	s_and_not1_saveexec_b32 s7, s7
	s_cbranch_execz .LBB231_74
	s_branch .LBB231_73
.LBB231_72:                             ;   in Loop: Header=BB231_70 Depth=2
	s_and_not1_saveexec_b32 s7, s7
	s_cbranch_execz .LBB231_74
.LBB231_73:                             ;   in Loop: Header=BB231_70 Depth=2
	v_mov_b32_e32 v15, s33
	s_and_not1_b32 s6, s6, exec_lo
	ds_cmpstore_rtn_b32 v14, v14, v11, v15
	s_wait_dscnt 0x0
	v_cmp_ne_u32_e32 vcc_lo, s33, v14
	s_and_b32 s8, vcc_lo, exec_lo
	s_delay_alu instid0(SALU_CYCLE_1)
	s_or_b32 s6, s6, s8
.LBB231_74:                             ;   in Loop: Header=BB231_70 Depth=2
	s_or_b32 exec_lo, exec_lo, s7
	s_mov_b32 s7, -1
                                        ; implicit-def: $vgpr14
                                        ; implicit-def: $vgpr15
	s_and_saveexec_b32 s8, s6
	s_cbranch_execz .LBB231_69
; %bb.75:                               ;   in Loop: Header=BB231_70 Depth=2
	v_lshl_add_u32 v14, v1, 2, 0
	ds_load_b32 v15, v14
	s_wait_dscnt 0x0
	v_cmp_eq_u32_e32 vcc_lo, v15, v11
	s_or_not1_b32 s7, vcc_lo, exec_lo
	s_branch .LBB231_69
.LBB231_76:
	s_or_b32 exec_lo, exec_lo, s16
	s_wait_kmcnt 0x0
	s_ashr_i32 s29, s28, 31
	s_delay_alu instid0(SALU_CYCLE_1) | instskip(NEXT) | instid1(SALU_CYCLE_1)
	s_lshl_b64 s[0:1], s[28:29], 3
	s_add_nc_u64 s[4:5], s[18:19], s[0:1]
	s_load_b128 s[0:3], s[4:5], 0x0
	s_wait_xcnt 0x0
	s_mov_b32 s4, exec_lo
	s_wait_kmcnt 0x0
	s_sub_co_i32 s3, s2, s0
	s_delay_alu instid0(SALU_CYCLE_1)
	v_cmpx_gt_i32_e64 s3, v0
	s_cbranch_execz .LBB231_86
; %bb.77:
	s_sub_co_i32 s4, s0, s2
	s_and_b32 s2, s3, 7
	s_cmp_lt_u32 s4, -7
	s_mov_b32 s23, 0
	s_cselect_b32 s4, -1, 0
	s_and_b32 s5, s3, -8
	s_cmp_lg_u32 s2, 0
	s_sub_nc_u64 s[0:1], s[0:1], s[22:23]
	s_cselect_b32 s6, -1, 0
	s_mov_b32 s7, 0
	s_branch .LBB231_79
.LBB231_78:                             ;   in Loop: Header=BB231_79 Depth=1
	s_wait_dscnt 0x0
	v_mul_lo_u32 v4, v0, 12
	v_add_nc_u32_e32 v0, 0x400, v0
	s_delay_alu instid0(VALU_DEP_3) | instskip(NEXT) | instid1(VALU_DEP_2)
	v_lshl_add_u64 v[2:3], v[2:3], 4, s[34:35]
	v_cmp_le_i32_e32 vcc_lo, s3, v0
	s_or_b32 s7, vcc_lo, s7
	s_delay_alu instid0(VALU_DEP_4)
	v_add3_u32 v1, v1, v4, 0x4000
	ds_load_2addr_b64 v[4:7], v1 offset1:1
	s_wait_dscnt 0x0
	global_store_b128 v[2:3], v[4:7], off
	s_wait_xcnt 0x0
	s_and_not1_b32 exec_lo, exec_lo, s7
	s_cbranch_execz .LBB231_86
.LBB231_79:                             ; =>This Loop Header: Depth=1
                                        ;     Child Loop BB231_81 Depth 2
                                        ;     Child Loop BB231_85 Depth 2
	v_lshl_add_u32 v1, v0, 2, 0
	v_mov_b64_e32 v[2:3], s[0:1]
	s_and_not1_b32 vcc_lo, exec_lo, s4
	s_mov_b32 s8, 0
	ds_load_b32 v4, v1
	s_cbranch_vccnz .LBB231_83
; %bb.80:                               ;   in Loop: Header=BB231_79 Depth=1
	v_mov_b64_e32 v[2:3], s[0:1]
	s_mov_b32 s9, 0
.LBB231_81:                             ;   Parent Loop BB231_79 Depth=1
                                        ; =>  This Inner Loop Header: Depth=2
	s_delay_alu instid0(SALU_CYCLE_1)
	v_dual_mov_b32 v5, s9 :: v_dual_mov_b32 v11, s23
	v_mov_b32_e32 v17, s23
	s_add_co_i32 s8, s8, 8
	s_add_co_i32 s9, s9, 32
	ds_load_2addr_b32 v[6:7], v5 offset1:1
	ds_load_2addr_b32 v[8:9], v5 offset0:2 offset1:3
	ds_load_2addr_b32 v[12:13], v5 offset0:4 offset1:5
	;; [unrolled: 1-line block ×3, first 2 shown]
	s_cmp_eq_u32 s5, s8
	s_wait_dscnt 0x3
	v_cmp_gt_i32_e32 vcc_lo, v4, v6
	v_cndmask_b32_e64 v10, 0, 1, vcc_lo
	v_cmp_gt_i32_e32 vcc_lo, v4, v7
	v_mov_b32_e32 v7, s23
	s_delay_alu instid0(VALU_DEP_3) | instskip(SKIP_4) | instid1(VALU_DEP_3)
	v_add_nc_u64_e32 v[2:3], v[2:3], v[10:11]
	v_cndmask_b32_e64 v16, 0, 1, vcc_lo
	s_wait_dscnt 0x2
	v_cmp_gt_i32_e32 vcc_lo, v4, v8
	v_cndmask_b32_e64 v6, 0, 1, vcc_lo
	v_add_nc_u64_e32 v[2:3], v[2:3], v[16:17]
	v_cmp_gt_i32_e32 vcc_lo, v4, v9
	v_mov_b32_e32 v9, s23
	v_cndmask_b32_e64 v10, 0, 1, vcc_lo
	s_delay_alu instid0(VALU_DEP_4) | instskip(SKIP_3) | instid1(VALU_DEP_3)
	v_add_nc_u64_e32 v[2:3], v[2:3], v[6:7]
	s_wait_dscnt 0x1
	v_cmp_gt_i32_e32 vcc_lo, v4, v12
	v_cndmask_b32_e64 v6, 0, 1, vcc_lo
	v_add_nc_u64_e32 v[2:3], v[2:3], v[10:11]
	v_cmp_gt_i32_e32 vcc_lo, v4, v13
	v_cndmask_b32_e64 v8, 0, 1, vcc_lo
	s_delay_alu instid0(VALU_DEP_3) | instskip(SKIP_3) | instid1(VALU_DEP_3)
	v_add_nc_u64_e32 v[2:3], v[2:3], v[6:7]
	s_wait_dscnt 0x0
	v_cmp_gt_i32_e32 vcc_lo, v4, v14
	v_cndmask_b32_e64 v6, 0, 1, vcc_lo
	v_add_nc_u64_e32 v[2:3], v[2:3], v[8:9]
	v_cmp_gt_i32_e32 vcc_lo, v4, v15
	v_cndmask_b32_e64 v8, 0, 1, vcc_lo
	s_delay_alu instid0(VALU_DEP_3) | instskip(NEXT) | instid1(VALU_DEP_1)
	v_add_nc_u64_e32 v[2:3], v[2:3], v[6:7]
	v_add_nc_u64_e32 v[2:3], v[2:3], v[8:9]
	s_cbranch_scc0 .LBB231_81
; %bb.82:                               ;   in Loop: Header=BB231_79 Depth=1
	s_mov_b32 s8, s5
.LBB231_83:                             ;   in Loop: Header=BB231_79 Depth=1
	s_and_not1_b32 vcc_lo, exec_lo, s6
	s_cbranch_vccnz .LBB231_78
; %bb.84:                               ;   in Loop: Header=BB231_79 Depth=1
	s_lshl_b32 s8, s8, 2
	s_mov_b32 s9, s2
	s_add_co_i32 s8, s8, 0
.LBB231_85:                             ;   Parent Loop BB231_79 Depth=1
                                        ; =>  This Inner Loop Header: Depth=2
	s_delay_alu instid0(SALU_CYCLE_1)
	v_dual_mov_b32 v5, s8 :: v_dual_mov_b32 v7, s23
	s_add_co_i32 s9, s9, -1
	s_add_co_i32 s8, s8, 4
	s_cmp_lg_u32 s9, 0
	ds_load_b32 v5, v5
	s_wait_dscnt 0x0
	v_cmp_gt_i32_e32 vcc_lo, v4, v5
	v_cndmask_b32_e64 v6, 0, 1, vcc_lo
	s_delay_alu instid0(VALU_DEP_1)
	v_add_nc_u64_e32 v[2:3], v[2:3], v[6:7]
	s_cbranch_scc1 .LBB231_85
	s_branch .LBB231_78
.LBB231_86:
	s_endpgm
	.section	.rodata,"a",@progbits
	.p2align	6, 0x0
	.amdhsa_kernel _ZN9rocsparseL41csrgemm_numeric_fill_block_per_row_kernelILj1024ELj64ELj4096ELj137ELj64Eli21rocsparse_complex_numIdEEEvT5_PKS3_S5_NS_24const_host_device_scalarIT6_EEPKT4_S5_PKS7_SB_S5_SD_S8_SB_S5_SD_SB_S5_PS7_21rocsparse_index_base_SF_SF_SF_bbb
		.amdhsa_group_segment_fixed_size 0
		.amdhsa_private_segment_fixed_size 40
		.amdhsa_kernarg_size 172
		.amdhsa_user_sgpr_count 2
		.amdhsa_user_sgpr_dispatch_ptr 0
		.amdhsa_user_sgpr_queue_ptr 0
		.amdhsa_user_sgpr_kernarg_segment_ptr 1
		.amdhsa_user_sgpr_dispatch_id 0
		.amdhsa_user_sgpr_kernarg_preload_length 0
		.amdhsa_user_sgpr_kernarg_preload_offset 0
		.amdhsa_user_sgpr_private_segment_size 0
		.amdhsa_wavefront_size32 1
		.amdhsa_uses_dynamic_stack 0
		.amdhsa_enable_private_segment 1
		.amdhsa_system_sgpr_workgroup_id_x 1
		.amdhsa_system_sgpr_workgroup_id_y 0
		.amdhsa_system_sgpr_workgroup_id_z 0
		.amdhsa_system_sgpr_workgroup_info 0
		.amdhsa_system_vgpr_workitem_id 0
		.amdhsa_next_free_vgpr 34
		.amdhsa_next_free_sgpr 44
		.amdhsa_named_barrier_count 0
		.amdhsa_reserve_vcc 1
		.amdhsa_float_round_mode_32 0
		.amdhsa_float_round_mode_16_64 0
		.amdhsa_float_denorm_mode_32 3
		.amdhsa_float_denorm_mode_16_64 3
		.amdhsa_fp16_overflow 0
		.amdhsa_memory_ordered 1
		.amdhsa_forward_progress 1
		.amdhsa_inst_pref_size 30
		.amdhsa_round_robin_scheduling 0
		.amdhsa_exception_fp_ieee_invalid_op 0
		.amdhsa_exception_fp_denorm_src 0
		.amdhsa_exception_fp_ieee_div_zero 0
		.amdhsa_exception_fp_ieee_overflow 0
		.amdhsa_exception_fp_ieee_underflow 0
		.amdhsa_exception_fp_ieee_inexact 0
		.amdhsa_exception_int_div_zero 0
	.end_amdhsa_kernel
	.section	.text._ZN9rocsparseL41csrgemm_numeric_fill_block_per_row_kernelILj1024ELj64ELj4096ELj137ELj64Eli21rocsparse_complex_numIdEEEvT5_PKS3_S5_NS_24const_host_device_scalarIT6_EEPKT4_S5_PKS7_SB_S5_SD_S8_SB_S5_SD_SB_S5_PS7_21rocsparse_index_base_SF_SF_SF_bbb,"axG",@progbits,_ZN9rocsparseL41csrgemm_numeric_fill_block_per_row_kernelILj1024ELj64ELj4096ELj137ELj64Eli21rocsparse_complex_numIdEEEvT5_PKS3_S5_NS_24const_host_device_scalarIT6_EEPKT4_S5_PKS7_SB_S5_SD_S8_SB_S5_SD_SB_S5_PS7_21rocsparse_index_base_SF_SF_SF_bbb,comdat
.Lfunc_end231:
	.size	_ZN9rocsparseL41csrgemm_numeric_fill_block_per_row_kernelILj1024ELj64ELj4096ELj137ELj64Eli21rocsparse_complex_numIdEEEvT5_PKS3_S5_NS_24const_host_device_scalarIT6_EEPKT4_S5_PKS7_SB_S5_SD_S8_SB_S5_SD_SB_S5_PS7_21rocsparse_index_base_SF_SF_SF_bbb, .Lfunc_end231-_ZN9rocsparseL41csrgemm_numeric_fill_block_per_row_kernelILj1024ELj64ELj4096ELj137ELj64Eli21rocsparse_complex_numIdEEEvT5_PKS3_S5_NS_24const_host_device_scalarIT6_EEPKT4_S5_PKS7_SB_S5_SD_S8_SB_S5_SD_SB_S5_PS7_21rocsparse_index_base_SF_SF_SF_bbb
                                        ; -- End function
	.set _ZN9rocsparseL41csrgemm_numeric_fill_block_per_row_kernelILj1024ELj64ELj4096ELj137ELj64Eli21rocsparse_complex_numIdEEEvT5_PKS3_S5_NS_24const_host_device_scalarIT6_EEPKT4_S5_PKS7_SB_S5_SD_S8_SB_S5_SD_SB_S5_PS7_21rocsparse_index_base_SF_SF_SF_bbb.num_vgpr, 34
	.set _ZN9rocsparseL41csrgemm_numeric_fill_block_per_row_kernelILj1024ELj64ELj4096ELj137ELj64Eli21rocsparse_complex_numIdEEEvT5_PKS3_S5_NS_24const_host_device_scalarIT6_EEPKT4_S5_PKS7_SB_S5_SD_S8_SB_S5_SD_SB_S5_PS7_21rocsparse_index_base_SF_SF_SF_bbb.num_agpr, 0
	.set _ZN9rocsparseL41csrgemm_numeric_fill_block_per_row_kernelILj1024ELj64ELj4096ELj137ELj64Eli21rocsparse_complex_numIdEEEvT5_PKS3_S5_NS_24const_host_device_scalarIT6_EEPKT4_S5_PKS7_SB_S5_SD_S8_SB_S5_SD_SB_S5_PS7_21rocsparse_index_base_SF_SF_SF_bbb.numbered_sgpr, 44
	.set _ZN9rocsparseL41csrgemm_numeric_fill_block_per_row_kernelILj1024ELj64ELj4096ELj137ELj64Eli21rocsparse_complex_numIdEEEvT5_PKS3_S5_NS_24const_host_device_scalarIT6_EEPKT4_S5_PKS7_SB_S5_SD_S8_SB_S5_SD_SB_S5_PS7_21rocsparse_index_base_SF_SF_SF_bbb.num_named_barrier, 0
	.set _ZN9rocsparseL41csrgemm_numeric_fill_block_per_row_kernelILj1024ELj64ELj4096ELj137ELj64Eli21rocsparse_complex_numIdEEEvT5_PKS3_S5_NS_24const_host_device_scalarIT6_EEPKT4_S5_PKS7_SB_S5_SD_S8_SB_S5_SD_SB_S5_PS7_21rocsparse_index_base_SF_SF_SF_bbb.private_seg_size, 40
	.set _ZN9rocsparseL41csrgemm_numeric_fill_block_per_row_kernelILj1024ELj64ELj4096ELj137ELj64Eli21rocsparse_complex_numIdEEEvT5_PKS3_S5_NS_24const_host_device_scalarIT6_EEPKT4_S5_PKS7_SB_S5_SD_S8_SB_S5_SD_SB_S5_PS7_21rocsparse_index_base_SF_SF_SF_bbb.uses_vcc, 1
	.set _ZN9rocsparseL41csrgemm_numeric_fill_block_per_row_kernelILj1024ELj64ELj4096ELj137ELj64Eli21rocsparse_complex_numIdEEEvT5_PKS3_S5_NS_24const_host_device_scalarIT6_EEPKT4_S5_PKS7_SB_S5_SD_S8_SB_S5_SD_SB_S5_PS7_21rocsparse_index_base_SF_SF_SF_bbb.uses_flat_scratch, 1
	.set _ZN9rocsparseL41csrgemm_numeric_fill_block_per_row_kernelILj1024ELj64ELj4096ELj137ELj64Eli21rocsparse_complex_numIdEEEvT5_PKS3_S5_NS_24const_host_device_scalarIT6_EEPKT4_S5_PKS7_SB_S5_SD_S8_SB_S5_SD_SB_S5_PS7_21rocsparse_index_base_SF_SF_SF_bbb.has_dyn_sized_stack, 0
	.set _ZN9rocsparseL41csrgemm_numeric_fill_block_per_row_kernelILj1024ELj64ELj4096ELj137ELj64Eli21rocsparse_complex_numIdEEEvT5_PKS3_S5_NS_24const_host_device_scalarIT6_EEPKT4_S5_PKS7_SB_S5_SD_S8_SB_S5_SD_SB_S5_PS7_21rocsparse_index_base_SF_SF_SF_bbb.has_recursion, 0
	.set _ZN9rocsparseL41csrgemm_numeric_fill_block_per_row_kernelILj1024ELj64ELj4096ELj137ELj64Eli21rocsparse_complex_numIdEEEvT5_PKS3_S5_NS_24const_host_device_scalarIT6_EEPKT4_S5_PKS7_SB_S5_SD_S8_SB_S5_SD_SB_S5_PS7_21rocsparse_index_base_SF_SF_SF_bbb.has_indirect_call, 0
	.section	.AMDGPU.csdata,"",@progbits
; Kernel info:
; codeLenInByte = 3736
; TotalNumSgprs: 46
; NumVgprs: 34
; ScratchSize: 40
; MemoryBound: 0
; FloatMode: 240
; IeeeMode: 1
; LDSByteSize: 0 bytes/workgroup (compile time only)
; SGPRBlocks: 0
; VGPRBlocks: 2
; NumSGPRsForWavesPerEU: 46
; NumVGPRsForWavesPerEU: 34
; NamedBarCnt: 0
; Occupancy: 16
; WaveLimiterHint : 1
; COMPUTE_PGM_RSRC2:SCRATCH_EN: 1
; COMPUTE_PGM_RSRC2:USER_SGPR: 2
; COMPUTE_PGM_RSRC2:TRAP_HANDLER: 0
; COMPUTE_PGM_RSRC2:TGID_X_EN: 1
; COMPUTE_PGM_RSRC2:TGID_Y_EN: 0
; COMPUTE_PGM_RSRC2:TGID_Z_EN: 0
; COMPUTE_PGM_RSRC2:TIDIG_COMP_CNT: 0
	.section	.text._ZN9rocsparseL41csrgemm_numeric_fill_block_per_row_kernelILj1024ELj64ELj8192ELj137ELj32Eli21rocsparse_complex_numIdEEEvT5_PKS3_S5_NS_24const_host_device_scalarIT6_EEPKT4_S5_PKS7_SB_S5_SD_S8_SB_S5_SD_SB_S5_PS7_21rocsparse_index_base_SF_SF_SF_bbb,"axG",@progbits,_ZN9rocsparseL41csrgemm_numeric_fill_block_per_row_kernelILj1024ELj64ELj8192ELj137ELj32Eli21rocsparse_complex_numIdEEEvT5_PKS3_S5_NS_24const_host_device_scalarIT6_EEPKT4_S5_PKS7_SB_S5_SD_S8_SB_S5_SD_SB_S5_PS7_21rocsparse_index_base_SF_SF_SF_bbb,comdat
	.globl	_ZN9rocsparseL41csrgemm_numeric_fill_block_per_row_kernelILj1024ELj64ELj8192ELj137ELj32Eli21rocsparse_complex_numIdEEEvT5_PKS3_S5_NS_24const_host_device_scalarIT6_EEPKT4_S5_PKS7_SB_S5_SD_S8_SB_S5_SD_SB_S5_PS7_21rocsparse_index_base_SF_SF_SF_bbb ; -- Begin function _ZN9rocsparseL41csrgemm_numeric_fill_block_per_row_kernelILj1024ELj64ELj8192ELj137ELj32Eli21rocsparse_complex_numIdEEEvT5_PKS3_S5_NS_24const_host_device_scalarIT6_EEPKT4_S5_PKS7_SB_S5_SD_S8_SB_S5_SD_SB_S5_PS7_21rocsparse_index_base_SF_SF_SF_bbb
	.p2align	8
	.type	_ZN9rocsparseL41csrgemm_numeric_fill_block_per_row_kernelILj1024ELj64ELj8192ELj137ELj32Eli21rocsparse_complex_numIdEEEvT5_PKS3_S5_NS_24const_host_device_scalarIT6_EEPKT4_S5_PKS7_SB_S5_SD_S8_SB_S5_SD_SB_S5_PS7_21rocsparse_index_base_SF_SF_SF_bbb,@function
_ZN9rocsparseL41csrgemm_numeric_fill_block_per_row_kernelILj1024ELj64ELj8192ELj137ELj32Eli21rocsparse_complex_numIdEEEvT5_PKS3_S5_NS_24const_host_device_scalarIT6_EEPKT4_S5_PKS7_SB_S5_SD_S8_SB_S5_SD_SB_S5_PS7_21rocsparse_index_base_SF_SF_SF_bbb: ; @_ZN9rocsparseL41csrgemm_numeric_fill_block_per_row_kernelILj1024ELj64ELj8192ELj137ELj32Eli21rocsparse_complex_numIdEEEvT5_PKS3_S5_NS_24const_host_device_scalarIT6_EEPKT4_S5_PKS7_SB_S5_SD_S8_SB_S5_SD_SB_S5_PS7_21rocsparse_index_base_SF_SF_SF_bbb
; %bb.0:
	s_clause 0x3
	s_load_b32 s3, s[0:1], 0xa8
	s_load_b256 s[4:11], s[0:1], 0x8
	s_load_b128 s[12:15], s[0:1], 0x58
	s_load_b128 s[36:39], s[0:1], 0x98
	v_mov_b64_e32 v[6:7], 0
	v_mov_b64_e32 v[10:11], 0
	;; [unrolled: 1-line block ×3, first 2 shown]
	v_mbcnt_lo_u32_b32 v27, -1, 0
	s_wait_kmcnt 0x0
	s_bitcmp1_b32 s3, 0
	v_mov_b64_e32 v[2:3], s[8:9]
	s_cselect_b32 s17, -1, 0
	s_bitcmp1_b32 s3, 16
	v_mov_b64_e32 v[4:5], s[12:13]
	s_cselect_b32 s2, -1, 0
	s_clause 0x1
	scratch_store_b64 off, v[2:3], off offset:16
	scratch_store_b64 off, v[4:5], off offset:24
	s_xor_b32 s18, s2, -1
	s_bitcmp0_b32 s3, 0
	v_cndmask_b32_e64 v1, 0, 1, s18
	s_delay_alu instid0(VALU_DEP_1)
	v_cmp_ne_u32_e32 vcc_lo, 1, v1
	s_cbranch_scc1 .LBB232_3
; %bb.1:
	s_wait_xcnt 0x1
	v_dual_mov_b32 v2, 16 :: v_dual_lshlrev_b32 v3, 20, v27
	v_mov_b64_e32 v[12:13], s[10:11]
	s_and_b32 vcc_lo, exec_lo, vcc_lo
	s_delay_alu instid0(VALU_DEP_2) | instskip(NEXT) | instid1(VALU_DEP_1)
	v_add_nc_u64_e32 v[2:3], src_flat_scratch_base_lo, v[2:3]
	v_cndmask_b32_e64 v3, s9, v3, s2
	s_delay_alu instid0(VALU_DEP_2)
	v_cndmask_b32_e64 v2, s8, v2, s2
	flat_load_b64 v[10:11], v[2:3]
	s_cbranch_vccnz .LBB232_3
; %bb.2:
	v_mov_b32_e32 v1, 0
	flat_load_b64 v[12:13], v1, s[8:9] offset:8
.LBB232_3:
	v_mov_b64_e32 v[8:9], 0
	s_bitcmp1_b32 s3, 8
	s_cselect_b32 s16, -1, 0
	s_bfe_u32 s3, s3, 0x10008
	s_delay_alu instid0(SALU_CYCLE_1)
	s_cmp_eq_u32 s3, 0
	s_cbranch_scc1 .LBB232_6
; %bb.4:
	s_wait_xcnt 0x0
	v_dual_mov_b32 v2, 24 :: v_dual_lshlrev_b32 v3, 20, v27
	v_mov_b64_e32 v[6:7], s[14:15]
	s_and_not1_b32 vcc_lo, exec_lo, s18
	s_delay_alu instid0(VALU_DEP_2) | instskip(NEXT) | instid1(VALU_DEP_1)
	v_add_nc_u64_e32 v[2:3], src_flat_scratch_base_lo, v[2:3]
	v_cndmask_b32_e64 v3, s13, v3, s2
	s_delay_alu instid0(VALU_DEP_2)
	v_cndmask_b32_e64 v2, s12, v2, s2
	flat_load_b64 v[8:9], v[2:3]
	s_cbranch_vccnz .LBB232_6
; %bb.5:
	v_mov_b32_e32 v1, 0
	flat_load_b64 v[6:7], v1, s[12:13] offset:8
.LBB232_6:
	s_load_b32 s33, s[0:1], 0x0
	v_lshl_add_u32 v26, v0, 2, 0
	v_lshlrev_b32_e32 v28, 4, v0
	s_mov_b32 s2, 0
	s_delay_alu instid0(SALU_CYCLE_1) | instskip(NEXT) | instid1(VALU_DEP_2)
	s_mov_b32 s3, s2
	v_mad_u32_u24 v1, v0, 12, v26
	s_mov_b32 s8, s2
	s_mov_b32 s9, s2
	v_mov_b64_e32 v[2:3], s[2:3]
	v_mov_b64_e32 v[4:5], s[8:9]
	v_mad_i32_i24 v14, v0, -12, v1
	v_add_nc_u32_e32 v1, 0x8000, v1
	s_getreg_b32 s8, hwreg(HW_REG_IB_STS2, 6, 4)
	s_delay_alu instid0(VALU_DEP_2) | instskip(SKIP_3) | instid1(VALU_DEP_3)
	v_mad_u32_u24 v16, v0, 12, v14
	s_wait_kmcnt 0x0
	v_mov_b32_e32 v19, s33
	v_add3_u32 v15, 0x8000, 0, v28
	v_dual_mov_b32 v20, s33 :: v_dual_add_nc_u32 v21, 0xc000, v16
	v_mad_i32_i24 v16, v0, -12, v16
	s_delay_alu instid0(VALU_DEP_3)
	v_dual_mov_b32 v22, s33 :: v_dual_add_nc_u32 v17, 0x8000, v15
	v_dual_mov_b32 v23, s33 :: v_dual_add_nc_u32 v18, 0xc000, v15
	ds_store_b32 v26, v19
	ds_store_2addr_b64 v1, v[2:3], v[4:5] offset1:1
	ds_store_b32 v14, v20 offset:4096
	ds_store_2addr_b64 v21, v[2:3], v[4:5] offset1:1
	v_dual_mov_b32 v1, s33 :: v_dual_mov_b32 v14, s33
	ds_store_2addr_stride64_b32 v16, v22, v23 offset0:32 offset1:48
	ds_store_2addr_b64 v17, v[2:3], v[4:5] offset1:1
	ds_store_2addr_b64 v18, v[2:3], v[4:5] offset1:1
	v_dual_mov_b32 v18, s33 :: v_dual_add_nc_u32 v17, 0x10000, v15
	ds_store_2addr_stride64_b32 v16, v1, v14 offset0:64 offset1:80
	v_add_nc_u32_e32 v1, 0x14000, v15
	v_add_nc_u32_e32 v19, 0x18000, v15
	v_add_nc_u32_e32 v15, 0x1c000, v15
	ds_store_2addr_b64 v17, v[2:3], v[4:5] offset1:1
	ds_store_2addr_b64 v1, v[2:3], v[4:5] offset1:1
	ds_store_2addr_stride64_b32 v16, v14, v18 offset0:96 offset1:112
	ds_store_2addr_b64 v19, v[2:3], v[4:5] offset1:1
	ds_store_2addr_b64 v15, v[2:3], v[4:5] offset1:1
	s_wait_storecnt 0x0
	s_wait_loadcnt_dscnt 0x0
	s_barrier_signal -1
	s_barrier_wait -1
	s_load_b32 s3, s[4:5], 0x0
	s_wait_xcnt 0x0
	s_bfe_u32 s4, ttmp6, 0x4000c
	s_and_b32 s5, ttmp6, 15
	s_add_co_i32 s4, s4, 1
	s_delay_alu instid0(SALU_CYCLE_1) | instskip(NEXT) | instid1(SALU_CYCLE_1)
	s_mul_i32 s4, ttmp9, s4
	s_add_co_i32 s5, s5, s4
	s_cmp_eq_u32 s8, 0
	s_cselect_b32 s4, ttmp9, s5
	s_and_not1_b32 vcc_lo, exec_lo, s17
	s_wait_kmcnt 0x0
	s_add_co_i32 s3, s3, s4
	s_load_b32 s34, s[6:7], s3 offset:0x0 scale_offset
	s_cbranch_vccnz .LBB232_24
; %bb.7:
	s_load_b64 s[4:5], s[0:1], 0x28
	s_wait_kmcnt 0x0
	s_ashr_i32 s35, s34, 31
	v_dual_mov_b32 v3, 0 :: v_dual_lshrrev_b32 v2, 6, v0
	s_lshl_b64 s[6:7], s[34:35], 3
	s_mov_b32 s17, exec_lo
	s_add_nc_u64 s[8:9], s[4:5], s[6:7]
	s_load_b128 s[4:7], s[8:9], 0x0
	s_wait_xcnt 0x0
	s_mov_b32 s8, s36
	s_mov_b32 s9, s2
	s_delay_alu instid0(SALU_CYCLE_1) | instskip(SKIP_1) | instid1(VALU_DEP_1)
	v_sub_nc_u64_e64 v[4:5], v[2:3], s[8:9]
	s_wait_kmcnt 0x0
	v_add_nc_u64_e32 v[14:15], s[4:5], v[4:5]
	s_sub_nc_u64 s[2:3], s[6:7], s[8:9]
	s_delay_alu instid0(VALU_DEP_1) | instid1(SALU_CYCLE_1)
	v_cmpx_gt_i64_e64 s[2:3], v[14:15]
	s_cbranch_execz .LBB232_23
; %bb.8:
	s_clause 0x1
	s_load_b64 s[12:13], s[0:1], 0x50
	s_load_b256 s[4:11], s[0:1], 0x30
	v_and_b32_e32 v2, 63, v0
	s_mov_b32 s15, 0
	s_mov_b32 s14, s37
	;; [unrolled: 1-line block ×3, first 2 shown]
	s_delay_alu instid0(VALU_DEP_1)
	v_sub_nc_u64_e64 v[16:17], v[2:3], s[14:15]
	s_branch .LBB232_10
.LBB232_9:                              ;   in Loop: Header=BB232_10 Depth=1
	s_or_b32 exec_lo, exec_lo, s19
	v_add_nc_u64_e32 v[14:15], 16, v[14:15]
	s_delay_alu instid0(VALU_DEP_1) | instskip(SKIP_1) | instid1(SALU_CYCLE_1)
	v_cmp_le_i64_e32 vcc_lo, s[2:3], v[14:15]
	s_or_b32 s18, vcc_lo, s18
	s_and_not1_b32 exec_lo, exec_lo, s18
	s_cbranch_execz .LBB232_23
.LBB232_10:                             ; =>This Loop Header: Depth=1
                                        ;     Child Loop BB232_14 Depth 2
                                        ;       Child Loop BB232_17 Depth 3
	s_wait_kmcnt 0x0
	v_lshl_add_u64 v[2:3], v[14:15], 2, s[4:5]
	s_mov_b32 s19, exec_lo
	global_load_b32 v1, v[2:3], off
	s_wait_loadcnt 0x0
	s_wait_xcnt 0x0
	v_subrev_nc_u32_e32 v2, s36, v1
	s_delay_alu instid0(VALU_DEP_1) | instskip(NEXT) | instid1(VALU_DEP_1)
	v_ashrrev_i32_e32 v3, 31, v2
	v_lshl_add_u64 v[2:3], v[2:3], 3, s[8:9]
	global_load_b128 v[2:5], v[2:3], off
	s_wait_loadcnt 0x0
	v_sub_nc_u64_e64 v[18:19], v[4:5], s[14:15]
	v_add_nc_u64_e32 v[20:21], v[2:3], v[16:17]
	s_wait_xcnt 0x0
	s_delay_alu instid0(VALU_DEP_1)
	v_cmpx_lt_i64_e64 v[20:21], v[18:19]
	s_cbranch_execz .LBB232_9
; %bb.11:                               ;   in Loop: Header=BB232_10 Depth=1
	v_lshl_add_u64 v[2:3], v[14:15], 4, s[6:7]
	s_mov_b32 s20, 0
	global_load_b128 v[2:5], v[2:3], off
	s_wait_loadcnt 0x0
	v_mul_f64_e64 v[22:23], v[4:5], -v[12:13]
	v_mul_f64_e32 v[24:25], v[10:11], v[4:5]
	s_delay_alu instid0(VALU_DEP_2) | instskip(NEXT) | instid1(VALU_DEP_2)
	v_fmac_f64_e32 v[22:23], v[10:11], v[2:3]
	v_fmac_f64_e32 v[24:25], v[12:13], v[2:3]
	s_branch .LBB232_14
.LBB232_12:                             ;   in Loop: Header=BB232_14 Depth=2
	s_or_b32 exec_lo, exec_lo, s22
.LBB232_13:                             ;   in Loop: Header=BB232_14 Depth=2
	s_delay_alu instid0(SALU_CYCLE_1)
	s_or_b32 exec_lo, exec_lo, s21
	s_wait_loadcnt 0x0
	v_mul_f64_e64 v[30:31], v[4:5], -v[24:25]
	v_mul_f64_e32 v[4:5], v[22:23], v[4:5]
	v_lshl_add_u32 v1, v1, 4, 0
	v_add_nc_u64_e32 v[20:21], 64, v[20:21]
	s_delay_alu instid0(VALU_DEP_1)
	v_cmp_ge_i64_e32 vcc_lo, v[20:21], v[18:19]
	s_or_b32 s20, vcc_lo, s20
	v_fmac_f64_e32 v[30:31], v[22:23], v[2:3]
	v_fmac_f64_e32 v[4:5], v[24:25], v[2:3]
	ds_add_f64 v1, v[30:31] offset:32768
	ds_add_f64 v1, v[4:5] offset:32776
	s_and_not1_b32 exec_lo, exec_lo, s20
	s_cbranch_execz .LBB232_9
.LBB232_14:                             ;   Parent Loop BB232_10 Depth=1
                                        ; =>  This Loop Header: Depth=2
                                        ;       Child Loop BB232_17 Depth 3
	s_wait_xcnt 0x0
	v_lshl_add_u64 v[2:3], v[20:21], 2, s[10:11]
	s_mov_b32 s21, exec_lo
	global_load_b32 v1, v[2:3], off
	s_wait_xcnt 0x0
	v_lshl_add_u64 v[2:3], v[20:21], 4, s[12:13]
	global_load_b128 v[2:5], v[2:3], off
	s_wait_loadcnt 0x1
	v_subrev_nc_u32_e32 v29, s37, v1
	s_delay_alu instid0(VALU_DEP_1) | instskip(NEXT) | instid1(VALU_DEP_1)
	v_mul_lo_u32 v1, 0x89, v29
	v_and_b32_e32 v1, 0x1fff, v1
	s_delay_alu instid0(VALU_DEP_1)
	v_lshl_add_u32 v30, v1, 2, 0
	ds_load_b32 v31, v30
	s_wait_dscnt 0x0
	s_wait_xcnt 0x0
	v_cmpx_ne_u32_e64 v31, v29
	s_cbranch_execz .LBB232_13
; %bb.15:                               ;   in Loop: Header=BB232_14 Depth=2
	s_mov_b32 s22, 0
	s_branch .LBB232_17
.LBB232_16:                             ;   in Loop: Header=BB232_17 Depth=3
	s_or_b32 exec_lo, exec_lo, s25
	s_delay_alu instid0(SALU_CYCLE_1) | instskip(NEXT) | instid1(SALU_CYCLE_1)
	s_and_b32 s23, exec_lo, s24
	s_or_b32 s22, s23, s22
	s_delay_alu instid0(SALU_CYCLE_1)
	s_and_not1_b32 exec_lo, exec_lo, s22
	s_cbranch_execz .LBB232_12
.LBB232_17:                             ;   Parent Loop BB232_10 Depth=1
                                        ;     Parent Loop BB232_14 Depth=2
                                        ; =>    This Inner Loop Header: Depth=3
	s_mov_b32 s23, 0
	s_mov_b32 s24, exec_lo
	v_cmpx_ne_u32_e64 s33, v31
	s_xor_b32 s24, exec_lo, s24
	s_cbranch_execz .LBB232_19
; %bb.18:                               ;   in Loop: Header=BB232_17 Depth=3
	v_add_nc_u32_e32 v1, 1, v1
	s_mov_b32 s23, exec_lo
                                        ; implicit-def: $vgpr30
	s_delay_alu instid0(VALU_DEP_1)
	v_and_b32_e32 v1, 0x1fff, v1
	s_and_not1_saveexec_b32 s24, s24
	s_cbranch_execz .LBB232_21
	s_branch .LBB232_20
.LBB232_19:                             ;   in Loop: Header=BB232_17 Depth=3
	s_and_not1_saveexec_b32 s24, s24
	s_cbranch_execz .LBB232_21
.LBB232_20:                             ;   in Loop: Header=BB232_17 Depth=3
	v_mov_b32_e32 v31, s33
	s_and_not1_b32 s23, s23, exec_lo
	ds_cmpstore_rtn_b32 v30, v30, v29, v31
	s_wait_dscnt 0x0
	v_cmp_ne_u32_e32 vcc_lo, s33, v30
	s_and_b32 s25, vcc_lo, exec_lo
	s_delay_alu instid0(SALU_CYCLE_1)
	s_or_b32 s23, s23, s25
.LBB232_21:                             ;   in Loop: Header=BB232_17 Depth=3
	s_or_b32 exec_lo, exec_lo, s24
	s_mov_b32 s24, -1
                                        ; implicit-def: $vgpr30
                                        ; implicit-def: $vgpr31
	s_and_saveexec_b32 s25, s23
	s_cbranch_execz .LBB232_16
; %bb.22:                               ;   in Loop: Header=BB232_17 Depth=3
	v_lshl_add_u32 v30, v1, 2, 0
	ds_load_b32 v31, v30
	s_wait_dscnt 0x0
	v_cmp_eq_u32_e32 vcc_lo, v31, v29
	s_or_not1_b32 s24, vcc_lo, exec_lo
	s_branch .LBB232_16
.LBB232_23:
	s_or_b32 exec_lo, exec_lo, s17
.LBB232_24:
	s_delay_alu instid0(SALU_CYCLE_1)
	s_and_not1_b32 vcc_lo, exec_lo, s16
	s_cbranch_vccnz .LBB232_39
; %bb.25:
	s_wait_xcnt 0x0
	s_load_b64 s[2:3], s[0:1], 0x68
	s_wait_kmcnt 0x0
	s_ashr_i32 s35, s34, 31
	v_mov_b32_e32 v1, 0
	s_lshl_b64 s[4:5], s[34:35], 3
	s_delay_alu instid0(SALU_CYCLE_1) | instskip(SKIP_4) | instid1(SALU_CYCLE_1)
	s_add_nc_u64 s[2:3], s[2:3], s[4:5]
	s_load_b128 s[4:7], s[2:3], 0x0
	s_wait_xcnt 0x0
	s_mov_b32 s3, 0
	s_mov_b32 s2, s39
	v_sub_nc_u64_e64 v[2:3], v[0:1], s[2:3]
	s_wait_kmcnt 0x0
	s_delay_alu instid0(VALU_DEP_1) | instskip(SKIP_2) | instid1(VALU_DEP_1)
	v_add_nc_u64_e32 v[10:11], s[4:5], v[2:3]
	s_sub_nc_u64 s[8:9], s[6:7], s[2:3]
	s_mov_b32 s2, exec_lo
	v_cmpx_gt_i64_e64 s[8:9], v[10:11]
	s_cbranch_execz .LBB232_38
; %bb.26:
	s_load_b128 s[4:7], s[0:1], 0x70
	s_branch .LBB232_29
.LBB232_27:                             ;   in Loop: Header=BB232_29 Depth=1
	s_or_b32 exec_lo, exec_lo, s11
.LBB232_28:                             ;   in Loop: Header=BB232_29 Depth=1
	s_delay_alu instid0(SALU_CYCLE_1)
	s_or_b32 exec_lo, exec_lo, s10
	s_wait_loadcnt 0x0
	v_mul_f64_e64 v[12:13], v[4:5], -v[6:7]
	v_mul_f64_e32 v[4:5], v[8:9], v[4:5]
	v_lshl_add_u32 v1, v1, 4, 0
	v_add_nc_u64_e32 v[10:11], 0x400, v[10:11]
	s_delay_alu instid0(VALU_DEP_1)
	v_cmp_le_i64_e32 vcc_lo, s[8:9], v[10:11]
	s_or_b32 s3, vcc_lo, s3
	v_fmac_f64_e32 v[12:13], v[8:9], v[2:3]
	v_fmac_f64_e32 v[4:5], v[6:7], v[2:3]
	ds_add_f64 v1, v[12:13] offset:32768
	ds_add_f64 v1, v[4:5] offset:32776
	s_and_not1_b32 exec_lo, exec_lo, s3
	s_cbranch_execz .LBB232_38
.LBB232_29:                             ; =>This Loop Header: Depth=1
                                        ;     Child Loop BB232_32 Depth 2
	s_wait_kmcnt 0x0
	v_lshl_add_u64 v[2:3], v[10:11], 2, s[4:5]
	s_mov_b32 s10, exec_lo
	global_load_b32 v1, v[2:3], off
	s_wait_xcnt 0x0
	v_lshl_add_u64 v[2:3], v[10:11], 4, s[6:7]
	global_load_b128 v[2:5], v[2:3], off
	s_wait_loadcnt 0x1
	v_subrev_nc_u32_e32 v12, s39, v1
	s_delay_alu instid0(VALU_DEP_1) | instskip(NEXT) | instid1(VALU_DEP_1)
	v_mul_lo_u32 v1, 0x89, v12
	v_and_b32_e32 v1, 0x1fff, v1
	s_delay_alu instid0(VALU_DEP_1)
	v_lshl_add_u32 v13, v1, 2, 0
	ds_load_b32 v14, v13
	s_wait_dscnt 0x0
	s_wait_xcnt 0x0
	v_cmpx_ne_u32_e64 v14, v12
	s_cbranch_execz .LBB232_28
; %bb.30:                               ;   in Loop: Header=BB232_29 Depth=1
	s_mov_b32 s11, 0
	s_branch .LBB232_32
.LBB232_31:                             ;   in Loop: Header=BB232_32 Depth=2
	s_or_b32 exec_lo, exec_lo, s14
	s_delay_alu instid0(SALU_CYCLE_1) | instskip(NEXT) | instid1(SALU_CYCLE_1)
	s_and_b32 s12, exec_lo, s13
	s_or_b32 s11, s12, s11
	s_delay_alu instid0(SALU_CYCLE_1)
	s_and_not1_b32 exec_lo, exec_lo, s11
	s_cbranch_execz .LBB232_27
.LBB232_32:                             ;   Parent Loop BB232_29 Depth=1
                                        ; =>  This Inner Loop Header: Depth=2
	s_mov_b32 s12, 0
	s_mov_b32 s13, exec_lo
	v_cmpx_ne_u32_e64 s33, v14
	s_xor_b32 s13, exec_lo, s13
	s_cbranch_execz .LBB232_34
; %bb.33:                               ;   in Loop: Header=BB232_32 Depth=2
	v_add_nc_u32_e32 v1, 1, v1
	s_mov_b32 s12, exec_lo
                                        ; implicit-def: $vgpr13
	s_delay_alu instid0(VALU_DEP_1)
	v_and_b32_e32 v1, 0x1fff, v1
	s_and_not1_saveexec_b32 s13, s13
	s_cbranch_execz .LBB232_36
	s_branch .LBB232_35
.LBB232_34:                             ;   in Loop: Header=BB232_32 Depth=2
	s_and_not1_saveexec_b32 s13, s13
	s_cbranch_execz .LBB232_36
.LBB232_35:                             ;   in Loop: Header=BB232_32 Depth=2
	v_mov_b32_e32 v14, s33
	s_and_not1_b32 s12, s12, exec_lo
	ds_cmpstore_rtn_b32 v13, v13, v12, v14
	s_wait_dscnt 0x0
	v_cmp_ne_u32_e32 vcc_lo, s33, v13
	s_and_b32 s14, vcc_lo, exec_lo
	s_delay_alu instid0(SALU_CYCLE_1)
	s_or_b32 s12, s12, s14
.LBB232_36:                             ;   in Loop: Header=BB232_32 Depth=2
	s_or_b32 exec_lo, exec_lo, s13
	s_mov_b32 s13, -1
                                        ; implicit-def: $vgpr13
                                        ; implicit-def: $vgpr14
	s_and_saveexec_b32 s14, s12
	s_cbranch_execz .LBB232_31
; %bb.37:                               ;   in Loop: Header=BB232_32 Depth=2
	v_lshl_add_u32 v13, v1, 2, 0
	ds_load_b32 v14, v13
	s_wait_dscnt 0x0
	v_cmp_eq_u32_e32 vcc_lo, v14, v12
	s_or_not1_b32 s13, vcc_lo, exec_lo
	s_branch .LBB232_31
.LBB232_38:
	s_or_b32 exec_lo, exec_lo, s2
.LBB232_39:
	s_clause 0x1
	s_load_b64 s[36:37], s[0:1], 0x90
	s_load_b64 s[40:41], s[0:1], 0x80
	v_dual_lshrrev_b32 v1, 3, v0 :: v_dual_bitop2_b32 v2, 31, v27 bitop3:0x14
	s_wait_xcnt 0x0
	v_cmp_lt_u32_e64 s0, 31, v0
	v_cmp_lt_u32_e64 s1, 63, v0
	;; [unrolled: 1-line block ×3, first 2 shown]
	v_and_b32_e32 v3, 0x7c, v1
	v_lshrrev_b32_e64 v2, v2, -1
	v_mov_b32_e32 v1, 0
	v_cmp_lt_u32_e64 s3, 0x7f, v0
	v_cmp_lt_u32_e64 s4, 0x9f, v0
	v_add3_u32 v3, 0x28000, 0, v3
	v_cmp_lt_u32_e64 s5, 0xbf, v0
	v_cmp_lt_u32_e64 s6, 0xdf, v0
	;; [unrolled: 1-line block ×26, first 2 shown]
	v_add3_u32 v4, v28, 0, 0x8000
	v_or_b32_e32 v5, 0xfffffc00, v0
	s_mov_b32 s35, 0
	s_add_co_i32 s39, 0, 0x28000
	s_add_co_i32 s42, 0, 0x28004
	;; [unrolled: 1-line block ×32, first 2 shown]
	s_wait_dscnt 0x0
	s_barrier_signal -1
	s_barrier_wait -1
	v_cmp_eq_u32_e32 vcc_lo, 0x3ff, v0
	s_branch .LBB232_41
.LBB232_40:                             ;   in Loop: Header=BB232_41 Depth=1
	s_or_b32 exec_lo, exec_lo, s31
	v_dual_mov_b32 v6, s72 :: v_dual_add_nc_u32 v5, 0x400, v5
	s_wait_dscnt 0x0
	s_barrier_signal -1
	s_barrier_wait -1
	ds_load_b32 v6, v6
	v_cmp_lt_u32_e64 s31, 0x1bff, v5
	v_add_nc_u32_e32 v4, 0x4000, v4
	v_add_nc_u32_e32 v26, 0x1000, v26
	s_or_b32 s35, s31, s35
	s_wait_dscnt 0x0
	v_add_nc_u32_e32 v1, v6, v1
	s_and_not1_b32 exec_lo, exec_lo, s35
	s_cbranch_execz .LBB232_107
.LBB232_41:                             ; =>This Inner Loop Header: Depth=1
	ds_load_b32 v6, v26
	ds_load_2addr_b64 v[8:11], v4 offset1:1
	s_wait_dscnt 0x1
	v_cmp_gt_i32_e64 s31, s33, v6
	s_wait_dscnt 0x0
	scratch_store_b128 off, v[8:11], off
	s_wait_storecnt 0x0
	s_barrier_signal -1
	s_barrier_wait -1
	s_bcnt1_i32_b32 s73, s31
	s_wait_xcnt 0x0
	v_dual_mov_b32 v8, s73 :: v_dual_bitop2_b32 v7, s31, v2 bitop3:0x40
	s_delay_alu instid0(VALU_DEP_1)
	v_bcnt_u32_b32 v7, v7, 0
	ds_store_b32 v3, v8
	s_wait_dscnt 0x0
	s_barrier_signal -1
	s_barrier_wait -1
	s_and_saveexec_b32 s73, s0
	s_cbranch_execz .LBB232_74
; %bb.42:                               ;   in Loop: Header=BB232_41 Depth=1
	v_mov_b32_e32 v8, s39
	ds_load_b32 v8, v8
	s_wait_dscnt 0x0
	v_add_nc_u32_e32 v7, v8, v7
	s_or_b32 exec_lo, exec_lo, s73
	s_and_saveexec_b32 s73, s1
	s_cbranch_execnz .LBB232_75
.LBB232_43:                             ;   in Loop: Header=BB232_41 Depth=1
	s_or_b32 exec_lo, exec_lo, s73
	s_and_saveexec_b32 s73, s2
	s_cbranch_execz .LBB232_76
.LBB232_44:                             ;   in Loop: Header=BB232_41 Depth=1
	v_mov_b32_e32 v8, s43
	ds_load_b32 v8, v8
	s_wait_dscnt 0x0
	v_add_nc_u32_e32 v7, v8, v7
	s_or_b32 exec_lo, exec_lo, s73
	s_and_saveexec_b32 s73, s3
	s_cbranch_execnz .LBB232_77
.LBB232_45:                             ;   in Loop: Header=BB232_41 Depth=1
	s_or_b32 exec_lo, exec_lo, s73
	s_and_saveexec_b32 s73, s4
	s_cbranch_execz .LBB232_78
.LBB232_46:                             ;   in Loop: Header=BB232_41 Depth=1
	v_mov_b32_e32 v8, s45
	ds_load_b32 v8, v8
	s_wait_dscnt 0x0
	v_add_nc_u32_e32 v7, v8, v7
	s_or_b32 exec_lo, exec_lo, s73
	s_and_saveexec_b32 s73, s5
	s_cbranch_execnz .LBB232_79
.LBB232_47:                             ;   in Loop: Header=BB232_41 Depth=1
	s_or_b32 exec_lo, exec_lo, s73
	s_and_saveexec_b32 s73, s6
	s_cbranch_execz .LBB232_80
.LBB232_48:                             ;   in Loop: Header=BB232_41 Depth=1
	v_mov_b32_e32 v8, s47
	ds_load_b32 v8, v8
	s_wait_dscnt 0x0
	v_add_nc_u32_e32 v7, v8, v7
	s_or_b32 exec_lo, exec_lo, s73
	s_and_saveexec_b32 s73, s7
	s_cbranch_execnz .LBB232_81
.LBB232_49:                             ;   in Loop: Header=BB232_41 Depth=1
	s_or_b32 exec_lo, exec_lo, s73
	s_and_saveexec_b32 s73, s8
	s_cbranch_execz .LBB232_82
.LBB232_50:                             ;   in Loop: Header=BB232_41 Depth=1
	v_mov_b32_e32 v8, s49
	ds_load_b32 v8, v8
	s_wait_dscnt 0x0
	v_add_nc_u32_e32 v7, v8, v7
	s_or_b32 exec_lo, exec_lo, s73
	s_and_saveexec_b32 s73, s9
	s_cbranch_execnz .LBB232_83
.LBB232_51:                             ;   in Loop: Header=BB232_41 Depth=1
	s_or_b32 exec_lo, exec_lo, s73
	s_and_saveexec_b32 s73, s10
	s_cbranch_execz .LBB232_84
.LBB232_52:                             ;   in Loop: Header=BB232_41 Depth=1
	v_mov_b32_e32 v8, s51
	ds_load_b32 v8, v8
	s_wait_dscnt 0x0
	v_add_nc_u32_e32 v7, v8, v7
	s_or_b32 exec_lo, exec_lo, s73
	s_and_saveexec_b32 s73, s11
	s_cbranch_execnz .LBB232_85
.LBB232_53:                             ;   in Loop: Header=BB232_41 Depth=1
	s_or_b32 exec_lo, exec_lo, s73
	s_and_saveexec_b32 s73, s12
	s_cbranch_execz .LBB232_86
.LBB232_54:                             ;   in Loop: Header=BB232_41 Depth=1
	v_mov_b32_e32 v8, s53
	ds_load_b32 v8, v8
	s_wait_dscnt 0x0
	v_add_nc_u32_e32 v7, v8, v7
	s_or_b32 exec_lo, exec_lo, s73
	s_and_saveexec_b32 s73, s13
	s_cbranch_execnz .LBB232_87
.LBB232_55:                             ;   in Loop: Header=BB232_41 Depth=1
	s_or_b32 exec_lo, exec_lo, s73
	s_and_saveexec_b32 s73, s14
	s_cbranch_execz .LBB232_88
.LBB232_56:                             ;   in Loop: Header=BB232_41 Depth=1
	v_mov_b32_e32 v8, s55
	ds_load_b32 v8, v8
	s_wait_dscnt 0x0
	v_add_nc_u32_e32 v7, v8, v7
	s_or_b32 exec_lo, exec_lo, s73
	s_and_saveexec_b32 s73, s15
	s_cbranch_execnz .LBB232_89
.LBB232_57:                             ;   in Loop: Header=BB232_41 Depth=1
	s_or_b32 exec_lo, exec_lo, s73
	s_and_saveexec_b32 s73, s16
	s_cbranch_execz .LBB232_90
.LBB232_58:                             ;   in Loop: Header=BB232_41 Depth=1
	v_mov_b32_e32 v8, s57
	ds_load_b32 v8, v8
	s_wait_dscnt 0x0
	v_add_nc_u32_e32 v7, v8, v7
	s_or_b32 exec_lo, exec_lo, s73
	s_and_saveexec_b32 s73, s17
	s_cbranch_execnz .LBB232_91
.LBB232_59:                             ;   in Loop: Header=BB232_41 Depth=1
	s_or_b32 exec_lo, exec_lo, s73
	s_and_saveexec_b32 s73, s18
	s_cbranch_execz .LBB232_92
.LBB232_60:                             ;   in Loop: Header=BB232_41 Depth=1
	v_mov_b32_e32 v8, s59
	ds_load_b32 v8, v8
	s_wait_dscnt 0x0
	v_add_nc_u32_e32 v7, v8, v7
	s_or_b32 exec_lo, exec_lo, s73
	s_and_saveexec_b32 s73, s19
	s_cbranch_execnz .LBB232_93
.LBB232_61:                             ;   in Loop: Header=BB232_41 Depth=1
	s_or_b32 exec_lo, exec_lo, s73
	s_and_saveexec_b32 s73, s20
	s_cbranch_execz .LBB232_94
.LBB232_62:                             ;   in Loop: Header=BB232_41 Depth=1
	v_mov_b32_e32 v8, s61
	ds_load_b32 v8, v8
	s_wait_dscnt 0x0
	v_add_nc_u32_e32 v7, v8, v7
	s_or_b32 exec_lo, exec_lo, s73
	s_and_saveexec_b32 s73, s21
	s_cbranch_execnz .LBB232_95
.LBB232_63:                             ;   in Loop: Header=BB232_41 Depth=1
	s_or_b32 exec_lo, exec_lo, s73
	s_and_saveexec_b32 s73, s22
	s_cbranch_execz .LBB232_96
.LBB232_64:                             ;   in Loop: Header=BB232_41 Depth=1
	v_mov_b32_e32 v8, s63
	ds_load_b32 v8, v8
	s_wait_dscnt 0x0
	v_add_nc_u32_e32 v7, v8, v7
	s_or_b32 exec_lo, exec_lo, s73
	s_and_saveexec_b32 s73, s23
	s_cbranch_execnz .LBB232_97
.LBB232_65:                             ;   in Loop: Header=BB232_41 Depth=1
	s_or_b32 exec_lo, exec_lo, s73
	s_and_saveexec_b32 s73, s24
	s_cbranch_execz .LBB232_98
.LBB232_66:                             ;   in Loop: Header=BB232_41 Depth=1
	v_mov_b32_e32 v8, s65
	ds_load_b32 v8, v8
	s_wait_dscnt 0x0
	v_add_nc_u32_e32 v7, v8, v7
	s_or_b32 exec_lo, exec_lo, s73
	s_and_saveexec_b32 s73, s25
	s_cbranch_execnz .LBB232_99
.LBB232_67:                             ;   in Loop: Header=BB232_41 Depth=1
	s_or_b32 exec_lo, exec_lo, s73
	s_and_saveexec_b32 s73, s26
	s_cbranch_execz .LBB232_100
.LBB232_68:                             ;   in Loop: Header=BB232_41 Depth=1
	v_mov_b32_e32 v8, s67
	ds_load_b32 v8, v8
	s_wait_dscnt 0x0
	v_add_nc_u32_e32 v7, v8, v7
	s_or_b32 exec_lo, exec_lo, s73
	s_and_saveexec_b32 s73, s27
	s_cbranch_execnz .LBB232_101
.LBB232_69:                             ;   in Loop: Header=BB232_41 Depth=1
	s_or_b32 exec_lo, exec_lo, s73
	s_and_saveexec_b32 s73, s28
	s_cbranch_execz .LBB232_102
.LBB232_70:                             ;   in Loop: Header=BB232_41 Depth=1
	v_mov_b32_e32 v8, s69
	ds_load_b32 v8, v8
	s_wait_dscnt 0x0
	v_add_nc_u32_e32 v7, v8, v7
	s_or_b32 exec_lo, exec_lo, s73
	s_and_saveexec_b32 s73, s29
	s_cbranch_execnz .LBB232_103
.LBB232_71:                             ;   in Loop: Header=BB232_41 Depth=1
	s_or_b32 exec_lo, exec_lo, s73
	s_and_saveexec_b32 s73, s30
	s_cbranch_execz .LBB232_104
.LBB232_72:                             ;   in Loop: Header=BB232_41 Depth=1
	v_mov_b32_e32 v8, s71
	ds_load_b32 v8, v8
	s_wait_dscnt 0x0
	v_add_nc_u32_e32 v7, v8, v7
	s_or_b32 exec_lo, exec_lo, s73
	s_and_saveexec_b32 s73, s31
	s_cbranch_execnz .LBB232_105
.LBB232_73:                             ;   in Loop: Header=BB232_41 Depth=1
	s_or_b32 exec_lo, exec_lo, s73
	s_and_saveexec_b32 s31, vcc_lo
	s_cbranch_execz .LBB232_40
	s_branch .LBB232_106
.LBB232_74:                             ;   in Loop: Header=BB232_41 Depth=1
	s_or_b32 exec_lo, exec_lo, s73
	s_and_saveexec_b32 s73, s1
	s_cbranch_execz .LBB232_43
.LBB232_75:                             ;   in Loop: Header=BB232_41 Depth=1
	v_mov_b32_e32 v8, s42
	ds_load_b32 v8, v8
	s_wait_dscnt 0x0
	v_add_nc_u32_e32 v7, v8, v7
	s_or_b32 exec_lo, exec_lo, s73
	s_and_saveexec_b32 s73, s2
	s_cbranch_execnz .LBB232_44
.LBB232_76:                             ;   in Loop: Header=BB232_41 Depth=1
	s_or_b32 exec_lo, exec_lo, s73
	s_and_saveexec_b32 s73, s3
	s_cbranch_execz .LBB232_45
.LBB232_77:                             ;   in Loop: Header=BB232_41 Depth=1
	v_mov_b32_e32 v8, s44
	ds_load_b32 v8, v8
	s_wait_dscnt 0x0
	v_add_nc_u32_e32 v7, v8, v7
	s_or_b32 exec_lo, exec_lo, s73
	s_and_saveexec_b32 s73, s4
	s_cbranch_execnz .LBB232_46
.LBB232_78:                             ;   in Loop: Header=BB232_41 Depth=1
	s_or_b32 exec_lo, exec_lo, s73
	s_and_saveexec_b32 s73, s5
	s_cbranch_execz .LBB232_47
.LBB232_79:                             ;   in Loop: Header=BB232_41 Depth=1
	v_mov_b32_e32 v8, s46
	ds_load_b32 v8, v8
	s_wait_dscnt 0x0
	v_add_nc_u32_e32 v7, v8, v7
	s_or_b32 exec_lo, exec_lo, s73
	s_and_saveexec_b32 s73, s6
	s_cbranch_execnz .LBB232_48
.LBB232_80:                             ;   in Loop: Header=BB232_41 Depth=1
	s_or_b32 exec_lo, exec_lo, s73
	s_and_saveexec_b32 s73, s7
	s_cbranch_execz .LBB232_49
.LBB232_81:                             ;   in Loop: Header=BB232_41 Depth=1
	v_mov_b32_e32 v8, s48
	ds_load_b32 v8, v8
	s_wait_dscnt 0x0
	v_add_nc_u32_e32 v7, v8, v7
	s_or_b32 exec_lo, exec_lo, s73
	s_and_saveexec_b32 s73, s8
	s_cbranch_execnz .LBB232_50
.LBB232_82:                             ;   in Loop: Header=BB232_41 Depth=1
	s_or_b32 exec_lo, exec_lo, s73
	s_and_saveexec_b32 s73, s9
	s_cbranch_execz .LBB232_51
.LBB232_83:                             ;   in Loop: Header=BB232_41 Depth=1
	v_mov_b32_e32 v8, s50
	ds_load_b32 v8, v8
	s_wait_dscnt 0x0
	v_add_nc_u32_e32 v7, v8, v7
	s_or_b32 exec_lo, exec_lo, s73
	s_and_saveexec_b32 s73, s10
	s_cbranch_execnz .LBB232_52
.LBB232_84:                             ;   in Loop: Header=BB232_41 Depth=1
	s_or_b32 exec_lo, exec_lo, s73
	s_and_saveexec_b32 s73, s11
	s_cbranch_execz .LBB232_53
.LBB232_85:                             ;   in Loop: Header=BB232_41 Depth=1
	v_mov_b32_e32 v8, s52
	ds_load_b32 v8, v8
	s_wait_dscnt 0x0
	v_add_nc_u32_e32 v7, v8, v7
	s_or_b32 exec_lo, exec_lo, s73
	s_and_saveexec_b32 s73, s12
	s_cbranch_execnz .LBB232_54
.LBB232_86:                             ;   in Loop: Header=BB232_41 Depth=1
	s_or_b32 exec_lo, exec_lo, s73
	s_and_saveexec_b32 s73, s13
	s_cbranch_execz .LBB232_55
.LBB232_87:                             ;   in Loop: Header=BB232_41 Depth=1
	v_mov_b32_e32 v8, s54
	ds_load_b32 v8, v8
	s_wait_dscnt 0x0
	v_add_nc_u32_e32 v7, v8, v7
	s_or_b32 exec_lo, exec_lo, s73
	s_and_saveexec_b32 s73, s14
	s_cbranch_execnz .LBB232_56
.LBB232_88:                             ;   in Loop: Header=BB232_41 Depth=1
	s_or_b32 exec_lo, exec_lo, s73
	s_and_saveexec_b32 s73, s15
	s_cbranch_execz .LBB232_57
.LBB232_89:                             ;   in Loop: Header=BB232_41 Depth=1
	v_mov_b32_e32 v8, s56
	ds_load_b32 v8, v8
	s_wait_dscnt 0x0
	v_add_nc_u32_e32 v7, v8, v7
	s_or_b32 exec_lo, exec_lo, s73
	s_and_saveexec_b32 s73, s16
	s_cbranch_execnz .LBB232_58
.LBB232_90:                             ;   in Loop: Header=BB232_41 Depth=1
	s_or_b32 exec_lo, exec_lo, s73
	s_and_saveexec_b32 s73, s17
	s_cbranch_execz .LBB232_59
.LBB232_91:                             ;   in Loop: Header=BB232_41 Depth=1
	v_mov_b32_e32 v8, s58
	ds_load_b32 v8, v8
	s_wait_dscnt 0x0
	v_add_nc_u32_e32 v7, v8, v7
	s_or_b32 exec_lo, exec_lo, s73
	s_and_saveexec_b32 s73, s18
	s_cbranch_execnz .LBB232_60
.LBB232_92:                             ;   in Loop: Header=BB232_41 Depth=1
	s_or_b32 exec_lo, exec_lo, s73
	s_and_saveexec_b32 s73, s19
	s_cbranch_execz .LBB232_61
.LBB232_93:                             ;   in Loop: Header=BB232_41 Depth=1
	v_mov_b32_e32 v8, s60
	ds_load_b32 v8, v8
	s_wait_dscnt 0x0
	v_add_nc_u32_e32 v7, v8, v7
	s_or_b32 exec_lo, exec_lo, s73
	s_and_saveexec_b32 s73, s20
	s_cbranch_execnz .LBB232_62
.LBB232_94:                             ;   in Loop: Header=BB232_41 Depth=1
	s_or_b32 exec_lo, exec_lo, s73
	s_and_saveexec_b32 s73, s21
	s_cbranch_execz .LBB232_63
.LBB232_95:                             ;   in Loop: Header=BB232_41 Depth=1
	v_mov_b32_e32 v8, s62
	ds_load_b32 v8, v8
	s_wait_dscnt 0x0
	v_add_nc_u32_e32 v7, v8, v7
	s_or_b32 exec_lo, exec_lo, s73
	s_and_saveexec_b32 s73, s22
	s_cbranch_execnz .LBB232_64
.LBB232_96:                             ;   in Loop: Header=BB232_41 Depth=1
	s_or_b32 exec_lo, exec_lo, s73
	s_and_saveexec_b32 s73, s23
	s_cbranch_execz .LBB232_65
.LBB232_97:                             ;   in Loop: Header=BB232_41 Depth=1
	v_mov_b32_e32 v8, s64
	ds_load_b32 v8, v8
	s_wait_dscnt 0x0
	v_add_nc_u32_e32 v7, v8, v7
	s_or_b32 exec_lo, exec_lo, s73
	s_and_saveexec_b32 s73, s24
	s_cbranch_execnz .LBB232_66
.LBB232_98:                             ;   in Loop: Header=BB232_41 Depth=1
	s_or_b32 exec_lo, exec_lo, s73
	s_and_saveexec_b32 s73, s25
	s_cbranch_execz .LBB232_67
.LBB232_99:                             ;   in Loop: Header=BB232_41 Depth=1
	v_mov_b32_e32 v8, s66
	ds_load_b32 v8, v8
	s_wait_dscnt 0x0
	v_add_nc_u32_e32 v7, v8, v7
	s_or_b32 exec_lo, exec_lo, s73
	s_and_saveexec_b32 s73, s26
	s_cbranch_execnz .LBB232_68
.LBB232_100:                            ;   in Loop: Header=BB232_41 Depth=1
	s_or_b32 exec_lo, exec_lo, s73
	s_and_saveexec_b32 s73, s27
	s_cbranch_execz .LBB232_69
.LBB232_101:                            ;   in Loop: Header=BB232_41 Depth=1
	v_mov_b32_e32 v8, s68
	ds_load_b32 v8, v8
	s_wait_dscnt 0x0
	v_add_nc_u32_e32 v7, v8, v7
	s_or_b32 exec_lo, exec_lo, s73
	s_and_saveexec_b32 s73, s28
	s_cbranch_execnz .LBB232_70
.LBB232_102:                            ;   in Loop: Header=BB232_41 Depth=1
	s_or_b32 exec_lo, exec_lo, s73
	s_and_saveexec_b32 s73, s29
	s_cbranch_execz .LBB232_71
.LBB232_103:                            ;   in Loop: Header=BB232_41 Depth=1
	v_mov_b32_e32 v8, s70
	ds_load_b32 v8, v8
	s_wait_dscnt 0x0
	v_add_nc_u32_e32 v7, v8, v7
	s_or_b32 exec_lo, exec_lo, s73
	s_and_saveexec_b32 s73, s30
	s_cbranch_execnz .LBB232_72
.LBB232_104:                            ;   in Loop: Header=BB232_41 Depth=1
	s_or_b32 exec_lo, exec_lo, s73
	s_and_saveexec_b32 s73, s31
	s_cbranch_execz .LBB232_73
.LBB232_105:                            ;   in Loop: Header=BB232_41 Depth=1
	scratch_load_b128 v[8:11], off, off
	v_add3_u32 v12, v1, -1, v7
	v_add_lshl_u32 v13, v1, v7, 4
	s_delay_alu instid0(VALU_DEP_2) | instskip(NEXT) | instid1(VALU_DEP_2)
	v_lshl_add_u32 v12, v12, 2, 0
	v_add3_u32 v13, 0, v13, 0x7ff0
	ds_store_b32 v12, v6
	s_wait_loadcnt 0x0
	ds_store_2addr_b64 v13, v[8:9], v[10:11] offset1:1
	s_or_b32 exec_lo, exec_lo, s73
	s_and_saveexec_b32 s31, vcc_lo
	s_cbranch_execz .LBB232_40
.LBB232_106:                            ;   in Loop: Header=BB232_41 Depth=1
	v_mov_b32_e32 v6, s72
	ds_store_b32 v6, v7
	s_branch .LBB232_40
.LBB232_107:
	s_or_b32 exec_lo, exec_lo, s35
	s_wait_kmcnt 0x0
	s_ashr_i32 s35, s34, 31
	s_delay_alu instid0(SALU_CYCLE_1) | instskip(NEXT) | instid1(SALU_CYCLE_1)
	s_lshl_b64 s[0:1], s[34:35], 3
	s_add_nc_u64 s[4:5], s[40:41], s[0:1]
	s_load_b128 s[0:3], s[4:5], 0x0
	s_wait_xcnt 0x0
	s_mov_b32 s4, exec_lo
	s_wait_kmcnt 0x0
	s_sub_co_i32 s3, s2, s0
	s_delay_alu instid0(SALU_CYCLE_1)
	v_cmpx_gt_i32_e64 s3, v0
	s_cbranch_execz .LBB232_117
; %bb.108:
	s_sub_co_i32 s4, s0, s2
	s_and_b32 s2, s3, 7
	s_cmp_lt_u32 s4, -7
	s_mov_b32 s39, 0
	s_cselect_b32 s4, -1, 0
	s_and_b32 s5, s3, -8
	s_cmp_lg_u32 s2, 0
	s_sub_nc_u64 s[0:1], s[0:1], s[38:39]
	s_cselect_b32 s6, -1, 0
	s_mov_b32 s7, 0
	s_branch .LBB232_110
.LBB232_109:                            ;   in Loop: Header=BB232_110 Depth=1
	s_wait_dscnt 0x0
	v_mul_lo_u32 v4, v0, 12
	v_add_nc_u32_e32 v0, 0x400, v0
	s_delay_alu instid0(VALU_DEP_3) | instskip(NEXT) | instid1(VALU_DEP_2)
	v_lshl_add_u64 v[2:3], v[2:3], 4, s[36:37]
	v_cmp_le_i32_e32 vcc_lo, s3, v0
	s_or_b32 s7, vcc_lo, s7
	s_delay_alu instid0(VALU_DEP_4)
	v_add3_u32 v1, v1, v4, 0x8000
	ds_load_2addr_b64 v[4:7], v1 offset1:1
	s_wait_dscnt 0x0
	global_store_b128 v[2:3], v[4:7], off
	s_wait_xcnt 0x0
	s_and_not1_b32 exec_lo, exec_lo, s7
	s_cbranch_execz .LBB232_117
.LBB232_110:                            ; =>This Loop Header: Depth=1
                                        ;     Child Loop BB232_112 Depth 2
                                        ;     Child Loop BB232_116 Depth 2
	v_lshl_add_u32 v1, v0, 2, 0
	v_mov_b64_e32 v[2:3], s[0:1]
	s_and_not1_b32 vcc_lo, exec_lo, s4
	s_mov_b32 s8, 0
	ds_load_b32 v4, v1
	s_cbranch_vccnz .LBB232_114
; %bb.111:                              ;   in Loop: Header=BB232_110 Depth=1
	v_mov_b64_e32 v[2:3], s[0:1]
	s_mov_b32 s9, 0
.LBB232_112:                            ;   Parent Loop BB232_110 Depth=1
                                        ; =>  This Inner Loop Header: Depth=2
	s_delay_alu instid0(SALU_CYCLE_1)
	v_dual_mov_b32 v5, s9 :: v_dual_mov_b32 v11, s39
	v_mov_b32_e32 v17, s39
	s_add_co_i32 s8, s8, 8
	s_add_co_i32 s9, s9, 32
	ds_load_2addr_b32 v[6:7], v5 offset1:1
	ds_load_2addr_b32 v[8:9], v5 offset0:2 offset1:3
	ds_load_2addr_b32 v[12:13], v5 offset0:4 offset1:5
	;; [unrolled: 1-line block ×3, first 2 shown]
	s_cmp_eq_u32 s5, s8
	s_wait_dscnt 0x3
	v_cmp_gt_i32_e32 vcc_lo, v4, v6
	v_cndmask_b32_e64 v10, 0, 1, vcc_lo
	v_cmp_gt_i32_e32 vcc_lo, v4, v7
	v_mov_b32_e32 v7, s39
	s_delay_alu instid0(VALU_DEP_3) | instskip(SKIP_4) | instid1(VALU_DEP_3)
	v_add_nc_u64_e32 v[2:3], v[2:3], v[10:11]
	v_cndmask_b32_e64 v16, 0, 1, vcc_lo
	s_wait_dscnt 0x2
	v_cmp_gt_i32_e32 vcc_lo, v4, v8
	v_cndmask_b32_e64 v6, 0, 1, vcc_lo
	v_add_nc_u64_e32 v[2:3], v[2:3], v[16:17]
	v_cmp_gt_i32_e32 vcc_lo, v4, v9
	v_mov_b32_e32 v9, s39
	v_cndmask_b32_e64 v10, 0, 1, vcc_lo
	s_delay_alu instid0(VALU_DEP_4) | instskip(SKIP_3) | instid1(VALU_DEP_3)
	v_add_nc_u64_e32 v[2:3], v[2:3], v[6:7]
	s_wait_dscnt 0x1
	v_cmp_gt_i32_e32 vcc_lo, v4, v12
	v_cndmask_b32_e64 v6, 0, 1, vcc_lo
	v_add_nc_u64_e32 v[2:3], v[2:3], v[10:11]
	v_cmp_gt_i32_e32 vcc_lo, v4, v13
	v_cndmask_b32_e64 v8, 0, 1, vcc_lo
	s_delay_alu instid0(VALU_DEP_3) | instskip(SKIP_3) | instid1(VALU_DEP_3)
	v_add_nc_u64_e32 v[2:3], v[2:3], v[6:7]
	s_wait_dscnt 0x0
	v_cmp_gt_i32_e32 vcc_lo, v4, v14
	v_cndmask_b32_e64 v6, 0, 1, vcc_lo
	v_add_nc_u64_e32 v[2:3], v[2:3], v[8:9]
	v_cmp_gt_i32_e32 vcc_lo, v4, v15
	v_cndmask_b32_e64 v8, 0, 1, vcc_lo
	s_delay_alu instid0(VALU_DEP_3) | instskip(NEXT) | instid1(VALU_DEP_1)
	v_add_nc_u64_e32 v[2:3], v[2:3], v[6:7]
	v_add_nc_u64_e32 v[2:3], v[2:3], v[8:9]
	s_cbranch_scc0 .LBB232_112
; %bb.113:                              ;   in Loop: Header=BB232_110 Depth=1
	s_mov_b32 s8, s5
.LBB232_114:                            ;   in Loop: Header=BB232_110 Depth=1
	s_and_not1_b32 vcc_lo, exec_lo, s6
	s_cbranch_vccnz .LBB232_109
; %bb.115:                              ;   in Loop: Header=BB232_110 Depth=1
	s_lshl_b32 s8, s8, 2
	s_mov_b32 s9, s2
	s_add_co_i32 s8, s8, 0
.LBB232_116:                            ;   Parent Loop BB232_110 Depth=1
                                        ; =>  This Inner Loop Header: Depth=2
	s_delay_alu instid0(SALU_CYCLE_1)
	v_dual_mov_b32 v5, s8 :: v_dual_mov_b32 v7, s39
	s_add_co_i32 s9, s9, -1
	s_add_co_i32 s8, s8, 4
	s_cmp_lg_u32 s9, 0
	ds_load_b32 v5, v5
	s_wait_dscnt 0x0
	v_cmp_gt_i32_e32 vcc_lo, v4, v5
	v_cndmask_b32_e64 v6, 0, 1, vcc_lo
	s_delay_alu instid0(VALU_DEP_1)
	v_add_nc_u64_e32 v[2:3], v[2:3], v[6:7]
	s_cbranch_scc1 .LBB232_116
	s_branch .LBB232_109
.LBB232_117:
	s_endpgm
	.section	.rodata,"a",@progbits
	.p2align	6, 0x0
	.amdhsa_kernel _ZN9rocsparseL41csrgemm_numeric_fill_block_per_row_kernelILj1024ELj64ELj8192ELj137ELj32Eli21rocsparse_complex_numIdEEEvT5_PKS3_S5_NS_24const_host_device_scalarIT6_EEPKT4_S5_PKS7_SB_S5_SD_S8_SB_S5_SD_SB_S5_PS7_21rocsparse_index_base_SF_SF_SF_bbb
		.amdhsa_group_segment_fixed_size 0
		.amdhsa_private_segment_fixed_size 40
		.amdhsa_kernarg_size 172
		.amdhsa_user_sgpr_count 2
		.amdhsa_user_sgpr_dispatch_ptr 0
		.amdhsa_user_sgpr_queue_ptr 0
		.amdhsa_user_sgpr_kernarg_segment_ptr 1
		.amdhsa_user_sgpr_dispatch_id 0
		.amdhsa_user_sgpr_kernarg_preload_length 0
		.amdhsa_user_sgpr_kernarg_preload_offset 0
		.amdhsa_user_sgpr_private_segment_size 0
		.amdhsa_wavefront_size32 1
		.amdhsa_uses_dynamic_stack 0
		.amdhsa_enable_private_segment 1
		.amdhsa_system_sgpr_workgroup_id_x 1
		.amdhsa_system_sgpr_workgroup_id_y 0
		.amdhsa_system_sgpr_workgroup_id_z 0
		.amdhsa_system_sgpr_workgroup_info 0
		.amdhsa_system_vgpr_workitem_id 0
		.amdhsa_next_free_vgpr 32
		.amdhsa_next_free_sgpr 74
		.amdhsa_named_barrier_count 0
		.amdhsa_reserve_vcc 1
		.amdhsa_float_round_mode_32 0
		.amdhsa_float_round_mode_16_64 0
		.amdhsa_float_denorm_mode_32 3
		.amdhsa_float_denorm_mode_16_64 3
		.amdhsa_fp16_overflow 0
		.amdhsa_memory_ordered 1
		.amdhsa_forward_progress 1
		.amdhsa_inst_pref_size 39
		.amdhsa_round_robin_scheduling 0
		.amdhsa_exception_fp_ieee_invalid_op 0
		.amdhsa_exception_fp_denorm_src 0
		.amdhsa_exception_fp_ieee_div_zero 0
		.amdhsa_exception_fp_ieee_overflow 0
		.amdhsa_exception_fp_ieee_underflow 0
		.amdhsa_exception_fp_ieee_inexact 0
		.amdhsa_exception_int_div_zero 0
	.end_amdhsa_kernel
	.section	.text._ZN9rocsparseL41csrgemm_numeric_fill_block_per_row_kernelILj1024ELj64ELj8192ELj137ELj32Eli21rocsparse_complex_numIdEEEvT5_PKS3_S5_NS_24const_host_device_scalarIT6_EEPKT4_S5_PKS7_SB_S5_SD_S8_SB_S5_SD_SB_S5_PS7_21rocsparse_index_base_SF_SF_SF_bbb,"axG",@progbits,_ZN9rocsparseL41csrgemm_numeric_fill_block_per_row_kernelILj1024ELj64ELj8192ELj137ELj32Eli21rocsparse_complex_numIdEEEvT5_PKS3_S5_NS_24const_host_device_scalarIT6_EEPKT4_S5_PKS7_SB_S5_SD_S8_SB_S5_SD_SB_S5_PS7_21rocsparse_index_base_SF_SF_SF_bbb,comdat
.Lfunc_end232:
	.size	_ZN9rocsparseL41csrgemm_numeric_fill_block_per_row_kernelILj1024ELj64ELj8192ELj137ELj32Eli21rocsparse_complex_numIdEEEvT5_PKS3_S5_NS_24const_host_device_scalarIT6_EEPKT4_S5_PKS7_SB_S5_SD_S8_SB_S5_SD_SB_S5_PS7_21rocsparse_index_base_SF_SF_SF_bbb, .Lfunc_end232-_ZN9rocsparseL41csrgemm_numeric_fill_block_per_row_kernelILj1024ELj64ELj8192ELj137ELj32Eli21rocsparse_complex_numIdEEEvT5_PKS3_S5_NS_24const_host_device_scalarIT6_EEPKT4_S5_PKS7_SB_S5_SD_S8_SB_S5_SD_SB_S5_PS7_21rocsparse_index_base_SF_SF_SF_bbb
                                        ; -- End function
	.set _ZN9rocsparseL41csrgemm_numeric_fill_block_per_row_kernelILj1024ELj64ELj8192ELj137ELj32Eli21rocsparse_complex_numIdEEEvT5_PKS3_S5_NS_24const_host_device_scalarIT6_EEPKT4_S5_PKS7_SB_S5_SD_S8_SB_S5_SD_SB_S5_PS7_21rocsparse_index_base_SF_SF_SF_bbb.num_vgpr, 32
	.set _ZN9rocsparseL41csrgemm_numeric_fill_block_per_row_kernelILj1024ELj64ELj8192ELj137ELj32Eli21rocsparse_complex_numIdEEEvT5_PKS3_S5_NS_24const_host_device_scalarIT6_EEPKT4_S5_PKS7_SB_S5_SD_S8_SB_S5_SD_SB_S5_PS7_21rocsparse_index_base_SF_SF_SF_bbb.num_agpr, 0
	.set _ZN9rocsparseL41csrgemm_numeric_fill_block_per_row_kernelILj1024ELj64ELj8192ELj137ELj32Eli21rocsparse_complex_numIdEEEvT5_PKS3_S5_NS_24const_host_device_scalarIT6_EEPKT4_S5_PKS7_SB_S5_SD_S8_SB_S5_SD_SB_S5_PS7_21rocsparse_index_base_SF_SF_SF_bbb.numbered_sgpr, 74
	.set _ZN9rocsparseL41csrgemm_numeric_fill_block_per_row_kernelILj1024ELj64ELj8192ELj137ELj32Eli21rocsparse_complex_numIdEEEvT5_PKS3_S5_NS_24const_host_device_scalarIT6_EEPKT4_S5_PKS7_SB_S5_SD_S8_SB_S5_SD_SB_S5_PS7_21rocsparse_index_base_SF_SF_SF_bbb.num_named_barrier, 0
	.set _ZN9rocsparseL41csrgemm_numeric_fill_block_per_row_kernelILj1024ELj64ELj8192ELj137ELj32Eli21rocsparse_complex_numIdEEEvT5_PKS3_S5_NS_24const_host_device_scalarIT6_EEPKT4_S5_PKS7_SB_S5_SD_S8_SB_S5_SD_SB_S5_PS7_21rocsparse_index_base_SF_SF_SF_bbb.private_seg_size, 40
	.set _ZN9rocsparseL41csrgemm_numeric_fill_block_per_row_kernelILj1024ELj64ELj8192ELj137ELj32Eli21rocsparse_complex_numIdEEEvT5_PKS3_S5_NS_24const_host_device_scalarIT6_EEPKT4_S5_PKS7_SB_S5_SD_S8_SB_S5_SD_SB_S5_PS7_21rocsparse_index_base_SF_SF_SF_bbb.uses_vcc, 1
	.set _ZN9rocsparseL41csrgemm_numeric_fill_block_per_row_kernelILj1024ELj64ELj8192ELj137ELj32Eli21rocsparse_complex_numIdEEEvT5_PKS3_S5_NS_24const_host_device_scalarIT6_EEPKT4_S5_PKS7_SB_S5_SD_S8_SB_S5_SD_SB_S5_PS7_21rocsparse_index_base_SF_SF_SF_bbb.uses_flat_scratch, 1
	.set _ZN9rocsparseL41csrgemm_numeric_fill_block_per_row_kernelILj1024ELj64ELj8192ELj137ELj32Eli21rocsparse_complex_numIdEEEvT5_PKS3_S5_NS_24const_host_device_scalarIT6_EEPKT4_S5_PKS7_SB_S5_SD_S8_SB_S5_SD_SB_S5_PS7_21rocsparse_index_base_SF_SF_SF_bbb.has_dyn_sized_stack, 0
	.set _ZN9rocsparseL41csrgemm_numeric_fill_block_per_row_kernelILj1024ELj64ELj8192ELj137ELj32Eli21rocsparse_complex_numIdEEEvT5_PKS3_S5_NS_24const_host_device_scalarIT6_EEPKT4_S5_PKS7_SB_S5_SD_S8_SB_S5_SD_SB_S5_PS7_21rocsparse_index_base_SF_SF_SF_bbb.has_recursion, 0
	.set _ZN9rocsparseL41csrgemm_numeric_fill_block_per_row_kernelILj1024ELj64ELj8192ELj137ELj32Eli21rocsparse_complex_numIdEEEvT5_PKS3_S5_NS_24const_host_device_scalarIT6_EEPKT4_S5_PKS7_SB_S5_SD_S8_SB_S5_SD_SB_S5_PS7_21rocsparse_index_base_SF_SF_SF_bbb.has_indirect_call, 0
	.section	.AMDGPU.csdata,"",@progbits
; Kernel info:
; codeLenInByte = 4964
; TotalNumSgprs: 76
; NumVgprs: 32
; ScratchSize: 40
; MemoryBound: 0
; FloatMode: 240
; IeeeMode: 1
; LDSByteSize: 0 bytes/workgroup (compile time only)
; SGPRBlocks: 0
; VGPRBlocks: 1
; NumSGPRsForWavesPerEU: 76
; NumVGPRsForWavesPerEU: 32
; NamedBarCnt: 0
; Occupancy: 16
; WaveLimiterHint : 1
; COMPUTE_PGM_RSRC2:SCRATCH_EN: 1
; COMPUTE_PGM_RSRC2:USER_SGPR: 2
; COMPUTE_PGM_RSRC2:TRAP_HANDLER: 0
; COMPUTE_PGM_RSRC2:TGID_X_EN: 1
; COMPUTE_PGM_RSRC2:TGID_Y_EN: 0
; COMPUTE_PGM_RSRC2:TGID_Z_EN: 0
; COMPUTE_PGM_RSRC2:TIDIG_COMP_CNT: 0
	.section	.text._ZN9rocsparseL41csrgemm_numeric_fill_block_per_row_kernelILj1024ELj64ELj8192ELj137ELj64Eli21rocsparse_complex_numIdEEEvT5_PKS3_S5_NS_24const_host_device_scalarIT6_EEPKT4_S5_PKS7_SB_S5_SD_S8_SB_S5_SD_SB_S5_PS7_21rocsparse_index_base_SF_SF_SF_bbb,"axG",@progbits,_ZN9rocsparseL41csrgemm_numeric_fill_block_per_row_kernelILj1024ELj64ELj8192ELj137ELj64Eli21rocsparse_complex_numIdEEEvT5_PKS3_S5_NS_24const_host_device_scalarIT6_EEPKT4_S5_PKS7_SB_S5_SD_S8_SB_S5_SD_SB_S5_PS7_21rocsparse_index_base_SF_SF_SF_bbb,comdat
	.globl	_ZN9rocsparseL41csrgemm_numeric_fill_block_per_row_kernelILj1024ELj64ELj8192ELj137ELj64Eli21rocsparse_complex_numIdEEEvT5_PKS3_S5_NS_24const_host_device_scalarIT6_EEPKT4_S5_PKS7_SB_S5_SD_S8_SB_S5_SD_SB_S5_PS7_21rocsparse_index_base_SF_SF_SF_bbb ; -- Begin function _ZN9rocsparseL41csrgemm_numeric_fill_block_per_row_kernelILj1024ELj64ELj8192ELj137ELj64Eli21rocsparse_complex_numIdEEEvT5_PKS3_S5_NS_24const_host_device_scalarIT6_EEPKT4_S5_PKS7_SB_S5_SD_S8_SB_S5_SD_SB_S5_PS7_21rocsparse_index_base_SF_SF_SF_bbb
	.p2align	8
	.type	_ZN9rocsparseL41csrgemm_numeric_fill_block_per_row_kernelILj1024ELj64ELj8192ELj137ELj64Eli21rocsparse_complex_numIdEEEvT5_PKS3_S5_NS_24const_host_device_scalarIT6_EEPKT4_S5_PKS7_SB_S5_SD_S8_SB_S5_SD_SB_S5_PS7_21rocsparse_index_base_SF_SF_SF_bbb,@function
_ZN9rocsparseL41csrgemm_numeric_fill_block_per_row_kernelILj1024ELj64ELj8192ELj137ELj64Eli21rocsparse_complex_numIdEEEvT5_PKS3_S5_NS_24const_host_device_scalarIT6_EEPKT4_S5_PKS7_SB_S5_SD_S8_SB_S5_SD_SB_S5_PS7_21rocsparse_index_base_SF_SF_SF_bbb: ; @_ZN9rocsparseL41csrgemm_numeric_fill_block_per_row_kernelILj1024ELj64ELj8192ELj137ELj64Eli21rocsparse_complex_numIdEEEvT5_PKS3_S5_NS_24const_host_device_scalarIT6_EEPKT4_S5_PKS7_SB_S5_SD_S8_SB_S5_SD_SB_S5_PS7_21rocsparse_index_base_SF_SF_SF_bbb
; %bb.0:
	s_clause 0x3
	s_load_b32 s3, s[0:1], 0xa8
	s_load_b256 s[4:11], s[0:1], 0x8
	s_load_b128 s[12:15], s[0:1], 0x58
	s_load_b128 s[16:19], s[0:1], 0x98
	v_mov_b64_e32 v[6:7], 0
	v_mov_b64_e32 v[12:13], 0
	;; [unrolled: 1-line block ×3, first 2 shown]
	v_mbcnt_lo_u32_b32 v29, -1, 0
	s_wait_kmcnt 0x0
	s_bitcmp1_b32 s3, 0
	v_mov_b64_e32 v[2:3], s[8:9]
	s_cselect_b32 s21, -1, 0
	s_bitcmp1_b32 s3, 16
	v_mov_b64_e32 v[4:5], s[12:13]
	s_cselect_b32 s2, -1, 0
	s_clause 0x1
	scratch_store_b64 off, v[2:3], off offset:16
	scratch_store_b64 off, v[4:5], off offset:24
	s_xor_b32 s20, s2, -1
	s_bitcmp0_b32 s3, 0
	v_cndmask_b32_e64 v1, 0, 1, s20
	s_delay_alu instid0(VALU_DEP_1)
	v_cmp_ne_u32_e32 vcc_lo, 1, v1
	s_cbranch_scc1 .LBB233_3
; %bb.1:
	s_wait_xcnt 0x1
	v_dual_mov_b32 v2, 16 :: v_dual_lshlrev_b32 v3, 20, v29
	v_mov_b64_e32 v[14:15], s[10:11]
	s_and_b32 vcc_lo, exec_lo, vcc_lo
	s_delay_alu instid0(VALU_DEP_2) | instskip(NEXT) | instid1(VALU_DEP_1)
	v_add_nc_u64_e32 v[2:3], src_flat_scratch_base_lo, v[2:3]
	v_cndmask_b32_e64 v3, s9, v3, s2
	s_delay_alu instid0(VALU_DEP_2)
	v_cndmask_b32_e64 v2, s8, v2, s2
	flat_load_b64 v[12:13], v[2:3]
	s_cbranch_vccnz .LBB233_3
; %bb.2:
	v_mov_b32_e32 v1, 0
	flat_load_b64 v[14:15], v1, s[8:9] offset:8
.LBB233_3:
	v_mov_b64_e32 v[8:9], 0
	s_bitcmp1_b32 s3, 8
	s_cselect_b32 s22, -1, 0
	s_bfe_u32 s3, s3, 0x10008
	s_delay_alu instid0(SALU_CYCLE_1)
	s_cmp_eq_u32 s3, 0
	s_cbranch_scc1 .LBB233_6
; %bb.4:
	s_wait_xcnt 0x0
	v_dual_mov_b32 v2, 24 :: v_dual_lshlrev_b32 v3, 20, v29
	v_mov_b64_e32 v[6:7], s[14:15]
	s_and_not1_b32 vcc_lo, exec_lo, s20
	s_delay_alu instid0(VALU_DEP_2) | instskip(NEXT) | instid1(VALU_DEP_1)
	v_add_nc_u64_e32 v[2:3], src_flat_scratch_base_lo, v[2:3]
	v_cndmask_b32_e64 v3, s13, v3, s2
	s_delay_alu instid0(VALU_DEP_2)
	v_cndmask_b32_e64 v2, s12, v2, s2
	flat_load_b64 v[8:9], v[2:3]
	s_cbranch_vccnz .LBB233_6
; %bb.5:
	v_mov_b32_e32 v1, 0
	flat_load_b64 v[6:7], v1, s[12:13] offset:8
.LBB233_6:
	s_load_b32 s24, s[0:1], 0x0
	v_lshl_add_u32 v28, v0, 2, 0
	v_lshlrev_b32_e32 v30, 4, v0
	s_mov_b32 s2, 0
	s_delay_alu instid0(SALU_CYCLE_1) | instskip(NEXT) | instid1(VALU_DEP_2)
	s_mov_b32 s3, s2
	v_mad_u32_u24 v1, v0, 12, v28
	s_mov_b32 s8, s2
	s_mov_b32 s9, s2
	v_mov_b64_e32 v[2:3], s[2:3]
	v_mov_b64_e32 v[4:5], s[8:9]
	v_mad_i32_i24 v10, v0, -12, v1
	v_add_nc_u32_e32 v1, 0x8000, v1
	s_getreg_b32 s8, hwreg(HW_REG_IB_STS2, 6, 4)
	s_delay_alu instid0(VALU_DEP_2) | instskip(SKIP_3) | instid1(VALU_DEP_3)
	v_mad_u32_u24 v16, v0, 12, v10
	s_wait_kmcnt 0x0
	v_mov_b32_e32 v19, s24
	v_add3_u32 v11, 0x8000, 0, v30
	v_dual_mov_b32 v20, s24 :: v_dual_add_nc_u32 v21, 0xc000, v16
	v_mad_i32_i24 v16, v0, -12, v16
	s_delay_alu instid0(VALU_DEP_3)
	v_dual_mov_b32 v22, s24 :: v_dual_add_nc_u32 v17, 0x8000, v11
	v_dual_mov_b32 v23, s24 :: v_dual_add_nc_u32 v18, 0xc000, v11
	ds_store_b32 v28, v19
	ds_store_2addr_b64 v1, v[2:3], v[4:5] offset1:1
	ds_store_b32 v10, v20 offset:4096
	ds_store_2addr_b64 v21, v[2:3], v[4:5] offset1:1
	v_dual_mov_b32 v1, s24 :: v_dual_mov_b32 v10, s24
	ds_store_2addr_stride64_b32 v16, v22, v23 offset0:32 offset1:48
	ds_store_2addr_b64 v17, v[2:3], v[4:5] offset1:1
	ds_store_2addr_b64 v18, v[2:3], v[4:5] offset1:1
	v_dual_mov_b32 v18, s24 :: v_dual_add_nc_u32 v17, 0x10000, v11
	ds_store_2addr_stride64_b32 v16, v1, v10 offset0:64 offset1:80
	v_add_nc_u32_e32 v1, 0x14000, v11
	v_add_nc_u32_e32 v19, 0x18000, v11
	v_add_nc_u32_e32 v11, 0x1c000, v11
	ds_store_2addr_b64 v17, v[2:3], v[4:5] offset1:1
	ds_store_2addr_b64 v1, v[2:3], v[4:5] offset1:1
	ds_store_2addr_stride64_b32 v16, v10, v18 offset0:96 offset1:112
	ds_store_2addr_b64 v19, v[2:3], v[4:5] offset1:1
	ds_store_2addr_b64 v11, v[2:3], v[4:5] offset1:1
	s_wait_storecnt 0x0
	s_wait_loadcnt_dscnt 0x0
	s_barrier_signal -1
	s_barrier_wait -1
	s_load_b32 s3, s[4:5], 0x0
	s_wait_xcnt 0x0
	s_bfe_u32 s4, ttmp6, 0x4000c
	s_and_b32 s5, ttmp6, 15
	s_add_co_i32 s4, s4, 1
	v_lshrrev_b32_e32 v10, 6, v0
	s_mul_i32 s4, ttmp9, s4
	s_delay_alu instid0(SALU_CYCLE_1)
	s_add_co_i32 s5, s5, s4
	s_cmp_eq_u32 s8, 0
	s_cselect_b32 s4, ttmp9, s5
	s_and_not1_b32 vcc_lo, exec_lo, s21
	s_wait_kmcnt 0x0
	s_add_co_i32 s3, s3, s4
	s_load_b32 s20, s[6:7], s3 offset:0x0 scale_offset
	s_cbranch_vccnz .LBB233_24
; %bb.7:
	s_load_b64 s[4:5], s[0:1], 0x28
	s_wait_kmcnt 0x0
	s_ashr_i32 s21, s20, 31
	v_mov_b32_e32 v11, 0
	s_lshl_b64 s[6:7], s[20:21], 3
	s_mov_b32 s21, exec_lo
	s_add_nc_u64 s[8:9], s[4:5], s[6:7]
	s_load_b128 s[4:7], s[8:9], 0x0
	s_wait_xcnt 0x0
	s_mov_b32 s8, s16
	s_mov_b32 s9, s2
	s_delay_alu instid0(SALU_CYCLE_1) | instskip(SKIP_1) | instid1(VALU_DEP_1)
	v_sub_nc_u64_e64 v[2:3], v[10:11], s[8:9]
	s_wait_kmcnt 0x0
	v_add_nc_u64_e32 v[16:17], s[4:5], v[2:3]
	s_sub_nc_u64 s[2:3], s[6:7], s[8:9]
	s_delay_alu instid0(VALU_DEP_1) | instid1(SALU_CYCLE_1)
	v_cmpx_gt_i64_e64 s[2:3], v[16:17]
	s_cbranch_execz .LBB233_23
; %bb.8:
	s_clause 0x1
	s_load_b64 s[12:13], s[0:1], 0x50
	s_load_b256 s[4:11], s[0:1], 0x30
	v_dual_mov_b32 v3, v11 :: v_dual_bitop2_b32 v2, 63, v0 bitop3:0x40
	s_mov_b32 s15, 0
	s_mov_b32 s14, s17
	;; [unrolled: 1-line block ×3, first 2 shown]
	s_delay_alu instid0(VALU_DEP_1)
	v_sub_nc_u64_e64 v[18:19], v[2:3], s[14:15]
	s_branch .LBB233_10
.LBB233_9:                              ;   in Loop: Header=BB233_10 Depth=1
	s_or_b32 exec_lo, exec_lo, s25
	v_add_nc_u64_e32 v[16:17], 16, v[16:17]
	s_delay_alu instid0(VALU_DEP_1) | instskip(SKIP_1) | instid1(SALU_CYCLE_1)
	v_cmp_le_i64_e32 vcc_lo, s[2:3], v[16:17]
	s_or_b32 s23, vcc_lo, s23
	s_and_not1_b32 exec_lo, exec_lo, s23
	s_cbranch_execz .LBB233_23
.LBB233_10:                             ; =>This Loop Header: Depth=1
                                        ;     Child Loop BB233_14 Depth 2
                                        ;       Child Loop BB233_17 Depth 3
	s_wait_kmcnt 0x0
	v_lshl_add_u64 v[2:3], v[16:17], 2, s[4:5]
	s_mov_b32 s25, exec_lo
	global_load_b32 v1, v[2:3], off
	s_wait_loadcnt 0x0
	s_wait_xcnt 0x0
	v_subrev_nc_u32_e32 v2, s16, v1
	s_delay_alu instid0(VALU_DEP_1) | instskip(NEXT) | instid1(VALU_DEP_1)
	v_ashrrev_i32_e32 v3, 31, v2
	v_lshl_add_u64 v[2:3], v[2:3], 3, s[8:9]
	global_load_b128 v[2:5], v[2:3], off
	s_wait_loadcnt 0x0
	v_sub_nc_u64_e64 v[20:21], v[4:5], s[14:15]
	v_add_nc_u64_e32 v[22:23], v[2:3], v[18:19]
	s_wait_xcnt 0x0
	s_delay_alu instid0(VALU_DEP_1)
	v_cmpx_lt_i64_e64 v[22:23], v[20:21]
	s_cbranch_execz .LBB233_9
; %bb.11:                               ;   in Loop: Header=BB233_10 Depth=1
	v_lshl_add_u64 v[2:3], v[16:17], 4, s[6:7]
	s_mov_b32 s26, 0
	global_load_b128 v[2:5], v[2:3], off
	s_wait_loadcnt 0x0
	v_mul_f64_e64 v[24:25], v[4:5], -v[14:15]
	v_mul_f64_e32 v[26:27], v[12:13], v[4:5]
	s_delay_alu instid0(VALU_DEP_2) | instskip(NEXT) | instid1(VALU_DEP_2)
	v_fmac_f64_e32 v[24:25], v[12:13], v[2:3]
	v_fmac_f64_e32 v[26:27], v[14:15], v[2:3]
	s_branch .LBB233_14
.LBB233_12:                             ;   in Loop: Header=BB233_14 Depth=2
	s_or_b32 exec_lo, exec_lo, s28
.LBB233_13:                             ;   in Loop: Header=BB233_14 Depth=2
	s_delay_alu instid0(SALU_CYCLE_1)
	s_or_b32 exec_lo, exec_lo, s27
	s_wait_loadcnt 0x0
	v_mul_f64_e64 v[32:33], v[4:5], -v[26:27]
	v_mul_f64_e32 v[4:5], v[24:25], v[4:5]
	v_lshl_add_u32 v1, v1, 4, 0
	v_add_nc_u64_e32 v[22:23], 64, v[22:23]
	s_delay_alu instid0(VALU_DEP_1)
	v_cmp_ge_i64_e32 vcc_lo, v[22:23], v[20:21]
	s_or_b32 s26, vcc_lo, s26
	v_fmac_f64_e32 v[32:33], v[24:25], v[2:3]
	v_fmac_f64_e32 v[4:5], v[26:27], v[2:3]
	ds_add_f64 v1, v[32:33] offset:32768
	ds_add_f64 v1, v[4:5] offset:32776
	s_and_not1_b32 exec_lo, exec_lo, s26
	s_cbranch_execz .LBB233_9
.LBB233_14:                             ;   Parent Loop BB233_10 Depth=1
                                        ; =>  This Loop Header: Depth=2
                                        ;       Child Loop BB233_17 Depth 3
	s_wait_xcnt 0x0
	v_lshl_add_u64 v[2:3], v[22:23], 2, s[10:11]
	s_mov_b32 s27, exec_lo
	global_load_b32 v1, v[2:3], off
	s_wait_xcnt 0x0
	v_lshl_add_u64 v[2:3], v[22:23], 4, s[12:13]
	global_load_b128 v[2:5], v[2:3], off
	s_wait_loadcnt 0x1
	v_subrev_nc_u32_e32 v11, s17, v1
	s_delay_alu instid0(VALU_DEP_1) | instskip(NEXT) | instid1(VALU_DEP_1)
	v_mul_lo_u32 v1, 0x89, v11
	v_and_b32_e32 v1, 0x1fff, v1
	s_delay_alu instid0(VALU_DEP_1)
	v_lshl_add_u32 v31, v1, 2, 0
	ds_load_b32 v32, v31
	s_wait_dscnt 0x0
	s_wait_xcnt 0x0
	v_cmpx_ne_u32_e64 v32, v11
	s_cbranch_execz .LBB233_13
; %bb.15:                               ;   in Loop: Header=BB233_14 Depth=2
	s_mov_b32 s28, 0
	s_branch .LBB233_17
.LBB233_16:                             ;   in Loop: Header=BB233_17 Depth=3
	s_or_b32 exec_lo, exec_lo, s31
	s_delay_alu instid0(SALU_CYCLE_1) | instskip(NEXT) | instid1(SALU_CYCLE_1)
	s_and_b32 s29, exec_lo, s30
	s_or_b32 s28, s29, s28
	s_delay_alu instid0(SALU_CYCLE_1)
	s_and_not1_b32 exec_lo, exec_lo, s28
	s_cbranch_execz .LBB233_12
.LBB233_17:                             ;   Parent Loop BB233_10 Depth=1
                                        ;     Parent Loop BB233_14 Depth=2
                                        ; =>    This Inner Loop Header: Depth=3
	s_mov_b32 s29, 0
	s_mov_b32 s30, exec_lo
	v_cmpx_ne_u32_e64 s24, v32
	s_xor_b32 s30, exec_lo, s30
	s_cbranch_execz .LBB233_19
; %bb.18:                               ;   in Loop: Header=BB233_17 Depth=3
	v_add_nc_u32_e32 v1, 1, v1
	s_mov_b32 s29, exec_lo
                                        ; implicit-def: $vgpr31
	s_delay_alu instid0(VALU_DEP_1)
	v_and_b32_e32 v1, 0x1fff, v1
	s_and_not1_saveexec_b32 s30, s30
	s_cbranch_execz .LBB233_21
	s_branch .LBB233_20
.LBB233_19:                             ;   in Loop: Header=BB233_17 Depth=3
	s_and_not1_saveexec_b32 s30, s30
	s_cbranch_execz .LBB233_21
.LBB233_20:                             ;   in Loop: Header=BB233_17 Depth=3
	v_mov_b32_e32 v32, s24
	s_and_not1_b32 s29, s29, exec_lo
	ds_cmpstore_rtn_b32 v31, v31, v11, v32
	s_wait_dscnt 0x0
	v_cmp_ne_u32_e32 vcc_lo, s24, v31
	s_and_b32 s31, vcc_lo, exec_lo
	s_delay_alu instid0(SALU_CYCLE_1)
	s_or_b32 s29, s29, s31
.LBB233_21:                             ;   in Loop: Header=BB233_17 Depth=3
	s_or_b32 exec_lo, exec_lo, s30
	s_mov_b32 s30, -1
                                        ; implicit-def: $vgpr31
                                        ; implicit-def: $vgpr32
	s_and_saveexec_b32 s31, s29
	s_cbranch_execz .LBB233_16
; %bb.22:                               ;   in Loop: Header=BB233_17 Depth=3
	v_lshl_add_u32 v31, v1, 2, 0
	ds_load_b32 v32, v31
	s_wait_dscnt 0x0
	v_cmp_eq_u32_e32 vcc_lo, v32, v11
	s_or_not1_b32 s30, vcc_lo, exec_lo
	s_branch .LBB233_16
.LBB233_23:
	s_or_b32 exec_lo, exec_lo, s21
.LBB233_24:
	s_delay_alu instid0(SALU_CYCLE_1)
	s_and_not1_b32 vcc_lo, exec_lo, s22
	s_cbranch_vccnz .LBB233_39
; %bb.25:
	s_wait_xcnt 0x0
	s_load_b64 s[2:3], s[0:1], 0x68
	s_wait_kmcnt 0x0
	s_ashr_i32 s21, s20, 31
	v_mov_b32_e32 v1, 0
	s_lshl_b64 s[4:5], s[20:21], 3
	s_delay_alu instid0(SALU_CYCLE_1) | instskip(SKIP_4) | instid1(SALU_CYCLE_1)
	s_add_nc_u64 s[2:3], s[2:3], s[4:5]
	s_load_b128 s[4:7], s[2:3], 0x0
	s_wait_xcnt 0x0
	s_mov_b32 s3, 0
	s_mov_b32 s2, s19
	v_sub_nc_u64_e64 v[2:3], v[0:1], s[2:3]
	s_wait_kmcnt 0x0
	s_delay_alu instid0(VALU_DEP_1) | instskip(SKIP_2) | instid1(VALU_DEP_1)
	v_add_nc_u64_e32 v[12:13], s[4:5], v[2:3]
	s_sub_nc_u64 s[8:9], s[6:7], s[2:3]
	s_mov_b32 s2, exec_lo
	v_cmpx_gt_i64_e64 s[8:9], v[12:13]
	s_cbranch_execz .LBB233_38
; %bb.26:
	s_load_b128 s[4:7], s[0:1], 0x70
	s_branch .LBB233_29
.LBB233_27:                             ;   in Loop: Header=BB233_29 Depth=1
	s_or_b32 exec_lo, exec_lo, s11
.LBB233_28:                             ;   in Loop: Header=BB233_29 Depth=1
	s_delay_alu instid0(SALU_CYCLE_1)
	s_or_b32 exec_lo, exec_lo, s10
	s_wait_loadcnt 0x0
	v_mul_f64_e64 v[14:15], v[4:5], -v[6:7]
	v_mul_f64_e32 v[4:5], v[8:9], v[4:5]
	v_lshl_add_u32 v1, v1, 4, 0
	v_add_nc_u64_e32 v[12:13], 0x400, v[12:13]
	s_delay_alu instid0(VALU_DEP_1)
	v_cmp_le_i64_e32 vcc_lo, s[8:9], v[12:13]
	s_or_b32 s3, vcc_lo, s3
	v_fmac_f64_e32 v[14:15], v[8:9], v[2:3]
	v_fmac_f64_e32 v[4:5], v[6:7], v[2:3]
	ds_add_f64 v1, v[14:15] offset:32768
	ds_add_f64 v1, v[4:5] offset:32776
	s_and_not1_b32 exec_lo, exec_lo, s3
	s_cbranch_execz .LBB233_38
.LBB233_29:                             ; =>This Loop Header: Depth=1
                                        ;     Child Loop BB233_32 Depth 2
	s_wait_kmcnt 0x0
	v_lshl_add_u64 v[2:3], v[12:13], 2, s[4:5]
	s_mov_b32 s10, exec_lo
	global_load_b32 v1, v[2:3], off
	s_wait_xcnt 0x0
	v_lshl_add_u64 v[2:3], v[12:13], 4, s[6:7]
	global_load_b128 v[2:5], v[2:3], off
	s_wait_loadcnt 0x1
	v_subrev_nc_u32_e32 v11, s19, v1
	s_delay_alu instid0(VALU_DEP_1) | instskip(NEXT) | instid1(VALU_DEP_1)
	v_mul_lo_u32 v1, 0x89, v11
	v_and_b32_e32 v1, 0x1fff, v1
	s_delay_alu instid0(VALU_DEP_1)
	v_lshl_add_u32 v14, v1, 2, 0
	ds_load_b32 v15, v14
	s_wait_dscnt 0x0
	s_wait_xcnt 0x0
	v_cmpx_ne_u32_e64 v15, v11
	s_cbranch_execz .LBB233_28
; %bb.30:                               ;   in Loop: Header=BB233_29 Depth=1
	s_mov_b32 s11, 0
	s_branch .LBB233_32
.LBB233_31:                             ;   in Loop: Header=BB233_32 Depth=2
	s_or_b32 exec_lo, exec_lo, s14
	s_delay_alu instid0(SALU_CYCLE_1) | instskip(NEXT) | instid1(SALU_CYCLE_1)
	s_and_b32 s12, exec_lo, s13
	s_or_b32 s11, s12, s11
	s_delay_alu instid0(SALU_CYCLE_1)
	s_and_not1_b32 exec_lo, exec_lo, s11
	s_cbranch_execz .LBB233_27
.LBB233_32:                             ;   Parent Loop BB233_29 Depth=1
                                        ; =>  This Inner Loop Header: Depth=2
	s_mov_b32 s12, 0
	s_mov_b32 s13, exec_lo
	v_cmpx_ne_u32_e64 s24, v15
	s_xor_b32 s13, exec_lo, s13
	s_cbranch_execz .LBB233_34
; %bb.33:                               ;   in Loop: Header=BB233_32 Depth=2
	v_add_nc_u32_e32 v1, 1, v1
	s_mov_b32 s12, exec_lo
                                        ; implicit-def: $vgpr14
	s_delay_alu instid0(VALU_DEP_1)
	v_and_b32_e32 v1, 0x1fff, v1
	s_and_not1_saveexec_b32 s13, s13
	s_cbranch_execz .LBB233_36
	s_branch .LBB233_35
.LBB233_34:                             ;   in Loop: Header=BB233_32 Depth=2
	s_and_not1_saveexec_b32 s13, s13
	s_cbranch_execz .LBB233_36
.LBB233_35:                             ;   in Loop: Header=BB233_32 Depth=2
	v_mov_b32_e32 v15, s24
	s_and_not1_b32 s12, s12, exec_lo
	ds_cmpstore_rtn_b32 v14, v14, v11, v15
	s_wait_dscnt 0x0
	v_cmp_ne_u32_e32 vcc_lo, s24, v14
	s_and_b32 s14, vcc_lo, exec_lo
	s_delay_alu instid0(SALU_CYCLE_1)
	s_or_b32 s12, s12, s14
.LBB233_36:                             ;   in Loop: Header=BB233_32 Depth=2
	s_or_b32 exec_lo, exec_lo, s13
	s_mov_b32 s13, -1
                                        ; implicit-def: $vgpr14
                                        ; implicit-def: $vgpr15
	s_and_saveexec_b32 s14, s12
	s_cbranch_execz .LBB233_31
; %bb.37:                               ;   in Loop: Header=BB233_32 Depth=2
	v_lshl_add_u32 v14, v1, 2, 0
	ds_load_b32 v15, v14
	s_wait_dscnt 0x0
	v_cmp_eq_u32_e32 vcc_lo, v15, v11
	s_or_not1_b32 s13, vcc_lo, exec_lo
	s_branch .LBB233_31
.LBB233_38:
	s_or_b32 exec_lo, exec_lo, s2
.LBB233_39:
	s_clause 0x1
	s_load_b64 s[16:17], s[0:1], 0x90
	s_load_b64 s[22:23], s[0:1], 0x80
	v_dual_lshlrev_b32 v3, 2, v10 :: v_dual_bitop2_b32 v1, 31, v29 bitop3:0x14
	s_add_co_i32 s36, 0, 0x2803c
	s_wait_xcnt 0x0
	v_cmp_lt_u32_e64 s0, 63, v0
	v_cmp_lt_u32_e64 s1, 0x7f, v0
	v_lshrrev_b32_e64 v2, v1, -1
	v_dual_mov_b32 v1, 0 :: v_dual_mov_b32 v6, s36
	v_add3_u32 v3, 0x28000, 0, v3
	v_cmp_lt_u32_e64 s2, 0xbf, v0
	v_cmp_lt_u32_e64 s3, 0xff, v0
	;; [unrolled: 1-line block ×13, first 2 shown]
	v_add3_u32 v4, v30, 0, 0x8000
	v_or_b32_e32 v5, 0xfffffc00, v0
	s_mov_b32 s19, 0
	s_add_co_i32 s21, 0, 0x28000
	s_add_co_i32 s25, 0, 0x28004
	;; [unrolled: 1-line block ×15, first 2 shown]
	s_wait_dscnt 0x0
	s_barrier_signal -1
	s_barrier_wait -1
	v_cmp_eq_u32_e32 vcc_lo, 0x3ff, v0
	s_branch .LBB233_41
.LBB233_40:                             ;   in Loop: Header=BB233_41 Depth=1
	s_or_b32 exec_lo, exec_lo, s15
	s_wait_dscnt 0x0
	s_barrier_signal -1
	s_barrier_wait -1
	ds_load_b32 v7, v6
	v_add_nc_u32_e32 v5, 0x400, v5
	v_add_nc_u32_e32 v4, 0x4000, v4
	;; [unrolled: 1-line block ×3, first 2 shown]
	s_delay_alu instid0(VALU_DEP_3)
	v_cmp_lt_u32_e64 s15, 0x1bff, v5
	s_or_b32 s19, s15, s19
	s_wait_dscnt 0x0
	v_add_nc_u32_e32 v1, v7, v1
	s_and_not1_b32 exec_lo, exec_lo, s19
	s_cbranch_execz .LBB233_75
.LBB233_41:                             ; =>This Inner Loop Header: Depth=1
	ds_load_b32 v7, v28
	ds_load_2addr_b64 v[8:11], v4 offset1:1
	s_wait_dscnt 0x1
	v_cmp_gt_i32_e64 s15, s24, v7
	s_wait_dscnt 0x0
	scratch_store_b128 off, v[8:11], off
	s_wait_storecnt 0x0
	s_barrier_signal -1
	s_barrier_wait -1
	s_bcnt1_i32_b32 s41, s15
	s_wait_xcnt 0x0
	v_dual_mov_b32 v9, s41 :: v_dual_bitop2_b32 v8, s15, v2 bitop3:0x40
	s_delay_alu instid0(VALU_DEP_1)
	v_bcnt_u32_b32 v8, v8, 0
	ds_store_b32 v3, v9
	s_wait_dscnt 0x0
	s_barrier_signal -1
	s_barrier_wait -1
	s_and_saveexec_b32 s41, s0
	s_cbranch_execz .LBB233_58
; %bb.42:                               ;   in Loop: Header=BB233_41 Depth=1
	v_mov_b32_e32 v9, s21
	ds_load_b32 v9, v9
	s_wait_dscnt 0x0
	v_add_nc_u32_e32 v8, v9, v8
	s_or_b32 exec_lo, exec_lo, s41
	s_and_saveexec_b32 s41, s1
	s_cbranch_execnz .LBB233_59
.LBB233_43:                             ;   in Loop: Header=BB233_41 Depth=1
	s_or_b32 exec_lo, exec_lo, s41
	s_and_saveexec_b32 s41, s2
	s_cbranch_execz .LBB233_60
.LBB233_44:                             ;   in Loop: Header=BB233_41 Depth=1
	v_mov_b32_e32 v9, s26
	ds_load_b32 v9, v9
	s_wait_dscnt 0x0
	v_add_nc_u32_e32 v8, v9, v8
	s_or_b32 exec_lo, exec_lo, s41
	s_and_saveexec_b32 s41, s3
	s_cbranch_execnz .LBB233_61
.LBB233_45:                             ;   in Loop: Header=BB233_41 Depth=1
	s_or_b32 exec_lo, exec_lo, s41
	s_and_saveexec_b32 s41, s4
	s_cbranch_execz .LBB233_62
.LBB233_46:                             ;   in Loop: Header=BB233_41 Depth=1
	v_mov_b32_e32 v9, s28
	ds_load_b32 v9, v9
	s_wait_dscnt 0x0
	v_add_nc_u32_e32 v8, v9, v8
	s_or_b32 exec_lo, exec_lo, s41
	s_and_saveexec_b32 s41, s5
	s_cbranch_execnz .LBB233_63
.LBB233_47:                             ;   in Loop: Header=BB233_41 Depth=1
	s_or_b32 exec_lo, exec_lo, s41
	s_and_saveexec_b32 s41, s6
	s_cbranch_execz .LBB233_64
.LBB233_48:                             ;   in Loop: Header=BB233_41 Depth=1
	v_mov_b32_e32 v9, s30
	ds_load_b32 v9, v9
	s_wait_dscnt 0x0
	v_add_nc_u32_e32 v8, v9, v8
	s_or_b32 exec_lo, exec_lo, s41
	s_and_saveexec_b32 s41, s7
	s_cbranch_execnz .LBB233_65
.LBB233_49:                             ;   in Loop: Header=BB233_41 Depth=1
	s_or_b32 exec_lo, exec_lo, s41
	s_and_saveexec_b32 s41, s8
	s_cbranch_execz .LBB233_66
.LBB233_50:                             ;   in Loop: Header=BB233_41 Depth=1
	v_mov_b32_e32 v9, s33
	ds_load_b32 v9, v9
	s_wait_dscnt 0x0
	v_add_nc_u32_e32 v8, v9, v8
	s_or_b32 exec_lo, exec_lo, s41
	s_and_saveexec_b32 s41, s9
	s_cbranch_execnz .LBB233_67
.LBB233_51:                             ;   in Loop: Header=BB233_41 Depth=1
	s_or_b32 exec_lo, exec_lo, s41
	s_and_saveexec_b32 s41, s10
	s_cbranch_execz .LBB233_68
.LBB233_52:                             ;   in Loop: Header=BB233_41 Depth=1
	v_mov_b32_e32 v9, s35
	ds_load_b32 v9, v9
	s_wait_dscnt 0x0
	v_add_nc_u32_e32 v8, v9, v8
	s_or_b32 exec_lo, exec_lo, s41
	s_and_saveexec_b32 s41, s11
	s_cbranch_execnz .LBB233_69
.LBB233_53:                             ;   in Loop: Header=BB233_41 Depth=1
	s_or_b32 exec_lo, exec_lo, s41
	s_and_saveexec_b32 s41, s12
	s_cbranch_execz .LBB233_70
.LBB233_54:                             ;   in Loop: Header=BB233_41 Depth=1
	v_mov_b32_e32 v9, s38
	ds_load_b32 v9, v9
	s_wait_dscnt 0x0
	v_add_nc_u32_e32 v8, v9, v8
	s_or_b32 exec_lo, exec_lo, s41
	s_and_saveexec_b32 s41, s13
	s_cbranch_execnz .LBB233_71
.LBB233_55:                             ;   in Loop: Header=BB233_41 Depth=1
	s_or_b32 exec_lo, exec_lo, s41
	s_and_saveexec_b32 s41, s14
	s_cbranch_execz .LBB233_72
.LBB233_56:                             ;   in Loop: Header=BB233_41 Depth=1
	v_mov_b32_e32 v9, s40
	ds_load_b32 v9, v9
	s_wait_dscnt 0x0
	v_add_nc_u32_e32 v8, v9, v8
	s_or_b32 exec_lo, exec_lo, s41
	s_and_saveexec_b32 s41, s15
	s_cbranch_execnz .LBB233_73
.LBB233_57:                             ;   in Loop: Header=BB233_41 Depth=1
	s_or_b32 exec_lo, exec_lo, s41
	s_and_saveexec_b32 s15, vcc_lo
	s_cbranch_execz .LBB233_40
	s_branch .LBB233_74
.LBB233_58:                             ;   in Loop: Header=BB233_41 Depth=1
	s_or_b32 exec_lo, exec_lo, s41
	s_and_saveexec_b32 s41, s1
	s_cbranch_execz .LBB233_43
.LBB233_59:                             ;   in Loop: Header=BB233_41 Depth=1
	v_mov_b32_e32 v9, s25
	ds_load_b32 v9, v9
	s_wait_dscnt 0x0
	v_add_nc_u32_e32 v8, v9, v8
	s_or_b32 exec_lo, exec_lo, s41
	s_and_saveexec_b32 s41, s2
	s_cbranch_execnz .LBB233_44
.LBB233_60:                             ;   in Loop: Header=BB233_41 Depth=1
	s_or_b32 exec_lo, exec_lo, s41
	s_and_saveexec_b32 s41, s3
	s_cbranch_execz .LBB233_45
.LBB233_61:                             ;   in Loop: Header=BB233_41 Depth=1
	v_mov_b32_e32 v9, s27
	ds_load_b32 v9, v9
	s_wait_dscnt 0x0
	v_add_nc_u32_e32 v8, v9, v8
	s_or_b32 exec_lo, exec_lo, s41
	s_and_saveexec_b32 s41, s4
	s_cbranch_execnz .LBB233_46
.LBB233_62:                             ;   in Loop: Header=BB233_41 Depth=1
	s_or_b32 exec_lo, exec_lo, s41
	s_and_saveexec_b32 s41, s5
	s_cbranch_execz .LBB233_47
.LBB233_63:                             ;   in Loop: Header=BB233_41 Depth=1
	v_mov_b32_e32 v9, s29
	ds_load_b32 v9, v9
	s_wait_dscnt 0x0
	v_add_nc_u32_e32 v8, v9, v8
	s_or_b32 exec_lo, exec_lo, s41
	s_and_saveexec_b32 s41, s6
	s_cbranch_execnz .LBB233_48
.LBB233_64:                             ;   in Loop: Header=BB233_41 Depth=1
	s_or_b32 exec_lo, exec_lo, s41
	s_and_saveexec_b32 s41, s7
	s_cbranch_execz .LBB233_49
.LBB233_65:                             ;   in Loop: Header=BB233_41 Depth=1
	v_mov_b32_e32 v9, s31
	ds_load_b32 v9, v9
	s_wait_dscnt 0x0
	v_add_nc_u32_e32 v8, v9, v8
	s_or_b32 exec_lo, exec_lo, s41
	s_and_saveexec_b32 s41, s8
	s_cbranch_execnz .LBB233_50
.LBB233_66:                             ;   in Loop: Header=BB233_41 Depth=1
	s_or_b32 exec_lo, exec_lo, s41
	s_and_saveexec_b32 s41, s9
	s_cbranch_execz .LBB233_51
.LBB233_67:                             ;   in Loop: Header=BB233_41 Depth=1
	v_mov_b32_e32 v9, s34
	ds_load_b32 v9, v9
	s_wait_dscnt 0x0
	v_add_nc_u32_e32 v8, v9, v8
	s_or_b32 exec_lo, exec_lo, s41
	s_and_saveexec_b32 s41, s10
	s_cbranch_execnz .LBB233_52
.LBB233_68:                             ;   in Loop: Header=BB233_41 Depth=1
	s_or_b32 exec_lo, exec_lo, s41
	s_and_saveexec_b32 s41, s11
	s_cbranch_execz .LBB233_53
.LBB233_69:                             ;   in Loop: Header=BB233_41 Depth=1
	v_mov_b32_e32 v9, s37
	ds_load_b32 v9, v9
	s_wait_dscnt 0x0
	v_add_nc_u32_e32 v8, v9, v8
	s_or_b32 exec_lo, exec_lo, s41
	s_and_saveexec_b32 s41, s12
	s_cbranch_execnz .LBB233_54
.LBB233_70:                             ;   in Loop: Header=BB233_41 Depth=1
	s_or_b32 exec_lo, exec_lo, s41
	s_and_saveexec_b32 s41, s13
	s_cbranch_execz .LBB233_55
.LBB233_71:                             ;   in Loop: Header=BB233_41 Depth=1
	v_mov_b32_e32 v9, s39
	ds_load_b32 v9, v9
	s_wait_dscnt 0x0
	v_add_nc_u32_e32 v8, v9, v8
	s_or_b32 exec_lo, exec_lo, s41
	s_and_saveexec_b32 s41, s14
	s_cbranch_execnz .LBB233_56
.LBB233_72:                             ;   in Loop: Header=BB233_41 Depth=1
	s_or_b32 exec_lo, exec_lo, s41
	s_and_saveexec_b32 s41, s15
	s_cbranch_execz .LBB233_57
.LBB233_73:                             ;   in Loop: Header=BB233_41 Depth=1
	scratch_load_b128 v[10:13], off, off
	v_add3_u32 v9, v1, -1, v8
	v_add_lshl_u32 v14, v1, v8, 4
	s_delay_alu instid0(VALU_DEP_2) | instskip(NEXT) | instid1(VALU_DEP_2)
	v_lshl_add_u32 v9, v9, 2, 0
	v_add3_u32 v14, 0, v14, 0x7ff0
	ds_store_b32 v9, v7
	s_wait_loadcnt 0x0
	ds_store_2addr_b64 v14, v[10:11], v[12:13] offset1:1
	s_or_b32 exec_lo, exec_lo, s41
	s_and_saveexec_b32 s15, vcc_lo
	s_cbranch_execz .LBB233_40
.LBB233_74:                             ;   in Loop: Header=BB233_41 Depth=1
	v_mov_b32_e32 v7, s36
	ds_store_b32 v7, v8
	s_branch .LBB233_40
.LBB233_75:
	s_or_b32 exec_lo, exec_lo, s19
	s_wait_kmcnt 0x0
	s_ashr_i32 s21, s20, 31
	s_delay_alu instid0(SALU_CYCLE_1) | instskip(NEXT) | instid1(SALU_CYCLE_1)
	s_lshl_b64 s[0:1], s[20:21], 3
	s_add_nc_u64 s[4:5], s[22:23], s[0:1]
	s_load_b128 s[0:3], s[4:5], 0x0
	s_wait_xcnt 0x0
	s_mov_b32 s4, exec_lo
	s_wait_kmcnt 0x0
	s_sub_co_i32 s3, s2, s0
	s_delay_alu instid0(SALU_CYCLE_1)
	v_cmpx_gt_i32_e64 s3, v0
	s_cbranch_execz .LBB233_85
; %bb.76:
	s_sub_co_i32 s4, s0, s2
	s_and_b32 s2, s3, 7
	s_cmp_lt_u32 s4, -7
	s_mov_b32 s19, 0
	s_cselect_b32 s4, -1, 0
	s_and_b32 s5, s3, -8
	s_cmp_lg_u32 s2, 0
	s_sub_nc_u64 s[0:1], s[0:1], s[18:19]
	s_cselect_b32 s6, -1, 0
	s_mov_b32 s7, 0
	s_branch .LBB233_78
.LBB233_77:                             ;   in Loop: Header=BB233_78 Depth=1
	s_wait_dscnt 0x0
	v_mul_lo_u32 v4, v0, 12
	v_add_nc_u32_e32 v0, 0x400, v0
	s_delay_alu instid0(VALU_DEP_3) | instskip(NEXT) | instid1(VALU_DEP_2)
	v_lshl_add_u64 v[2:3], v[2:3], 4, s[16:17]
	v_cmp_le_i32_e32 vcc_lo, s3, v0
	s_or_b32 s7, vcc_lo, s7
	s_delay_alu instid0(VALU_DEP_4)
	v_add3_u32 v1, v1, v4, 0x8000
	ds_load_2addr_b64 v[4:7], v1 offset1:1
	s_wait_dscnt 0x0
	global_store_b128 v[2:3], v[4:7], off
	s_wait_xcnt 0x0
	s_and_not1_b32 exec_lo, exec_lo, s7
	s_cbranch_execz .LBB233_85
.LBB233_78:                             ; =>This Loop Header: Depth=1
                                        ;     Child Loop BB233_80 Depth 2
                                        ;     Child Loop BB233_84 Depth 2
	v_lshl_add_u32 v1, v0, 2, 0
	v_mov_b64_e32 v[2:3], s[0:1]
	s_and_not1_b32 vcc_lo, exec_lo, s4
	s_mov_b32 s8, 0
	ds_load_b32 v4, v1
	s_cbranch_vccnz .LBB233_82
; %bb.79:                               ;   in Loop: Header=BB233_78 Depth=1
	v_mov_b64_e32 v[2:3], s[0:1]
	s_mov_b32 s9, 0
.LBB233_80:                             ;   Parent Loop BB233_78 Depth=1
                                        ; =>  This Inner Loop Header: Depth=2
	s_delay_alu instid0(SALU_CYCLE_1)
	v_dual_mov_b32 v5, s9 :: v_dual_mov_b32 v11, s19
	v_mov_b32_e32 v17, s19
	s_add_co_i32 s8, s8, 8
	s_add_co_i32 s9, s9, 32
	ds_load_2addr_b32 v[6:7], v5 offset1:1
	ds_load_2addr_b32 v[8:9], v5 offset0:2 offset1:3
	ds_load_2addr_b32 v[12:13], v5 offset0:4 offset1:5
	;; [unrolled: 1-line block ×3, first 2 shown]
	s_cmp_eq_u32 s5, s8
	s_wait_dscnt 0x3
	v_cmp_gt_i32_e32 vcc_lo, v4, v6
	v_cndmask_b32_e64 v10, 0, 1, vcc_lo
	v_cmp_gt_i32_e32 vcc_lo, v4, v7
	v_mov_b32_e32 v7, s19
	s_delay_alu instid0(VALU_DEP_3) | instskip(SKIP_4) | instid1(VALU_DEP_3)
	v_add_nc_u64_e32 v[2:3], v[2:3], v[10:11]
	v_cndmask_b32_e64 v16, 0, 1, vcc_lo
	s_wait_dscnt 0x2
	v_cmp_gt_i32_e32 vcc_lo, v4, v8
	v_cndmask_b32_e64 v6, 0, 1, vcc_lo
	v_add_nc_u64_e32 v[2:3], v[2:3], v[16:17]
	v_cmp_gt_i32_e32 vcc_lo, v4, v9
	v_mov_b32_e32 v9, s19
	v_cndmask_b32_e64 v10, 0, 1, vcc_lo
	s_delay_alu instid0(VALU_DEP_4) | instskip(SKIP_3) | instid1(VALU_DEP_3)
	v_add_nc_u64_e32 v[2:3], v[2:3], v[6:7]
	s_wait_dscnt 0x1
	v_cmp_gt_i32_e32 vcc_lo, v4, v12
	v_cndmask_b32_e64 v6, 0, 1, vcc_lo
	v_add_nc_u64_e32 v[2:3], v[2:3], v[10:11]
	v_cmp_gt_i32_e32 vcc_lo, v4, v13
	v_cndmask_b32_e64 v8, 0, 1, vcc_lo
	s_delay_alu instid0(VALU_DEP_3) | instskip(SKIP_3) | instid1(VALU_DEP_3)
	v_add_nc_u64_e32 v[2:3], v[2:3], v[6:7]
	s_wait_dscnt 0x0
	v_cmp_gt_i32_e32 vcc_lo, v4, v14
	v_cndmask_b32_e64 v6, 0, 1, vcc_lo
	v_add_nc_u64_e32 v[2:3], v[2:3], v[8:9]
	v_cmp_gt_i32_e32 vcc_lo, v4, v15
	v_cndmask_b32_e64 v8, 0, 1, vcc_lo
	s_delay_alu instid0(VALU_DEP_3) | instskip(NEXT) | instid1(VALU_DEP_1)
	v_add_nc_u64_e32 v[2:3], v[2:3], v[6:7]
	v_add_nc_u64_e32 v[2:3], v[2:3], v[8:9]
	s_cbranch_scc0 .LBB233_80
; %bb.81:                               ;   in Loop: Header=BB233_78 Depth=1
	s_mov_b32 s8, s5
.LBB233_82:                             ;   in Loop: Header=BB233_78 Depth=1
	s_and_not1_b32 vcc_lo, exec_lo, s6
	s_cbranch_vccnz .LBB233_77
; %bb.83:                               ;   in Loop: Header=BB233_78 Depth=1
	s_lshl_b32 s8, s8, 2
	s_mov_b32 s9, s2
	s_add_co_i32 s8, s8, 0
.LBB233_84:                             ;   Parent Loop BB233_78 Depth=1
                                        ; =>  This Inner Loop Header: Depth=2
	s_delay_alu instid0(SALU_CYCLE_1)
	v_dual_mov_b32 v5, s8 :: v_dual_mov_b32 v7, s19
	s_add_co_i32 s9, s9, -1
	s_add_co_i32 s8, s8, 4
	s_cmp_lg_u32 s9, 0
	ds_load_b32 v5, v5
	s_wait_dscnt 0x0
	v_cmp_gt_i32_e32 vcc_lo, v4, v5
	v_cndmask_b32_e64 v6, 0, 1, vcc_lo
	s_delay_alu instid0(VALU_DEP_1)
	v_add_nc_u64_e32 v[2:3], v[2:3], v[6:7]
	s_cbranch_scc1 .LBB233_84
	s_branch .LBB233_77
.LBB233_85:
	s_endpgm
	.section	.rodata,"a",@progbits
	.p2align	6, 0x0
	.amdhsa_kernel _ZN9rocsparseL41csrgemm_numeric_fill_block_per_row_kernelILj1024ELj64ELj8192ELj137ELj64Eli21rocsparse_complex_numIdEEEvT5_PKS3_S5_NS_24const_host_device_scalarIT6_EEPKT4_S5_PKS7_SB_S5_SD_S8_SB_S5_SD_SB_S5_PS7_21rocsparse_index_base_SF_SF_SF_bbb
		.amdhsa_group_segment_fixed_size 0
		.amdhsa_private_segment_fixed_size 40
		.amdhsa_kernarg_size 172
		.amdhsa_user_sgpr_count 2
		.amdhsa_user_sgpr_dispatch_ptr 0
		.amdhsa_user_sgpr_queue_ptr 0
		.amdhsa_user_sgpr_kernarg_segment_ptr 1
		.amdhsa_user_sgpr_dispatch_id 0
		.amdhsa_user_sgpr_kernarg_preload_length 0
		.amdhsa_user_sgpr_kernarg_preload_offset 0
		.amdhsa_user_sgpr_private_segment_size 0
		.amdhsa_wavefront_size32 1
		.amdhsa_uses_dynamic_stack 0
		.amdhsa_enable_private_segment 1
		.amdhsa_system_sgpr_workgroup_id_x 1
		.amdhsa_system_sgpr_workgroup_id_y 0
		.amdhsa_system_sgpr_workgroup_id_z 0
		.amdhsa_system_sgpr_workgroup_info 0
		.amdhsa_system_vgpr_workitem_id 0
		.amdhsa_next_free_vgpr 34
		.amdhsa_next_free_sgpr 42
		.amdhsa_named_barrier_count 0
		.amdhsa_reserve_vcc 1
		.amdhsa_float_round_mode_32 0
		.amdhsa_float_round_mode_16_64 0
		.amdhsa_float_denorm_mode_32 3
		.amdhsa_float_denorm_mode_16_64 3
		.amdhsa_fp16_overflow 0
		.amdhsa_memory_ordered 1
		.amdhsa_forward_progress 1
		.amdhsa_inst_pref_size 31
		.amdhsa_round_robin_scheduling 0
		.amdhsa_exception_fp_ieee_invalid_op 0
		.amdhsa_exception_fp_denorm_src 0
		.amdhsa_exception_fp_ieee_div_zero 0
		.amdhsa_exception_fp_ieee_overflow 0
		.amdhsa_exception_fp_ieee_underflow 0
		.amdhsa_exception_fp_ieee_inexact 0
		.amdhsa_exception_int_div_zero 0
	.end_amdhsa_kernel
	.section	.text._ZN9rocsparseL41csrgemm_numeric_fill_block_per_row_kernelILj1024ELj64ELj8192ELj137ELj64Eli21rocsparse_complex_numIdEEEvT5_PKS3_S5_NS_24const_host_device_scalarIT6_EEPKT4_S5_PKS7_SB_S5_SD_S8_SB_S5_SD_SB_S5_PS7_21rocsparse_index_base_SF_SF_SF_bbb,"axG",@progbits,_ZN9rocsparseL41csrgemm_numeric_fill_block_per_row_kernelILj1024ELj64ELj8192ELj137ELj64Eli21rocsparse_complex_numIdEEEvT5_PKS3_S5_NS_24const_host_device_scalarIT6_EEPKT4_S5_PKS7_SB_S5_SD_S8_SB_S5_SD_SB_S5_PS7_21rocsparse_index_base_SF_SF_SF_bbb,comdat
.Lfunc_end233:
	.size	_ZN9rocsparseL41csrgemm_numeric_fill_block_per_row_kernelILj1024ELj64ELj8192ELj137ELj64Eli21rocsparse_complex_numIdEEEvT5_PKS3_S5_NS_24const_host_device_scalarIT6_EEPKT4_S5_PKS7_SB_S5_SD_S8_SB_S5_SD_SB_S5_PS7_21rocsparse_index_base_SF_SF_SF_bbb, .Lfunc_end233-_ZN9rocsparseL41csrgemm_numeric_fill_block_per_row_kernelILj1024ELj64ELj8192ELj137ELj64Eli21rocsparse_complex_numIdEEEvT5_PKS3_S5_NS_24const_host_device_scalarIT6_EEPKT4_S5_PKS7_SB_S5_SD_S8_SB_S5_SD_SB_S5_PS7_21rocsparse_index_base_SF_SF_SF_bbb
                                        ; -- End function
	.set _ZN9rocsparseL41csrgemm_numeric_fill_block_per_row_kernelILj1024ELj64ELj8192ELj137ELj64Eli21rocsparse_complex_numIdEEEvT5_PKS3_S5_NS_24const_host_device_scalarIT6_EEPKT4_S5_PKS7_SB_S5_SD_S8_SB_S5_SD_SB_S5_PS7_21rocsparse_index_base_SF_SF_SF_bbb.num_vgpr, 34
	.set _ZN9rocsparseL41csrgemm_numeric_fill_block_per_row_kernelILj1024ELj64ELj8192ELj137ELj64Eli21rocsparse_complex_numIdEEEvT5_PKS3_S5_NS_24const_host_device_scalarIT6_EEPKT4_S5_PKS7_SB_S5_SD_S8_SB_S5_SD_SB_S5_PS7_21rocsparse_index_base_SF_SF_SF_bbb.num_agpr, 0
	.set _ZN9rocsparseL41csrgemm_numeric_fill_block_per_row_kernelILj1024ELj64ELj8192ELj137ELj64Eli21rocsparse_complex_numIdEEEvT5_PKS3_S5_NS_24const_host_device_scalarIT6_EEPKT4_S5_PKS7_SB_S5_SD_S8_SB_S5_SD_SB_S5_PS7_21rocsparse_index_base_SF_SF_SF_bbb.numbered_sgpr, 42
	.set _ZN9rocsparseL41csrgemm_numeric_fill_block_per_row_kernelILj1024ELj64ELj8192ELj137ELj64Eli21rocsparse_complex_numIdEEEvT5_PKS3_S5_NS_24const_host_device_scalarIT6_EEPKT4_S5_PKS7_SB_S5_SD_S8_SB_S5_SD_SB_S5_PS7_21rocsparse_index_base_SF_SF_SF_bbb.num_named_barrier, 0
	.set _ZN9rocsparseL41csrgemm_numeric_fill_block_per_row_kernelILj1024ELj64ELj8192ELj137ELj64Eli21rocsparse_complex_numIdEEEvT5_PKS3_S5_NS_24const_host_device_scalarIT6_EEPKT4_S5_PKS7_SB_S5_SD_S8_SB_S5_SD_SB_S5_PS7_21rocsparse_index_base_SF_SF_SF_bbb.private_seg_size, 40
	.set _ZN9rocsparseL41csrgemm_numeric_fill_block_per_row_kernelILj1024ELj64ELj8192ELj137ELj64Eli21rocsparse_complex_numIdEEEvT5_PKS3_S5_NS_24const_host_device_scalarIT6_EEPKT4_S5_PKS7_SB_S5_SD_S8_SB_S5_SD_SB_S5_PS7_21rocsparse_index_base_SF_SF_SF_bbb.uses_vcc, 1
	.set _ZN9rocsparseL41csrgemm_numeric_fill_block_per_row_kernelILj1024ELj64ELj8192ELj137ELj64Eli21rocsparse_complex_numIdEEEvT5_PKS3_S5_NS_24const_host_device_scalarIT6_EEPKT4_S5_PKS7_SB_S5_SD_S8_SB_S5_SD_SB_S5_PS7_21rocsparse_index_base_SF_SF_SF_bbb.uses_flat_scratch, 1
	.set _ZN9rocsparseL41csrgemm_numeric_fill_block_per_row_kernelILj1024ELj64ELj8192ELj137ELj64Eli21rocsparse_complex_numIdEEEvT5_PKS3_S5_NS_24const_host_device_scalarIT6_EEPKT4_S5_PKS7_SB_S5_SD_S8_SB_S5_SD_SB_S5_PS7_21rocsparse_index_base_SF_SF_SF_bbb.has_dyn_sized_stack, 0
	.set _ZN9rocsparseL41csrgemm_numeric_fill_block_per_row_kernelILj1024ELj64ELj8192ELj137ELj64Eli21rocsparse_complex_numIdEEEvT5_PKS3_S5_NS_24const_host_device_scalarIT6_EEPKT4_S5_PKS7_SB_S5_SD_S8_SB_S5_SD_SB_S5_PS7_21rocsparse_index_base_SF_SF_SF_bbb.has_recursion, 0
	.set _ZN9rocsparseL41csrgemm_numeric_fill_block_per_row_kernelILj1024ELj64ELj8192ELj137ELj64Eli21rocsparse_complex_numIdEEEvT5_PKS3_S5_NS_24const_host_device_scalarIT6_EEPKT4_S5_PKS7_SB_S5_SD_S8_SB_S5_SD_SB_S5_PS7_21rocsparse_index_base_SF_SF_SF_bbb.has_indirect_call, 0
	.section	.AMDGPU.csdata,"",@progbits
; Kernel info:
; codeLenInByte = 3948
; TotalNumSgprs: 44
; NumVgprs: 34
; ScratchSize: 40
; MemoryBound: 0
; FloatMode: 240
; IeeeMode: 1
; LDSByteSize: 0 bytes/workgroup (compile time only)
; SGPRBlocks: 0
; VGPRBlocks: 2
; NumSGPRsForWavesPerEU: 44
; NumVGPRsForWavesPerEU: 34
; NamedBarCnt: 0
; Occupancy: 16
; WaveLimiterHint : 1
; COMPUTE_PGM_RSRC2:SCRATCH_EN: 1
; COMPUTE_PGM_RSRC2:USER_SGPR: 2
; COMPUTE_PGM_RSRC2:TRAP_HANDLER: 0
; COMPUTE_PGM_RSRC2:TGID_X_EN: 1
; COMPUTE_PGM_RSRC2:TGID_Y_EN: 0
; COMPUTE_PGM_RSRC2:TGID_Z_EN: 0
; COMPUTE_PGM_RSRC2:TIDIG_COMP_CNT: 0
	.section	.text._ZN9rocsparseL41csrgemm_numeric_fill_block_per_row_kernelILj1024ELj64ELj16384ELj137ELj32Eli21rocsparse_complex_numIdEEEvT5_PKS3_S5_NS_24const_host_device_scalarIT6_EEPKT4_S5_PKS7_SB_S5_SD_S8_SB_S5_SD_SB_S5_PS7_21rocsparse_index_base_SF_SF_SF_bbb,"axG",@progbits,_ZN9rocsparseL41csrgemm_numeric_fill_block_per_row_kernelILj1024ELj64ELj16384ELj137ELj32Eli21rocsparse_complex_numIdEEEvT5_PKS3_S5_NS_24const_host_device_scalarIT6_EEPKT4_S5_PKS7_SB_S5_SD_S8_SB_S5_SD_SB_S5_PS7_21rocsparse_index_base_SF_SF_SF_bbb,comdat
	.globl	_ZN9rocsparseL41csrgemm_numeric_fill_block_per_row_kernelILj1024ELj64ELj16384ELj137ELj32Eli21rocsparse_complex_numIdEEEvT5_PKS3_S5_NS_24const_host_device_scalarIT6_EEPKT4_S5_PKS7_SB_S5_SD_S8_SB_S5_SD_SB_S5_PS7_21rocsparse_index_base_SF_SF_SF_bbb ; -- Begin function _ZN9rocsparseL41csrgemm_numeric_fill_block_per_row_kernelILj1024ELj64ELj16384ELj137ELj32Eli21rocsparse_complex_numIdEEEvT5_PKS3_S5_NS_24const_host_device_scalarIT6_EEPKT4_S5_PKS7_SB_S5_SD_S8_SB_S5_SD_SB_S5_PS7_21rocsparse_index_base_SF_SF_SF_bbb
	.p2align	8
	.type	_ZN9rocsparseL41csrgemm_numeric_fill_block_per_row_kernelILj1024ELj64ELj16384ELj137ELj32Eli21rocsparse_complex_numIdEEEvT5_PKS3_S5_NS_24const_host_device_scalarIT6_EEPKT4_S5_PKS7_SB_S5_SD_S8_SB_S5_SD_SB_S5_PS7_21rocsparse_index_base_SF_SF_SF_bbb,@function
_ZN9rocsparseL41csrgemm_numeric_fill_block_per_row_kernelILj1024ELj64ELj16384ELj137ELj32Eli21rocsparse_complex_numIdEEEvT5_PKS3_S5_NS_24const_host_device_scalarIT6_EEPKT4_S5_PKS7_SB_S5_SD_S8_SB_S5_SD_SB_S5_PS7_21rocsparse_index_base_SF_SF_SF_bbb: ; @_ZN9rocsparseL41csrgemm_numeric_fill_block_per_row_kernelILj1024ELj64ELj16384ELj137ELj32Eli21rocsparse_complex_numIdEEEvT5_PKS3_S5_NS_24const_host_device_scalarIT6_EEPKT4_S5_PKS7_SB_S5_SD_S8_SB_S5_SD_SB_S5_PS7_21rocsparse_index_base_SF_SF_SF_bbb
; %bb.0:
	s_clause 0x3
	s_load_b32 s12, s[0:1], 0xa8
	s_load_b128 s[8:11], s[0:1], 0x18
	s_load_b128 s[4:7], s[0:1], 0x58
	;; [unrolled: 1-line block ×3, first 2 shown]
	v_mov_b64_e32 v[6:7], 0
	v_mov_b64_e32 v[10:11], 0
	;; [unrolled: 1-line block ×3, first 2 shown]
	v_mbcnt_lo_u32_b32 v28, -1, 0
	s_wait_kmcnt 0x0
	s_bitcmp1_b32 s12, 0
	v_mov_b64_e32 v[2:3], s[8:9]
	s_cselect_b32 s3, -1, 0
	s_bitcmp1_b32 s12, 16
	v_mov_b64_e32 v[4:5], s[4:5]
	s_cselect_b32 s2, -1, 0
	s_clause 0x1
	scratch_store_b64 off, v[2:3], off offset:16
	scratch_store_b64 off, v[4:5], off offset:24
	s_xor_b32 s13, s2, -1
	s_bitcmp0_b32 s12, 0
	v_cndmask_b32_e64 v1, 0, 1, s13
	s_delay_alu instid0(VALU_DEP_1)
	v_cmp_ne_u32_e32 vcc_lo, 1, v1
	s_cbranch_scc1 .LBB234_3
; %bb.1:
	s_wait_xcnt 0x1
	v_dual_mov_b32 v2, 16 :: v_dual_lshlrev_b32 v3, 20, v28
	v_mov_b64_e32 v[12:13], s[10:11]
	s_and_b32 vcc_lo, exec_lo, vcc_lo
	s_delay_alu instid0(VALU_DEP_2) | instskip(NEXT) | instid1(VALU_DEP_1)
	v_add_nc_u64_e32 v[2:3], src_flat_scratch_base_lo, v[2:3]
	v_cndmask_b32_e64 v3, s9, v3, s2
	s_delay_alu instid0(VALU_DEP_2)
	v_cndmask_b32_e64 v2, s8, v2, s2
	flat_load_b64 v[10:11], v[2:3]
	s_cbranch_vccnz .LBB234_3
; %bb.2:
	v_mov_b32_e32 v1, 0
	flat_load_b64 v[12:13], v1, s[8:9] offset:8
.LBB234_3:
	s_load_b128 s[16:19], s[0:1], 0x8
	v_mov_b64_e32 v[8:9], 0
	s_bitcmp1_b32 s12, 8
	s_cselect_b32 s20, -1, 0
	s_bfe_u32 s8, s12, 0x10008
	s_delay_alu instid0(SALU_CYCLE_1)
	s_cmp_eq_u32 s8, 0
	s_cbranch_scc1 .LBB234_6
; %bb.4:
	v_dual_mov_b32 v2, 24 :: v_dual_lshlrev_b32 v3, 20, v28
	v_mov_b64_e32 v[6:7], s[6:7]
	s_and_not1_b32 vcc_lo, exec_lo, s13
	s_delay_alu instid0(VALU_DEP_2) | instskip(NEXT) | instid1(VALU_DEP_1)
	v_add_nc_u64_e32 v[2:3], src_flat_scratch_base_lo, v[2:3]
	v_cndmask_b32_e64 v3, s5, v3, s2
	s_delay_alu instid0(VALU_DEP_2)
	v_cndmask_b32_e64 v2, s4, v2, s2
	flat_load_b64 v[8:9], v[2:3]
	s_cbranch_vccnz .LBB234_6
; %bb.5:
	v_mov_b32_e32 v1, 0
	flat_load_b64 v[6:7], v1, s[4:5] offset:8
.LBB234_6:
	s_clause 0x4
	s_load_b32 s33, s[0:1], 0x0
	s_load_b64 s[34:35], s[0:1], 0x90
	s_load_b256 s[36:43], s[0:1], 0x68
	s_load_b128 s[12:15], s[0:1], 0x48
	s_load_b256 s[4:11], s[0:1], 0x28
	s_wait_xcnt 0x0
	s_mov_b32 s0, 0
	v_or_b32_e32 v26, 0xfffffc00, v0
	v_lshl_add_u32 v27, v0, 2, 0
	v_lshlrev_b32_e32 v29, 4, v0
	s_mov_b32 s1, s0
	s_mov_b32 s22, s0
	;; [unrolled: 1-line block ×3, first 2 shown]
	v_mov_b64_e32 v[2:3], s[0:1]
	v_mov_b64_e32 v[4:5], s[22:23]
	v_mov_b32_e32 v14, v27
	v_add3_u32 v1, v29, 0, 0x10008
	s_wait_kmcnt 0x0
	v_dual_mov_b32 v16, v26 :: v_dual_mov_b32 v15, s33
.LBB234_7:                              ; =>This Inner Loop Header: Depth=1
	s_delay_alu instid0(VALU_DEP_1)
	v_add_nc_u32_e32 v16, 0x400, v16
	ds_store_b32 v14, v15
	v_add_nc_u32_e32 v17, -8, v1
	v_add_nc_u32_e32 v1, 0x4000, v1
	v_add_nc_u32_e32 v14, 0x1000, v14
	v_cmp_lt_u32_e32 vcc_lo, 0x3bff, v16
	ds_store_2addr_b64 v17, v[2:3], v[4:5] offset1:1
	s_or_b32 s0, vcc_lo, s0
	s_delay_alu instid0(SALU_CYCLE_1)
	s_and_not1_b32 exec_lo, exec_lo, s0
	s_cbranch_execnz .LBB234_7
; %bb.8:
	s_or_b32 exec_lo, exec_lo, s0
	s_wait_storecnt 0x0
	s_wait_loadcnt_dscnt 0x0
	s_barrier_signal -1
	s_barrier_wait -1
	s_load_b32 s0, s[16:17], 0x0
	s_bfe_u32 s1, ttmp6, 0x4000c
	s_and_b32 s2, ttmp6, 15
	s_add_co_i32 s1, s1, 1
	s_wait_xcnt 0x0
	s_getreg_b32 s16, hwreg(HW_REG_IB_STS2, 6, 4)
	s_mul_i32 s1, ttmp9, s1
	s_delay_alu instid0(SALU_CYCLE_1)
	s_add_co_i32 s2, s2, s1
	s_cmp_eq_u32 s16, 0
	s_cselect_b32 s1, ttmp9, s2
	s_and_b32 vcc_lo, exec_lo, s3
	s_wait_kmcnt 0x0
	s_add_co_i32 s0, s0, s1
	s_mov_b32 s1, 0
	s_load_b32 s48, s[18:19], s0 offset:0x0 scale_offset
	s_cbranch_vccz .LBB234_26
; %bb.9:
	s_wait_kmcnt 0x0
	s_ashr_i32 s49, s48, 31
	v_dual_mov_b32 v3, 0 :: v_dual_lshrrev_b32 v2, 6, v0
	s_lshl_b64 s[2:3], s[48:49], 3
	s_mov_b32 s0, s44
	s_add_nc_u64 s[2:3], s[4:5], s[2:3]
	s_mov_b32 s4, exec_lo
	s_load_b128 s[16:19], s[2:3], 0x0
	v_sub_nc_u64_e64 v[4:5], v[2:3], s[0:1]
	s_wait_kmcnt 0x0
	s_delay_alu instid0(VALU_DEP_1)
	v_add_nc_u64_e32 v[14:15], s[16:17], v[4:5]
	s_sub_nc_u64 s[0:1], s[18:19], s[0:1]
	s_delay_alu instid0(VALU_DEP_1) | instid1(SALU_CYCLE_1)
	v_cmpx_gt_i64_e64 s[0:1], v[14:15]
	s_cbranch_execz .LBB234_25
; %bb.10:
	v_and_b32_e32 v2, 63, v0
	s_mov_b32 s3, 0
	s_mov_b32 s2, s45
	;; [unrolled: 1-line block ×3, first 2 shown]
	s_delay_alu instid0(VALU_DEP_1)
	v_sub_nc_u64_e64 v[16:17], v[2:3], s[2:3]
	s_branch .LBB234_12
.LBB234_11:                             ;   in Loop: Header=BB234_12 Depth=1
	s_or_b32 exec_lo, exec_lo, s16
	v_add_nc_u64_e32 v[14:15], 16, v[14:15]
	s_delay_alu instid0(VALU_DEP_1) | instskip(SKIP_1) | instid1(SALU_CYCLE_1)
	v_cmp_le_i64_e32 vcc_lo, s[0:1], v[14:15]
	s_or_b32 s5, vcc_lo, s5
	s_and_not1_b32 exec_lo, exec_lo, s5
	s_cbranch_execz .LBB234_25
.LBB234_12:                             ; =>This Loop Header: Depth=1
                                        ;     Child Loop BB234_16 Depth 2
                                        ;       Child Loop BB234_19 Depth 3
	v_lshl_add_u64 v[2:3], v[14:15], 2, s[6:7]
	s_mov_b32 s16, exec_lo
	global_load_b32 v1, v[2:3], off
	s_wait_loadcnt 0x0
	s_wait_xcnt 0x0
	v_subrev_nc_u32_e32 v2, s44, v1
	s_delay_alu instid0(VALU_DEP_1) | instskip(NEXT) | instid1(VALU_DEP_1)
	v_ashrrev_i32_e32 v3, 31, v2
	v_lshl_add_u64 v[2:3], v[2:3], 3, s[10:11]
	global_load_b128 v[2:5], v[2:3], off
	s_wait_loadcnt 0x0
	v_sub_nc_u64_e64 v[18:19], v[4:5], s[2:3]
	v_add_nc_u64_e32 v[20:21], v[2:3], v[16:17]
	s_wait_xcnt 0x0
	s_delay_alu instid0(VALU_DEP_1)
	v_cmpx_lt_i64_e64 v[20:21], v[18:19]
	s_cbranch_execz .LBB234_11
; %bb.13:                               ;   in Loop: Header=BB234_12 Depth=1
	v_lshl_add_u64 v[2:3], v[14:15], 4, s[8:9]
	s_mov_b32 s17, 0
	global_load_b128 v[2:5], v[2:3], off
	s_wait_loadcnt 0x0
	v_mul_f64_e64 v[22:23], v[4:5], -v[12:13]
	v_mul_f64_e32 v[24:25], v[10:11], v[4:5]
	s_delay_alu instid0(VALU_DEP_2) | instskip(NEXT) | instid1(VALU_DEP_2)
	v_fmac_f64_e32 v[22:23], v[10:11], v[2:3]
	v_fmac_f64_e32 v[24:25], v[12:13], v[2:3]
	s_branch .LBB234_16
.LBB234_14:                             ;   in Loop: Header=BB234_16 Depth=2
	s_or_b32 exec_lo, exec_lo, s19
.LBB234_15:                             ;   in Loop: Header=BB234_16 Depth=2
	s_delay_alu instid0(SALU_CYCLE_1)
	s_or_b32 exec_lo, exec_lo, s18
	s_wait_loadcnt 0x0
	v_mul_f64_e64 v[30:31], v[4:5], -v[24:25]
	v_mul_f64_e32 v[4:5], v[22:23], v[4:5]
	v_lshlrev_b32_e32 v1, 4, v1
	v_add_nc_u64_e32 v[20:21], 64, v[20:21]
	s_delay_alu instid0(VALU_DEP_2) | instskip(NEXT) | instid1(VALU_DEP_2)
	v_add3_u32 v1, 0, v1, 0x10000
	v_cmp_ge_i64_e32 vcc_lo, v[20:21], v[18:19]
	s_or_b32 s17, vcc_lo, s17
	v_fmac_f64_e32 v[30:31], v[22:23], v[2:3]
	v_fmac_f64_e32 v[4:5], v[24:25], v[2:3]
	ds_add_f64 v1, v[30:31]
	ds_add_f64 v1, v[4:5] offset:8
	s_and_not1_b32 exec_lo, exec_lo, s17
	s_cbranch_execz .LBB234_11
.LBB234_16:                             ;   Parent Loop BB234_12 Depth=1
                                        ; =>  This Loop Header: Depth=2
                                        ;       Child Loop BB234_19 Depth 3
	s_wait_xcnt 0x0
	v_lshl_add_u64 v[2:3], v[20:21], 2, s[12:13]
	s_mov_b32 s18, exec_lo
	global_load_b32 v1, v[2:3], off
	s_wait_xcnt 0x0
	v_lshl_add_u64 v[2:3], v[20:21], 4, s[14:15]
	global_load_b128 v[2:5], v[2:3], off
	s_wait_loadcnt 0x1
	v_subrev_nc_u32_e32 v30, s45, v1
	s_delay_alu instid0(VALU_DEP_1) | instskip(NEXT) | instid1(VALU_DEP_1)
	v_mul_lo_u32 v1, 0x89, v30
	v_and_b32_e32 v1, 0x3fff, v1
	s_delay_alu instid0(VALU_DEP_1)
	v_lshl_add_u32 v31, v1, 2, 0
	ds_load_b32 v32, v31
	s_wait_dscnt 0x0
	s_wait_xcnt 0x0
	v_cmpx_ne_u32_e64 v32, v30
	s_cbranch_execz .LBB234_15
; %bb.17:                               ;   in Loop: Header=BB234_16 Depth=2
	s_mov_b32 s19, 0
	s_branch .LBB234_19
.LBB234_18:                             ;   in Loop: Header=BB234_19 Depth=3
	s_or_b32 exec_lo, exec_lo, s23
	s_delay_alu instid0(SALU_CYCLE_1) | instskip(NEXT) | instid1(SALU_CYCLE_1)
	s_and_b32 s21, exec_lo, s22
	s_or_b32 s19, s21, s19
	s_delay_alu instid0(SALU_CYCLE_1)
	s_and_not1_b32 exec_lo, exec_lo, s19
	s_cbranch_execz .LBB234_14
.LBB234_19:                             ;   Parent Loop BB234_12 Depth=1
                                        ;     Parent Loop BB234_16 Depth=2
                                        ; =>    This Inner Loop Header: Depth=3
	s_mov_b32 s21, 0
	s_mov_b32 s22, exec_lo
	v_cmpx_ne_u32_e64 s33, v32
	s_xor_b32 s22, exec_lo, s22
	s_cbranch_execz .LBB234_21
; %bb.20:                               ;   in Loop: Header=BB234_19 Depth=3
	v_add_nc_u32_e32 v1, 1, v1
	s_mov_b32 s21, exec_lo
                                        ; implicit-def: $vgpr31
	s_delay_alu instid0(VALU_DEP_1)
	v_and_b32_e32 v1, 0x3fff, v1
	s_and_not1_saveexec_b32 s22, s22
	s_cbranch_execz .LBB234_23
	s_branch .LBB234_22
.LBB234_21:                             ;   in Loop: Header=BB234_19 Depth=3
	s_and_not1_saveexec_b32 s22, s22
	s_cbranch_execz .LBB234_23
.LBB234_22:                             ;   in Loop: Header=BB234_19 Depth=3
	v_mov_b32_e32 v32, s33
	s_and_not1_b32 s21, s21, exec_lo
	ds_cmpstore_rtn_b32 v31, v31, v30, v32
	s_wait_dscnt 0x0
	v_cmp_ne_u32_e32 vcc_lo, s33, v31
	s_and_b32 s23, vcc_lo, exec_lo
	s_delay_alu instid0(SALU_CYCLE_1)
	s_or_b32 s21, s21, s23
.LBB234_23:                             ;   in Loop: Header=BB234_19 Depth=3
	s_or_b32 exec_lo, exec_lo, s22
	s_mov_b32 s22, -1
                                        ; implicit-def: $vgpr31
                                        ; implicit-def: $vgpr32
	s_and_saveexec_b32 s23, s21
	s_cbranch_execz .LBB234_18
; %bb.24:                               ;   in Loop: Header=BB234_19 Depth=3
	v_lshl_add_u32 v31, v1, 2, 0
	ds_load_b32 v32, v31
	s_wait_dscnt 0x0
	v_cmp_eq_u32_e32 vcc_lo, v32, v30
	s_or_not1_b32 s22, vcc_lo, exec_lo
	s_branch .LBB234_18
.LBB234_25:
	s_or_b32 exec_lo, exec_lo, s4
.LBB234_26:
	s_delay_alu instid0(SALU_CYCLE_1)
	s_and_not1_b32 vcc_lo, exec_lo, s20
	s_cbranch_vccnz .LBB234_29
; %bb.27:
	s_wait_kmcnt 0x0
	s_ashr_i32 s49, s48, 31
	v_mov_b32_e32 v1, 0
	s_lshl_b64 s[0:1], s[48:49], 3
	s_delay_alu instid0(SALU_CYCLE_1) | instskip(SKIP_4) | instid1(SALU_CYCLE_1)
	s_add_nc_u64 s[0:1], s[36:37], s[0:1]
	s_load_b128 s[4:7], s[0:1], 0x0
	s_wait_xcnt 0x0
	s_mov_b32 s1, 0
	s_mov_b32 s0, s47
	v_sub_nc_u64_e64 v[2:3], v[0:1], s[0:1]
	s_wait_kmcnt 0x0
	s_delay_alu instid0(VALU_DEP_1) | instskip(SKIP_2) | instid1(VALU_DEP_1)
	v_add_nc_u64_e32 v[10:11], s[4:5], v[2:3]
	s_sub_nc_u64 s[2:3], s[6:7], s[0:1]
	s_mov_b32 s0, exec_lo
	v_cmpx_gt_i64_e64 s[2:3], v[10:11]
	s_cbranch_execnz .LBB234_99
.LBB234_28:
	s_or_b32 exec_lo, exec_lo, s0
.LBB234_29:
	v_lshrrev_b32_e32 v1, 3, v0
	v_xor_b32_e32 v2, 31, v28
	s_wait_xcnt 0x0
	v_cmp_lt_u32_e64 s0, 31, v0
	v_cmp_lt_u32_e64 s1, 63, v0
	;; [unrolled: 1-line block ×3, first 2 shown]
	v_and_b32_e32 v3, 0x7c, v1
	v_mov_b32_e32 v1, 0
	v_lshrrev_b32_e64 v2, v2, -1
	v_cmp_lt_u32_e64 s3, 0x7f, v0
	v_cmp_lt_u32_e64 s4, 0x9f, v0
	v_add3_u32 v3, 0x50000, 0, v3
	v_cmp_lt_u32_e64 s5, 0xbf, v0
	v_cmp_lt_u32_e64 s6, 0xdf, v0
	;; [unrolled: 1-line block ×26, first 2 shown]
	v_add3_u32 v4, v29, 0, 0x10000
	s_mov_b32 s36, 0
	s_add_co_i32 s37, 0, 0x50000
	s_add_co_i32 s38, 0, 0x50004
	;; [unrolled: 1-line block ×32, first 2 shown]
	s_wait_dscnt 0x0
	s_barrier_signal -1
	s_barrier_wait -1
	v_cmp_eq_u32_e32 vcc_lo, 0x3ff, v0
	s_branch .LBB234_31
.LBB234_30:                             ;   in Loop: Header=BB234_31 Depth=1
	s_or_b32 exec_lo, exec_lo, s31
	v_dual_mov_b32 v5, s72 :: v_dual_add_nc_u32 v26, 0x400, v26
	s_wait_dscnt 0x0
	s_barrier_signal -1
	s_barrier_wait -1
	ds_load_b32 v5, v5
	v_cmp_lt_u32_e64 s31, 0x3bff, v26
	v_add_nc_u32_e32 v4, 0x4000, v4
	v_add_nc_u32_e32 v27, 0x1000, v27
	s_or_b32 s36, s31, s36
	s_wait_dscnt 0x0
	v_add_nc_u32_e32 v1, v5, v1
	s_and_not1_b32 exec_lo, exec_lo, s36
	s_cbranch_execz .LBB234_108
.LBB234_31:                             ; =>This Inner Loop Header: Depth=1
	ds_load_b32 v5, v27
	ds_load_2addr_b64 v[6:9], v4 offset1:1
	s_wait_dscnt 0x1
	v_cmp_gt_i32_e64 s31, s33, v5
	s_wait_dscnt 0x0
	scratch_store_b128 off, v[6:9], off
	s_wait_storecnt 0x0
	s_barrier_signal -1
	s_barrier_wait -1
	s_bcnt1_i32_b32 s73, s31
	s_wait_xcnt 0x0
	v_dual_mov_b32 v7, s73 :: v_dual_bitop2_b32 v6, s31, v2 bitop3:0x40
	s_delay_alu instid0(VALU_DEP_1)
	v_bcnt_u32_b32 v6, v6, 0
	ds_store_b32 v3, v7
	s_wait_dscnt 0x0
	s_barrier_signal -1
	s_barrier_wait -1
	s_and_saveexec_b32 s73, s0
	s_cbranch_execz .LBB234_64
; %bb.32:                               ;   in Loop: Header=BB234_31 Depth=1
	v_mov_b32_e32 v7, s37
	ds_load_b32 v7, v7
	s_wait_dscnt 0x0
	v_add_nc_u32_e32 v6, v7, v6
	s_or_b32 exec_lo, exec_lo, s73
	s_and_saveexec_b32 s73, s1
	s_cbranch_execnz .LBB234_65
.LBB234_33:                             ;   in Loop: Header=BB234_31 Depth=1
	s_or_b32 exec_lo, exec_lo, s73
	s_and_saveexec_b32 s73, s2
	s_cbranch_execz .LBB234_66
.LBB234_34:                             ;   in Loop: Header=BB234_31 Depth=1
	v_mov_b32_e32 v7, s39
	ds_load_b32 v7, v7
	s_wait_dscnt 0x0
	v_add_nc_u32_e32 v6, v7, v6
	s_or_b32 exec_lo, exec_lo, s73
	s_and_saveexec_b32 s73, s3
	s_cbranch_execnz .LBB234_67
.LBB234_35:                             ;   in Loop: Header=BB234_31 Depth=1
	s_or_b32 exec_lo, exec_lo, s73
	s_and_saveexec_b32 s73, s4
	s_cbranch_execz .LBB234_68
.LBB234_36:                             ;   in Loop: Header=BB234_31 Depth=1
	v_mov_b32_e32 v7, s41
	ds_load_b32 v7, v7
	s_wait_dscnt 0x0
	v_add_nc_u32_e32 v6, v7, v6
	s_or_b32 exec_lo, exec_lo, s73
	s_and_saveexec_b32 s73, s5
	s_cbranch_execnz .LBB234_69
.LBB234_37:                             ;   in Loop: Header=BB234_31 Depth=1
	s_or_b32 exec_lo, exec_lo, s73
	s_and_saveexec_b32 s73, s6
	s_cbranch_execz .LBB234_70
.LBB234_38:                             ;   in Loop: Header=BB234_31 Depth=1
	v_mov_b32_e32 v7, s45
	ds_load_b32 v7, v7
	s_wait_dscnt 0x0
	v_add_nc_u32_e32 v6, v7, v6
	s_or_b32 exec_lo, exec_lo, s73
	s_and_saveexec_b32 s73, s7
	s_cbranch_execnz .LBB234_71
.LBB234_39:                             ;   in Loop: Header=BB234_31 Depth=1
	s_or_b32 exec_lo, exec_lo, s73
	s_and_saveexec_b32 s73, s8
	s_cbranch_execz .LBB234_72
.LBB234_40:                             ;   in Loop: Header=BB234_31 Depth=1
	v_mov_b32_e32 v7, s49
	ds_load_b32 v7, v7
	s_wait_dscnt 0x0
	v_add_nc_u32_e32 v6, v7, v6
	s_or_b32 exec_lo, exec_lo, s73
	s_and_saveexec_b32 s73, s9
	s_cbranch_execnz .LBB234_73
.LBB234_41:                             ;   in Loop: Header=BB234_31 Depth=1
	s_or_b32 exec_lo, exec_lo, s73
	s_and_saveexec_b32 s73, s10
	s_cbranch_execz .LBB234_74
.LBB234_42:                             ;   in Loop: Header=BB234_31 Depth=1
	v_mov_b32_e32 v7, s51
	ds_load_b32 v7, v7
	s_wait_dscnt 0x0
	v_add_nc_u32_e32 v6, v7, v6
	s_or_b32 exec_lo, exec_lo, s73
	s_and_saveexec_b32 s73, s11
	s_cbranch_execnz .LBB234_75
.LBB234_43:                             ;   in Loop: Header=BB234_31 Depth=1
	s_or_b32 exec_lo, exec_lo, s73
	s_and_saveexec_b32 s73, s12
	s_cbranch_execz .LBB234_76
.LBB234_44:                             ;   in Loop: Header=BB234_31 Depth=1
	v_mov_b32_e32 v7, s53
	ds_load_b32 v7, v7
	s_wait_dscnt 0x0
	v_add_nc_u32_e32 v6, v7, v6
	s_or_b32 exec_lo, exec_lo, s73
	s_and_saveexec_b32 s73, s13
	s_cbranch_execnz .LBB234_77
.LBB234_45:                             ;   in Loop: Header=BB234_31 Depth=1
	s_or_b32 exec_lo, exec_lo, s73
	s_and_saveexec_b32 s73, s14
	s_cbranch_execz .LBB234_78
.LBB234_46:                             ;   in Loop: Header=BB234_31 Depth=1
	v_mov_b32_e32 v7, s55
	ds_load_b32 v7, v7
	s_wait_dscnt 0x0
	v_add_nc_u32_e32 v6, v7, v6
	s_or_b32 exec_lo, exec_lo, s73
	s_and_saveexec_b32 s73, s15
	s_cbranch_execnz .LBB234_79
.LBB234_47:                             ;   in Loop: Header=BB234_31 Depth=1
	s_or_b32 exec_lo, exec_lo, s73
	s_and_saveexec_b32 s73, s16
	s_cbranch_execz .LBB234_80
.LBB234_48:                             ;   in Loop: Header=BB234_31 Depth=1
	v_mov_b32_e32 v7, s57
	ds_load_b32 v7, v7
	s_wait_dscnt 0x0
	v_add_nc_u32_e32 v6, v7, v6
	s_or_b32 exec_lo, exec_lo, s73
	s_and_saveexec_b32 s73, s17
	s_cbranch_execnz .LBB234_81
.LBB234_49:                             ;   in Loop: Header=BB234_31 Depth=1
	s_or_b32 exec_lo, exec_lo, s73
	s_and_saveexec_b32 s73, s18
	s_cbranch_execz .LBB234_82
.LBB234_50:                             ;   in Loop: Header=BB234_31 Depth=1
	v_mov_b32_e32 v7, s59
	ds_load_b32 v7, v7
	s_wait_dscnt 0x0
	v_add_nc_u32_e32 v6, v7, v6
	s_or_b32 exec_lo, exec_lo, s73
	s_and_saveexec_b32 s73, s19
	s_cbranch_execnz .LBB234_83
.LBB234_51:                             ;   in Loop: Header=BB234_31 Depth=1
	s_or_b32 exec_lo, exec_lo, s73
	s_and_saveexec_b32 s73, s20
	s_cbranch_execz .LBB234_84
.LBB234_52:                             ;   in Loop: Header=BB234_31 Depth=1
	v_mov_b32_e32 v7, s61
	ds_load_b32 v7, v7
	s_wait_dscnt 0x0
	v_add_nc_u32_e32 v6, v7, v6
	s_or_b32 exec_lo, exec_lo, s73
	s_and_saveexec_b32 s73, s21
	s_cbranch_execnz .LBB234_85
.LBB234_53:                             ;   in Loop: Header=BB234_31 Depth=1
	s_or_b32 exec_lo, exec_lo, s73
	s_and_saveexec_b32 s73, s22
	s_cbranch_execz .LBB234_86
.LBB234_54:                             ;   in Loop: Header=BB234_31 Depth=1
	v_mov_b32_e32 v7, s63
	ds_load_b32 v7, v7
	s_wait_dscnt 0x0
	v_add_nc_u32_e32 v6, v7, v6
	s_or_b32 exec_lo, exec_lo, s73
	s_and_saveexec_b32 s73, s23
	s_cbranch_execnz .LBB234_87
.LBB234_55:                             ;   in Loop: Header=BB234_31 Depth=1
	s_or_b32 exec_lo, exec_lo, s73
	s_and_saveexec_b32 s73, s24
	s_cbranch_execz .LBB234_88
.LBB234_56:                             ;   in Loop: Header=BB234_31 Depth=1
	v_mov_b32_e32 v7, s65
	ds_load_b32 v7, v7
	s_wait_dscnt 0x0
	v_add_nc_u32_e32 v6, v7, v6
	s_or_b32 exec_lo, exec_lo, s73
	s_and_saveexec_b32 s73, s25
	s_cbranch_execnz .LBB234_89
.LBB234_57:                             ;   in Loop: Header=BB234_31 Depth=1
	s_or_b32 exec_lo, exec_lo, s73
	s_and_saveexec_b32 s73, s26
	s_cbranch_execz .LBB234_90
.LBB234_58:                             ;   in Loop: Header=BB234_31 Depth=1
	v_mov_b32_e32 v7, s67
	ds_load_b32 v7, v7
	s_wait_dscnt 0x0
	v_add_nc_u32_e32 v6, v7, v6
	s_or_b32 exec_lo, exec_lo, s73
	s_and_saveexec_b32 s73, s27
	s_cbranch_execnz .LBB234_91
.LBB234_59:                             ;   in Loop: Header=BB234_31 Depth=1
	s_or_b32 exec_lo, exec_lo, s73
	s_and_saveexec_b32 s73, s28
	s_cbranch_execz .LBB234_92
.LBB234_60:                             ;   in Loop: Header=BB234_31 Depth=1
	v_mov_b32_e32 v7, s69
	ds_load_b32 v7, v7
	s_wait_dscnt 0x0
	v_add_nc_u32_e32 v6, v7, v6
	s_or_b32 exec_lo, exec_lo, s73
	s_and_saveexec_b32 s73, s29
	s_cbranch_execnz .LBB234_93
.LBB234_61:                             ;   in Loop: Header=BB234_31 Depth=1
	s_or_b32 exec_lo, exec_lo, s73
	s_and_saveexec_b32 s73, s30
	s_cbranch_execz .LBB234_94
.LBB234_62:                             ;   in Loop: Header=BB234_31 Depth=1
	v_mov_b32_e32 v7, s71
	ds_load_b32 v7, v7
	s_wait_dscnt 0x0
	v_add_nc_u32_e32 v6, v7, v6
	s_or_b32 exec_lo, exec_lo, s73
	s_and_saveexec_b32 s73, s31
	s_cbranch_execnz .LBB234_95
.LBB234_63:                             ;   in Loop: Header=BB234_31 Depth=1
	s_or_b32 exec_lo, exec_lo, s73
	s_and_saveexec_b32 s31, vcc_lo
	s_cbranch_execz .LBB234_30
	s_branch .LBB234_96
.LBB234_64:                             ;   in Loop: Header=BB234_31 Depth=1
	s_or_b32 exec_lo, exec_lo, s73
	s_and_saveexec_b32 s73, s1
	s_cbranch_execz .LBB234_33
.LBB234_65:                             ;   in Loop: Header=BB234_31 Depth=1
	v_mov_b32_e32 v7, s38
	ds_load_b32 v7, v7
	s_wait_dscnt 0x0
	v_add_nc_u32_e32 v6, v7, v6
	s_or_b32 exec_lo, exec_lo, s73
	s_and_saveexec_b32 s73, s2
	s_cbranch_execnz .LBB234_34
.LBB234_66:                             ;   in Loop: Header=BB234_31 Depth=1
	s_or_b32 exec_lo, exec_lo, s73
	s_and_saveexec_b32 s73, s3
	s_cbranch_execz .LBB234_35
.LBB234_67:                             ;   in Loop: Header=BB234_31 Depth=1
	v_mov_b32_e32 v7, s40
	ds_load_b32 v7, v7
	s_wait_dscnt 0x0
	v_add_nc_u32_e32 v6, v7, v6
	s_or_b32 exec_lo, exec_lo, s73
	s_and_saveexec_b32 s73, s4
	s_cbranch_execnz .LBB234_36
.LBB234_68:                             ;   in Loop: Header=BB234_31 Depth=1
	s_or_b32 exec_lo, exec_lo, s73
	s_and_saveexec_b32 s73, s5
	s_cbranch_execz .LBB234_37
.LBB234_69:                             ;   in Loop: Header=BB234_31 Depth=1
	v_mov_b32_e32 v7, s44
	ds_load_b32 v7, v7
	s_wait_dscnt 0x0
	v_add_nc_u32_e32 v6, v7, v6
	s_or_b32 exec_lo, exec_lo, s73
	s_and_saveexec_b32 s73, s6
	s_cbranch_execnz .LBB234_38
.LBB234_70:                             ;   in Loop: Header=BB234_31 Depth=1
	s_or_b32 exec_lo, exec_lo, s73
	s_and_saveexec_b32 s73, s7
	s_cbranch_execz .LBB234_39
.LBB234_71:                             ;   in Loop: Header=BB234_31 Depth=1
	v_mov_b32_e32 v7, s47
	ds_load_b32 v7, v7
	s_wait_dscnt 0x0
	v_add_nc_u32_e32 v6, v7, v6
	s_or_b32 exec_lo, exec_lo, s73
	s_and_saveexec_b32 s73, s8
	s_cbranch_execnz .LBB234_40
.LBB234_72:                             ;   in Loop: Header=BB234_31 Depth=1
	s_or_b32 exec_lo, exec_lo, s73
	s_and_saveexec_b32 s73, s9
	s_cbranch_execz .LBB234_41
.LBB234_73:                             ;   in Loop: Header=BB234_31 Depth=1
	v_mov_b32_e32 v7, s50
	ds_load_b32 v7, v7
	s_wait_dscnt 0x0
	v_add_nc_u32_e32 v6, v7, v6
	s_or_b32 exec_lo, exec_lo, s73
	s_and_saveexec_b32 s73, s10
	s_cbranch_execnz .LBB234_42
.LBB234_74:                             ;   in Loop: Header=BB234_31 Depth=1
	s_or_b32 exec_lo, exec_lo, s73
	s_and_saveexec_b32 s73, s11
	s_cbranch_execz .LBB234_43
.LBB234_75:                             ;   in Loop: Header=BB234_31 Depth=1
	v_mov_b32_e32 v7, s52
	ds_load_b32 v7, v7
	s_wait_dscnt 0x0
	v_add_nc_u32_e32 v6, v7, v6
	s_or_b32 exec_lo, exec_lo, s73
	s_and_saveexec_b32 s73, s12
	s_cbranch_execnz .LBB234_44
.LBB234_76:                             ;   in Loop: Header=BB234_31 Depth=1
	s_or_b32 exec_lo, exec_lo, s73
	s_and_saveexec_b32 s73, s13
	s_cbranch_execz .LBB234_45
.LBB234_77:                             ;   in Loop: Header=BB234_31 Depth=1
	v_mov_b32_e32 v7, s54
	ds_load_b32 v7, v7
	s_wait_dscnt 0x0
	v_add_nc_u32_e32 v6, v7, v6
	s_or_b32 exec_lo, exec_lo, s73
	s_and_saveexec_b32 s73, s14
	s_cbranch_execnz .LBB234_46
.LBB234_78:                             ;   in Loop: Header=BB234_31 Depth=1
	s_or_b32 exec_lo, exec_lo, s73
	s_and_saveexec_b32 s73, s15
	s_cbranch_execz .LBB234_47
.LBB234_79:                             ;   in Loop: Header=BB234_31 Depth=1
	v_mov_b32_e32 v7, s56
	ds_load_b32 v7, v7
	s_wait_dscnt 0x0
	v_add_nc_u32_e32 v6, v7, v6
	s_or_b32 exec_lo, exec_lo, s73
	s_and_saveexec_b32 s73, s16
	s_cbranch_execnz .LBB234_48
.LBB234_80:                             ;   in Loop: Header=BB234_31 Depth=1
	s_or_b32 exec_lo, exec_lo, s73
	s_and_saveexec_b32 s73, s17
	s_cbranch_execz .LBB234_49
.LBB234_81:                             ;   in Loop: Header=BB234_31 Depth=1
	v_mov_b32_e32 v7, s58
	ds_load_b32 v7, v7
	s_wait_dscnt 0x0
	v_add_nc_u32_e32 v6, v7, v6
	s_or_b32 exec_lo, exec_lo, s73
	s_and_saveexec_b32 s73, s18
	s_cbranch_execnz .LBB234_50
.LBB234_82:                             ;   in Loop: Header=BB234_31 Depth=1
	s_or_b32 exec_lo, exec_lo, s73
	s_and_saveexec_b32 s73, s19
	s_cbranch_execz .LBB234_51
.LBB234_83:                             ;   in Loop: Header=BB234_31 Depth=1
	v_mov_b32_e32 v7, s60
	ds_load_b32 v7, v7
	s_wait_dscnt 0x0
	v_add_nc_u32_e32 v6, v7, v6
	s_or_b32 exec_lo, exec_lo, s73
	s_and_saveexec_b32 s73, s20
	s_cbranch_execnz .LBB234_52
.LBB234_84:                             ;   in Loop: Header=BB234_31 Depth=1
	s_or_b32 exec_lo, exec_lo, s73
	s_and_saveexec_b32 s73, s21
	s_cbranch_execz .LBB234_53
.LBB234_85:                             ;   in Loop: Header=BB234_31 Depth=1
	v_mov_b32_e32 v7, s62
	ds_load_b32 v7, v7
	s_wait_dscnt 0x0
	v_add_nc_u32_e32 v6, v7, v6
	s_or_b32 exec_lo, exec_lo, s73
	s_and_saveexec_b32 s73, s22
	s_cbranch_execnz .LBB234_54
.LBB234_86:                             ;   in Loop: Header=BB234_31 Depth=1
	s_or_b32 exec_lo, exec_lo, s73
	s_and_saveexec_b32 s73, s23
	s_cbranch_execz .LBB234_55
.LBB234_87:                             ;   in Loop: Header=BB234_31 Depth=1
	v_mov_b32_e32 v7, s64
	ds_load_b32 v7, v7
	s_wait_dscnt 0x0
	v_add_nc_u32_e32 v6, v7, v6
	s_or_b32 exec_lo, exec_lo, s73
	s_and_saveexec_b32 s73, s24
	s_cbranch_execnz .LBB234_56
.LBB234_88:                             ;   in Loop: Header=BB234_31 Depth=1
	s_or_b32 exec_lo, exec_lo, s73
	s_and_saveexec_b32 s73, s25
	s_cbranch_execz .LBB234_57
.LBB234_89:                             ;   in Loop: Header=BB234_31 Depth=1
	v_mov_b32_e32 v7, s66
	ds_load_b32 v7, v7
	s_wait_dscnt 0x0
	v_add_nc_u32_e32 v6, v7, v6
	s_or_b32 exec_lo, exec_lo, s73
	s_and_saveexec_b32 s73, s26
	s_cbranch_execnz .LBB234_58
.LBB234_90:                             ;   in Loop: Header=BB234_31 Depth=1
	s_or_b32 exec_lo, exec_lo, s73
	s_and_saveexec_b32 s73, s27
	s_cbranch_execz .LBB234_59
.LBB234_91:                             ;   in Loop: Header=BB234_31 Depth=1
	v_mov_b32_e32 v7, s68
	ds_load_b32 v7, v7
	s_wait_dscnt 0x0
	v_add_nc_u32_e32 v6, v7, v6
	s_or_b32 exec_lo, exec_lo, s73
	s_and_saveexec_b32 s73, s28
	s_cbranch_execnz .LBB234_60
.LBB234_92:                             ;   in Loop: Header=BB234_31 Depth=1
	s_or_b32 exec_lo, exec_lo, s73
	s_and_saveexec_b32 s73, s29
	s_cbranch_execz .LBB234_61
.LBB234_93:                             ;   in Loop: Header=BB234_31 Depth=1
	v_mov_b32_e32 v7, s70
	ds_load_b32 v7, v7
	s_wait_dscnt 0x0
	v_add_nc_u32_e32 v6, v7, v6
	s_or_b32 exec_lo, exec_lo, s73
	s_and_saveexec_b32 s73, s30
	s_cbranch_execnz .LBB234_62
.LBB234_94:                             ;   in Loop: Header=BB234_31 Depth=1
	s_or_b32 exec_lo, exec_lo, s73
	s_and_saveexec_b32 s73, s31
	s_cbranch_execz .LBB234_63
.LBB234_95:                             ;   in Loop: Header=BB234_31 Depth=1
	scratch_load_b128 v[8:11], off, off
	v_add3_u32 v7, v1, -1, v6
	v_add_lshl_u32 v12, v1, v6, 4
	s_delay_alu instid0(VALU_DEP_2) | instskip(NEXT) | instid1(VALU_DEP_2)
	v_lshl_add_u32 v7, v7, 2, 0
	v_add3_u32 v12, 0, v12, 0xfff0
	ds_store_b32 v7, v5
	s_wait_loadcnt 0x0
	ds_store_2addr_b64 v12, v[8:9], v[10:11] offset1:1
	s_or_b32 exec_lo, exec_lo, s73
	s_and_saveexec_b32 s31, vcc_lo
	s_cbranch_execz .LBB234_30
.LBB234_96:                             ;   in Loop: Header=BB234_31 Depth=1
	v_mov_b32_e32 v5, s72
	ds_store_b32 v5, v6
	s_branch .LBB234_30
.LBB234_97:                             ;   in Loop: Header=BB234_99 Depth=1
	s_or_b32 exec_lo, exec_lo, s5
.LBB234_98:                             ;   in Loop: Header=BB234_99 Depth=1
	s_delay_alu instid0(SALU_CYCLE_1) | instskip(SKIP_4) | instid1(VALU_DEP_3)
	s_or_b32 exec_lo, exec_lo, s4
	s_wait_loadcnt 0x0
	v_dual_mul_f64 v[12:13], v[4:5], -v[6:7] :: v_dual_lshlrev_b32 v1, 4, v1
	v_mul_f64_e32 v[4:5], v[8:9], v[4:5]
	v_add_nc_u64_e32 v[10:11], 0x400, v[10:11]
	v_add3_u32 v1, 0, v1, 0x10000
	s_delay_alu instid0(VALU_DEP_2)
	v_cmp_le_i64_e32 vcc_lo, s[2:3], v[10:11]
	s_or_b32 s1, vcc_lo, s1
	v_fmac_f64_e32 v[12:13], v[8:9], v[2:3]
	v_fmac_f64_e32 v[4:5], v[6:7], v[2:3]
	ds_add_f64 v1, v[12:13]
	ds_add_f64 v1, v[4:5] offset:8
	s_and_not1_b32 exec_lo, exec_lo, s1
	s_cbranch_execz .LBB234_28
.LBB234_99:                             ; =>This Loop Header: Depth=1
                                        ;     Child Loop BB234_102 Depth 2
	v_lshl_add_u64 v[2:3], v[10:11], 2, s[38:39]
	s_mov_b32 s4, exec_lo
	global_load_b32 v1, v[2:3], off
	s_wait_xcnt 0x0
	v_lshl_add_u64 v[2:3], v[10:11], 4, s[40:41]
	global_load_b128 v[2:5], v[2:3], off
	s_wait_loadcnt 0x1
	v_subrev_nc_u32_e32 v12, s47, v1
	s_delay_alu instid0(VALU_DEP_1) | instskip(NEXT) | instid1(VALU_DEP_1)
	v_mul_lo_u32 v1, 0x89, v12
	v_and_b32_e32 v1, 0x3fff, v1
	s_delay_alu instid0(VALU_DEP_1)
	v_lshl_add_u32 v13, v1, 2, 0
	ds_load_b32 v14, v13
	s_wait_dscnt 0x0
	s_wait_xcnt 0x0
	v_cmpx_ne_u32_e64 v14, v12
	s_cbranch_execz .LBB234_98
; %bb.100:                              ;   in Loop: Header=BB234_99 Depth=1
	s_mov_b32 s5, 0
	s_branch .LBB234_102
.LBB234_101:                            ;   in Loop: Header=BB234_102 Depth=2
	s_or_b32 exec_lo, exec_lo, s8
	s_delay_alu instid0(SALU_CYCLE_1) | instskip(NEXT) | instid1(SALU_CYCLE_1)
	s_and_b32 s6, exec_lo, s7
	s_or_b32 s5, s6, s5
	s_delay_alu instid0(SALU_CYCLE_1)
	s_and_not1_b32 exec_lo, exec_lo, s5
	s_cbranch_execz .LBB234_97
.LBB234_102:                            ;   Parent Loop BB234_99 Depth=1
                                        ; =>  This Inner Loop Header: Depth=2
	s_mov_b32 s6, 0
	s_mov_b32 s7, exec_lo
	v_cmpx_ne_u32_e64 s33, v14
	s_xor_b32 s7, exec_lo, s7
	s_cbranch_execz .LBB234_104
; %bb.103:                              ;   in Loop: Header=BB234_102 Depth=2
	v_add_nc_u32_e32 v1, 1, v1
	s_mov_b32 s6, exec_lo
                                        ; implicit-def: $vgpr13
	s_delay_alu instid0(VALU_DEP_1)
	v_and_b32_e32 v1, 0x3fff, v1
	s_and_not1_saveexec_b32 s7, s7
	s_cbranch_execz .LBB234_106
	s_branch .LBB234_105
.LBB234_104:                            ;   in Loop: Header=BB234_102 Depth=2
	s_and_not1_saveexec_b32 s7, s7
	s_cbranch_execz .LBB234_106
.LBB234_105:                            ;   in Loop: Header=BB234_102 Depth=2
	v_mov_b32_e32 v14, s33
	s_and_not1_b32 s6, s6, exec_lo
	ds_cmpstore_rtn_b32 v13, v13, v12, v14
	s_wait_dscnt 0x0
	v_cmp_ne_u32_e32 vcc_lo, s33, v13
	s_and_b32 s8, vcc_lo, exec_lo
	s_delay_alu instid0(SALU_CYCLE_1)
	s_or_b32 s6, s6, s8
.LBB234_106:                            ;   in Loop: Header=BB234_102 Depth=2
	s_or_b32 exec_lo, exec_lo, s7
	s_mov_b32 s7, -1
                                        ; implicit-def: $vgpr13
                                        ; implicit-def: $vgpr14
	s_and_saveexec_b32 s8, s6
	s_cbranch_execz .LBB234_101
; %bb.107:                              ;   in Loop: Header=BB234_102 Depth=2
	v_lshl_add_u32 v13, v1, 2, 0
	ds_load_b32 v14, v13
	s_wait_dscnt 0x0
	v_cmp_eq_u32_e32 vcc_lo, v14, v12
	s_or_not1_b32 s7, vcc_lo, exec_lo
	s_branch .LBB234_101
.LBB234_108:
	s_or_b32 exec_lo, exec_lo, s36
	s_wait_kmcnt 0x0
	s_ashr_i32 s49, s48, 31
	s_delay_alu instid0(SALU_CYCLE_1) | instskip(NEXT) | instid1(SALU_CYCLE_1)
	s_lshl_b64 s[0:1], s[48:49], 3
	s_add_nc_u64 s[4:5], s[42:43], s[0:1]
	s_load_b128 s[0:3], s[4:5], 0x0
	s_wait_xcnt 0x0
	s_mov_b32 s4, exec_lo
	s_wait_kmcnt 0x0
	s_sub_co_i32 s3, s2, s0
	s_delay_alu instid0(SALU_CYCLE_1)
	v_cmpx_gt_i32_e64 s3, v0
	s_cbranch_execz .LBB234_118
; %bb.109:
	s_sub_co_i32 s4, s0, s2
	s_and_b32 s2, s3, 7
	s_cmp_lt_u32 s4, -7
	s_mov_b32 s47, 0
	s_cselect_b32 s4, -1, 0
	s_and_b32 s5, s3, -8
	s_cmp_lg_u32 s2, 0
	s_sub_nc_u64 s[0:1], s[0:1], s[46:47]
	s_cselect_b32 s6, -1, 0
	s_mov_b32 s7, 0
	s_branch .LBB234_111
.LBB234_110:                            ;   in Loop: Header=BB234_111 Depth=1
	s_wait_dscnt 0x0
	v_lshlrev_b32_e32 v1, 4, v0
	v_add_nc_u32_e32 v0, 0x400, v0
	s_delay_alu instid0(VALU_DEP_3) | instskip(NEXT) | instid1(VALU_DEP_3)
	v_lshl_add_u64 v[2:3], v[2:3], 4, s[34:35]
	v_add3_u32 v1, 0, v1, 0x10000
	s_delay_alu instid0(VALU_DEP_3)
	v_cmp_le_i32_e32 vcc_lo, s3, v0
	ds_load_2addr_b64 v[4:7], v1 offset1:1
	s_or_b32 s7, vcc_lo, s7
	s_wait_dscnt 0x0
	global_store_b128 v[2:3], v[4:7], off
	s_wait_xcnt 0x0
	s_and_not1_b32 exec_lo, exec_lo, s7
	s_cbranch_execz .LBB234_118
.LBB234_111:                            ; =>This Loop Header: Depth=1
                                        ;     Child Loop BB234_113 Depth 2
                                        ;     Child Loop BB234_117 Depth 2
	v_lshl_add_u32 v1, v0, 2, 0
	v_mov_b64_e32 v[2:3], s[0:1]
	s_and_not1_b32 vcc_lo, exec_lo, s4
	s_mov_b32 s8, 0
	ds_load_b32 v1, v1
	s_cbranch_vccnz .LBB234_115
; %bb.112:                              ;   in Loop: Header=BB234_111 Depth=1
	v_mov_b64_e32 v[2:3], s[0:1]
	s_mov_b32 s9, 0
.LBB234_113:                            ;   Parent Loop BB234_111 Depth=1
                                        ; =>  This Inner Loop Header: Depth=2
	s_delay_alu instid0(SALU_CYCLE_1)
	v_dual_mov_b32 v8, s9 :: v_dual_mov_b32 v9, s47
	v_mov_b32_e32 v15, s47
	s_add_co_i32 s8, s8, 8
	s_add_co_i32 s9, s9, 32
	ds_load_2addr_b32 v[4:5], v8 offset1:1
	ds_load_2addr_b32 v[6:7], v8 offset0:2 offset1:3
	ds_load_2addr_b32 v[10:11], v8 offset0:4 offset1:5
	;; [unrolled: 1-line block ×3, first 2 shown]
	s_cmp_eq_u32 s5, s8
	s_wait_dscnt 0x3
	v_cmp_gt_i32_e32 vcc_lo, v1, v4
	v_cndmask_b32_e64 v8, 0, 1, vcc_lo
	v_cmp_gt_i32_e32 vcc_lo, v1, v5
	v_mov_b32_e32 v5, s47
	s_delay_alu instid0(VALU_DEP_3) | instskip(SKIP_4) | instid1(VALU_DEP_3)
	v_add_nc_u64_e32 v[2:3], v[2:3], v[8:9]
	v_cndmask_b32_e64 v14, 0, 1, vcc_lo
	s_wait_dscnt 0x2
	v_cmp_gt_i32_e32 vcc_lo, v1, v6
	v_cndmask_b32_e64 v4, 0, 1, vcc_lo
	v_add_nc_u64_e32 v[2:3], v[2:3], v[14:15]
	v_cmp_gt_i32_e32 vcc_lo, v1, v7
	v_mov_b32_e32 v7, s47
	v_cndmask_b32_e64 v8, 0, 1, vcc_lo
	s_delay_alu instid0(VALU_DEP_4) | instskip(SKIP_3) | instid1(VALU_DEP_3)
	v_add_nc_u64_e32 v[2:3], v[2:3], v[4:5]
	s_wait_dscnt 0x1
	v_cmp_gt_i32_e32 vcc_lo, v1, v10
	v_cndmask_b32_e64 v4, 0, 1, vcc_lo
	v_add_nc_u64_e32 v[2:3], v[2:3], v[8:9]
	v_cmp_gt_i32_e32 vcc_lo, v1, v11
	v_cndmask_b32_e64 v6, 0, 1, vcc_lo
	s_delay_alu instid0(VALU_DEP_3) | instskip(SKIP_3) | instid1(VALU_DEP_3)
	v_add_nc_u64_e32 v[2:3], v[2:3], v[4:5]
	s_wait_dscnt 0x0
	v_cmp_gt_i32_e32 vcc_lo, v1, v12
	v_cndmask_b32_e64 v4, 0, 1, vcc_lo
	v_add_nc_u64_e32 v[2:3], v[2:3], v[6:7]
	v_cmp_gt_i32_e32 vcc_lo, v1, v13
	v_cndmask_b32_e64 v6, 0, 1, vcc_lo
	s_delay_alu instid0(VALU_DEP_3) | instskip(NEXT) | instid1(VALU_DEP_1)
	v_add_nc_u64_e32 v[2:3], v[2:3], v[4:5]
	v_add_nc_u64_e32 v[2:3], v[2:3], v[6:7]
	s_cbranch_scc0 .LBB234_113
; %bb.114:                              ;   in Loop: Header=BB234_111 Depth=1
	s_mov_b32 s8, s5
.LBB234_115:                            ;   in Loop: Header=BB234_111 Depth=1
	s_and_not1_b32 vcc_lo, exec_lo, s6
	s_cbranch_vccnz .LBB234_110
; %bb.116:                              ;   in Loop: Header=BB234_111 Depth=1
	s_lshl_b32 s8, s8, 2
	s_mov_b32 s9, s2
	s_add_co_i32 s8, s8, 0
.LBB234_117:                            ;   Parent Loop BB234_111 Depth=1
                                        ; =>  This Inner Loop Header: Depth=2
	s_delay_alu instid0(SALU_CYCLE_1)
	v_dual_mov_b32 v4, s8 :: v_dual_mov_b32 v5, s47
	s_add_co_i32 s9, s9, -1
	s_add_co_i32 s8, s8, 4
	s_cmp_lg_u32 s9, 0
	ds_load_b32 v4, v4
	s_wait_dscnt 0x0
	v_cmp_gt_i32_e32 vcc_lo, v1, v4
	v_cndmask_b32_e64 v4, 0, 1, vcc_lo
	s_delay_alu instid0(VALU_DEP_1)
	v_add_nc_u64_e32 v[2:3], v[2:3], v[4:5]
	s_cbranch_scc1 .LBB234_117
	s_branch .LBB234_110
.LBB234_118:
	s_endpgm
	.section	.rodata,"a",@progbits
	.p2align	6, 0x0
	.amdhsa_kernel _ZN9rocsparseL41csrgemm_numeric_fill_block_per_row_kernelILj1024ELj64ELj16384ELj137ELj32Eli21rocsparse_complex_numIdEEEvT5_PKS3_S5_NS_24const_host_device_scalarIT6_EEPKT4_S5_PKS7_SB_S5_SD_S8_SB_S5_SD_SB_S5_PS7_21rocsparse_index_base_SF_SF_SF_bbb
		.amdhsa_group_segment_fixed_size 0
		.amdhsa_private_segment_fixed_size 40
		.amdhsa_kernarg_size 172
		.amdhsa_user_sgpr_count 2
		.amdhsa_user_sgpr_dispatch_ptr 0
		.amdhsa_user_sgpr_queue_ptr 0
		.amdhsa_user_sgpr_kernarg_segment_ptr 1
		.amdhsa_user_sgpr_dispatch_id 0
		.amdhsa_user_sgpr_kernarg_preload_length 0
		.amdhsa_user_sgpr_kernarg_preload_offset 0
		.amdhsa_user_sgpr_private_segment_size 0
		.amdhsa_wavefront_size32 1
		.amdhsa_uses_dynamic_stack 0
		.amdhsa_enable_private_segment 1
		.amdhsa_system_sgpr_workgroup_id_x 1
		.amdhsa_system_sgpr_workgroup_id_y 0
		.amdhsa_system_sgpr_workgroup_id_z 0
		.amdhsa_system_sgpr_workgroup_info 0
		.amdhsa_system_vgpr_workitem_id 0
		.amdhsa_next_free_vgpr 33
		.amdhsa_next_free_sgpr 74
		.amdhsa_named_barrier_count 0
		.amdhsa_reserve_vcc 1
		.amdhsa_float_round_mode_32 0
		.amdhsa_float_round_mode_16_64 0
		.amdhsa_float_denorm_mode_32 3
		.amdhsa_float_denorm_mode_16_64 3
		.amdhsa_fp16_overflow 0
		.amdhsa_memory_ordered 1
		.amdhsa_forward_progress 1
		.amdhsa_inst_pref_size 38
		.amdhsa_round_robin_scheduling 0
		.amdhsa_exception_fp_ieee_invalid_op 0
		.amdhsa_exception_fp_denorm_src 0
		.amdhsa_exception_fp_ieee_div_zero 0
		.amdhsa_exception_fp_ieee_overflow 0
		.amdhsa_exception_fp_ieee_underflow 0
		.amdhsa_exception_fp_ieee_inexact 0
		.amdhsa_exception_int_div_zero 0
	.end_amdhsa_kernel
	.section	.text._ZN9rocsparseL41csrgemm_numeric_fill_block_per_row_kernelILj1024ELj64ELj16384ELj137ELj32Eli21rocsparse_complex_numIdEEEvT5_PKS3_S5_NS_24const_host_device_scalarIT6_EEPKT4_S5_PKS7_SB_S5_SD_S8_SB_S5_SD_SB_S5_PS7_21rocsparse_index_base_SF_SF_SF_bbb,"axG",@progbits,_ZN9rocsparseL41csrgemm_numeric_fill_block_per_row_kernelILj1024ELj64ELj16384ELj137ELj32Eli21rocsparse_complex_numIdEEEvT5_PKS3_S5_NS_24const_host_device_scalarIT6_EEPKT4_S5_PKS7_SB_S5_SD_S8_SB_S5_SD_SB_S5_PS7_21rocsparse_index_base_SF_SF_SF_bbb,comdat
.Lfunc_end234:
	.size	_ZN9rocsparseL41csrgemm_numeric_fill_block_per_row_kernelILj1024ELj64ELj16384ELj137ELj32Eli21rocsparse_complex_numIdEEEvT5_PKS3_S5_NS_24const_host_device_scalarIT6_EEPKT4_S5_PKS7_SB_S5_SD_S8_SB_S5_SD_SB_S5_PS7_21rocsparse_index_base_SF_SF_SF_bbb, .Lfunc_end234-_ZN9rocsparseL41csrgemm_numeric_fill_block_per_row_kernelILj1024ELj64ELj16384ELj137ELj32Eli21rocsparse_complex_numIdEEEvT5_PKS3_S5_NS_24const_host_device_scalarIT6_EEPKT4_S5_PKS7_SB_S5_SD_S8_SB_S5_SD_SB_S5_PS7_21rocsparse_index_base_SF_SF_SF_bbb
                                        ; -- End function
	.set _ZN9rocsparseL41csrgemm_numeric_fill_block_per_row_kernelILj1024ELj64ELj16384ELj137ELj32Eli21rocsparse_complex_numIdEEEvT5_PKS3_S5_NS_24const_host_device_scalarIT6_EEPKT4_S5_PKS7_SB_S5_SD_S8_SB_S5_SD_SB_S5_PS7_21rocsparse_index_base_SF_SF_SF_bbb.num_vgpr, 33
	.set _ZN9rocsparseL41csrgemm_numeric_fill_block_per_row_kernelILj1024ELj64ELj16384ELj137ELj32Eli21rocsparse_complex_numIdEEEvT5_PKS3_S5_NS_24const_host_device_scalarIT6_EEPKT4_S5_PKS7_SB_S5_SD_S8_SB_S5_SD_SB_S5_PS7_21rocsparse_index_base_SF_SF_SF_bbb.num_agpr, 0
	.set _ZN9rocsparseL41csrgemm_numeric_fill_block_per_row_kernelILj1024ELj64ELj16384ELj137ELj32Eli21rocsparse_complex_numIdEEEvT5_PKS3_S5_NS_24const_host_device_scalarIT6_EEPKT4_S5_PKS7_SB_S5_SD_S8_SB_S5_SD_SB_S5_PS7_21rocsparse_index_base_SF_SF_SF_bbb.numbered_sgpr, 74
	.set _ZN9rocsparseL41csrgemm_numeric_fill_block_per_row_kernelILj1024ELj64ELj16384ELj137ELj32Eli21rocsparse_complex_numIdEEEvT5_PKS3_S5_NS_24const_host_device_scalarIT6_EEPKT4_S5_PKS7_SB_S5_SD_S8_SB_S5_SD_SB_S5_PS7_21rocsparse_index_base_SF_SF_SF_bbb.num_named_barrier, 0
	.set _ZN9rocsparseL41csrgemm_numeric_fill_block_per_row_kernelILj1024ELj64ELj16384ELj137ELj32Eli21rocsparse_complex_numIdEEEvT5_PKS3_S5_NS_24const_host_device_scalarIT6_EEPKT4_S5_PKS7_SB_S5_SD_S8_SB_S5_SD_SB_S5_PS7_21rocsparse_index_base_SF_SF_SF_bbb.private_seg_size, 40
	.set _ZN9rocsparseL41csrgemm_numeric_fill_block_per_row_kernelILj1024ELj64ELj16384ELj137ELj32Eli21rocsparse_complex_numIdEEEvT5_PKS3_S5_NS_24const_host_device_scalarIT6_EEPKT4_S5_PKS7_SB_S5_SD_S8_SB_S5_SD_SB_S5_PS7_21rocsparse_index_base_SF_SF_SF_bbb.uses_vcc, 1
	.set _ZN9rocsparseL41csrgemm_numeric_fill_block_per_row_kernelILj1024ELj64ELj16384ELj137ELj32Eli21rocsparse_complex_numIdEEEvT5_PKS3_S5_NS_24const_host_device_scalarIT6_EEPKT4_S5_PKS7_SB_S5_SD_S8_SB_S5_SD_SB_S5_PS7_21rocsparse_index_base_SF_SF_SF_bbb.uses_flat_scratch, 1
	.set _ZN9rocsparseL41csrgemm_numeric_fill_block_per_row_kernelILj1024ELj64ELj16384ELj137ELj32Eli21rocsparse_complex_numIdEEEvT5_PKS3_S5_NS_24const_host_device_scalarIT6_EEPKT4_S5_PKS7_SB_S5_SD_S8_SB_S5_SD_SB_S5_PS7_21rocsparse_index_base_SF_SF_SF_bbb.has_dyn_sized_stack, 0
	.set _ZN9rocsparseL41csrgemm_numeric_fill_block_per_row_kernelILj1024ELj64ELj16384ELj137ELj32Eli21rocsparse_complex_numIdEEEvT5_PKS3_S5_NS_24const_host_device_scalarIT6_EEPKT4_S5_PKS7_SB_S5_SD_S8_SB_S5_SD_SB_S5_PS7_21rocsparse_index_base_SF_SF_SF_bbb.has_recursion, 0
	.set _ZN9rocsparseL41csrgemm_numeric_fill_block_per_row_kernelILj1024ELj64ELj16384ELj137ELj32Eli21rocsparse_complex_numIdEEEvT5_PKS3_S5_NS_24const_host_device_scalarIT6_EEPKT4_S5_PKS7_SB_S5_SD_S8_SB_S5_SD_SB_S5_PS7_21rocsparse_index_base_SF_SF_SF_bbb.has_indirect_call, 0
	.section	.AMDGPU.csdata,"",@progbits
; Kernel info:
; codeLenInByte = 4772
; TotalNumSgprs: 76
; NumVgprs: 33
; ScratchSize: 40
; MemoryBound: 0
; FloatMode: 240
; IeeeMode: 1
; LDSByteSize: 0 bytes/workgroup (compile time only)
; SGPRBlocks: 0
; VGPRBlocks: 2
; NumSGPRsForWavesPerEU: 76
; NumVGPRsForWavesPerEU: 33
; NamedBarCnt: 0
; Occupancy: 16
; WaveLimiterHint : 1
; COMPUTE_PGM_RSRC2:SCRATCH_EN: 1
; COMPUTE_PGM_RSRC2:USER_SGPR: 2
; COMPUTE_PGM_RSRC2:TRAP_HANDLER: 0
; COMPUTE_PGM_RSRC2:TGID_X_EN: 1
; COMPUTE_PGM_RSRC2:TGID_Y_EN: 0
; COMPUTE_PGM_RSRC2:TGID_Z_EN: 0
; COMPUTE_PGM_RSRC2:TIDIG_COMP_CNT: 0
	.section	.text._ZN9rocsparseL41csrgemm_numeric_fill_block_per_row_kernelILj1024ELj64ELj16384ELj137ELj64Eli21rocsparse_complex_numIdEEEvT5_PKS3_S5_NS_24const_host_device_scalarIT6_EEPKT4_S5_PKS7_SB_S5_SD_S8_SB_S5_SD_SB_S5_PS7_21rocsparse_index_base_SF_SF_SF_bbb,"axG",@progbits,_ZN9rocsparseL41csrgemm_numeric_fill_block_per_row_kernelILj1024ELj64ELj16384ELj137ELj64Eli21rocsparse_complex_numIdEEEvT5_PKS3_S5_NS_24const_host_device_scalarIT6_EEPKT4_S5_PKS7_SB_S5_SD_S8_SB_S5_SD_SB_S5_PS7_21rocsparse_index_base_SF_SF_SF_bbb,comdat
	.globl	_ZN9rocsparseL41csrgemm_numeric_fill_block_per_row_kernelILj1024ELj64ELj16384ELj137ELj64Eli21rocsparse_complex_numIdEEEvT5_PKS3_S5_NS_24const_host_device_scalarIT6_EEPKT4_S5_PKS7_SB_S5_SD_S8_SB_S5_SD_SB_S5_PS7_21rocsparse_index_base_SF_SF_SF_bbb ; -- Begin function _ZN9rocsparseL41csrgemm_numeric_fill_block_per_row_kernelILj1024ELj64ELj16384ELj137ELj64Eli21rocsparse_complex_numIdEEEvT5_PKS3_S5_NS_24const_host_device_scalarIT6_EEPKT4_S5_PKS7_SB_S5_SD_S8_SB_S5_SD_SB_S5_PS7_21rocsparse_index_base_SF_SF_SF_bbb
	.p2align	8
	.type	_ZN9rocsparseL41csrgemm_numeric_fill_block_per_row_kernelILj1024ELj64ELj16384ELj137ELj64Eli21rocsparse_complex_numIdEEEvT5_PKS3_S5_NS_24const_host_device_scalarIT6_EEPKT4_S5_PKS7_SB_S5_SD_S8_SB_S5_SD_SB_S5_PS7_21rocsparse_index_base_SF_SF_SF_bbb,@function
_ZN9rocsparseL41csrgemm_numeric_fill_block_per_row_kernelILj1024ELj64ELj16384ELj137ELj64Eli21rocsparse_complex_numIdEEEvT5_PKS3_S5_NS_24const_host_device_scalarIT6_EEPKT4_S5_PKS7_SB_S5_SD_S8_SB_S5_SD_SB_S5_PS7_21rocsparse_index_base_SF_SF_SF_bbb: ; @_ZN9rocsparseL41csrgemm_numeric_fill_block_per_row_kernelILj1024ELj64ELj16384ELj137ELj64Eli21rocsparse_complex_numIdEEEvT5_PKS3_S5_NS_24const_host_device_scalarIT6_EEPKT4_S5_PKS7_SB_S5_SD_S8_SB_S5_SD_SB_S5_PS7_21rocsparse_index_base_SF_SF_SF_bbb
; %bb.0:
	s_clause 0x3
	s_load_b32 s12, s[0:1], 0xa8
	s_load_b128 s[8:11], s[0:1], 0x18
	s_load_b128 s[4:7], s[0:1], 0x58
	;; [unrolled: 1-line block ×3, first 2 shown]
	v_mov_b64_e32 v[6:7], 0
	v_mov_b64_e32 v[12:13], 0
	;; [unrolled: 1-line block ×3, first 2 shown]
	v_mbcnt_lo_u32_b32 v30, -1, 0
	s_wait_kmcnt 0x0
	s_bitcmp1_b32 s12, 0
	v_mov_b64_e32 v[2:3], s[8:9]
	s_cselect_b32 s3, -1, 0
	s_bitcmp1_b32 s12, 16
	v_mov_b64_e32 v[4:5], s[4:5]
	s_cselect_b32 s2, -1, 0
	s_clause 0x1
	scratch_store_b64 off, v[2:3], off offset:16
	scratch_store_b64 off, v[4:5], off offset:24
	s_xor_b32 s13, s2, -1
	s_bitcmp0_b32 s12, 0
	v_cndmask_b32_e64 v1, 0, 1, s13
	s_delay_alu instid0(VALU_DEP_1)
	v_cmp_ne_u32_e32 vcc_lo, 1, v1
	s_cbranch_scc1 .LBB235_3
; %bb.1:
	s_wait_xcnt 0x1
	v_dual_mov_b32 v2, 16 :: v_dual_lshlrev_b32 v3, 20, v30
	v_mov_b64_e32 v[14:15], s[10:11]
	s_and_b32 vcc_lo, exec_lo, vcc_lo
	s_delay_alu instid0(VALU_DEP_2) | instskip(NEXT) | instid1(VALU_DEP_1)
	v_add_nc_u64_e32 v[2:3], src_flat_scratch_base_lo, v[2:3]
	v_cndmask_b32_e64 v3, s9, v3, s2
	s_delay_alu instid0(VALU_DEP_2)
	v_cndmask_b32_e64 v2, s8, v2, s2
	flat_load_b64 v[12:13], v[2:3]
	s_cbranch_vccnz .LBB235_3
; %bb.2:
	v_mov_b32_e32 v1, 0
	flat_load_b64 v[14:15], v1, s[8:9] offset:8
.LBB235_3:
	s_load_b128 s[28:31], s[0:1], 0x8
	v_mov_b64_e32 v[8:9], 0
	s_bitcmp1_b32 s12, 8
	s_cselect_b32 s36, -1, 0
	s_bfe_u32 s8, s12, 0x10008
	s_delay_alu instid0(SALU_CYCLE_1)
	s_cmp_eq_u32 s8, 0
	s_cbranch_scc1 .LBB235_6
; %bb.4:
	v_dual_mov_b32 v2, 24 :: v_dual_lshlrev_b32 v3, 20, v30
	v_mov_b64_e32 v[6:7], s[6:7]
	s_and_not1_b32 vcc_lo, exec_lo, s13
	s_delay_alu instid0(VALU_DEP_2) | instskip(NEXT) | instid1(VALU_DEP_1)
	v_add_nc_u64_e32 v[2:3], src_flat_scratch_base_lo, v[2:3]
	v_cndmask_b32_e64 v3, s5, v3, s2
	s_delay_alu instid0(VALU_DEP_2)
	v_cndmask_b32_e64 v2, s4, v2, s2
	flat_load_b64 v[8:9], v[2:3]
	s_cbranch_vccnz .LBB235_6
; %bb.5:
	v_mov_b32_e32 v1, 0
	flat_load_b64 v[6:7], v1, s[4:5] offset:8
.LBB235_6:
	s_clause 0x4
	s_load_b32 s33, s[0:1], 0x0
	s_load_b64 s[34:35], s[0:1], 0x90
	s_load_b256 s[12:19], s[0:1], 0x68
	s_load_b128 s[24:27], s[0:1], 0x48
	s_load_b256 s[4:11], s[0:1], 0x28
	s_wait_xcnt 0x0
	s_mov_b32 s0, 0
	v_or_b32_e32 v28, 0xfffffc00, v0
	v_lshl_add_u32 v29, v0, 2, 0
	v_lshlrev_b32_e32 v31, 4, v0
	s_mov_b32 s1, s0
	s_mov_b32 s38, s0
	;; [unrolled: 1-line block ×3, first 2 shown]
	v_mov_b64_e32 v[2:3], s[0:1]
	v_mov_b64_e32 v[4:5], s[38:39]
	v_mov_b32_e32 v10, v29
	v_add3_u32 v1, v31, 0, 0x10008
	s_wait_kmcnt 0x0
	v_dual_mov_b32 v16, v28 :: v_dual_mov_b32 v11, s33
.LBB235_7:                              ; =>This Inner Loop Header: Depth=1
	s_delay_alu instid0(VALU_DEP_1)
	v_add_nc_u32_e32 v16, 0x400, v16
	ds_store_b32 v10, v11
	v_add_nc_u32_e32 v17, -8, v1
	v_add_nc_u32_e32 v1, 0x4000, v1
	v_add_nc_u32_e32 v10, 0x1000, v10
	v_cmp_lt_u32_e32 vcc_lo, 0x3bff, v16
	ds_store_2addr_b64 v17, v[2:3], v[4:5] offset1:1
	s_or_b32 s0, vcc_lo, s0
	s_delay_alu instid0(SALU_CYCLE_1)
	s_and_not1_b32 exec_lo, exec_lo, s0
	s_cbranch_execnz .LBB235_7
; %bb.8:
	s_or_b32 exec_lo, exec_lo, s0
	s_wait_storecnt 0x0
	s_wait_loadcnt_dscnt 0x0
	s_barrier_signal -1
	s_barrier_wait -1
	s_load_b32 s0, s[28:29], 0x0
	s_bfe_u32 s1, ttmp6, 0x4000c
	s_and_b32 s2, ttmp6, 15
	s_add_co_i32 s1, s1, 1
	s_wait_xcnt 0x0
	s_getreg_b32 s28, hwreg(HW_REG_IB_STS2, 6, 4)
	s_mul_i32 s1, ttmp9, s1
	v_lshrrev_b32_e32 v10, 6, v0
	s_add_co_i32 s2, s2, s1
	s_cmp_eq_u32 s28, 0
	s_cselect_b32 s1, ttmp9, s2
	s_and_b32 vcc_lo, exec_lo, s3
	s_wait_kmcnt 0x0
	s_add_co_i32 s0, s0, s1
	s_mov_b32 s1, 0
	s_load_b32 s28, s[30:31], s0 offset:0x0 scale_offset
	s_cbranch_vccz .LBB235_26
; %bb.9:
	s_wait_kmcnt 0x0
	s_ashr_i32 s29, s28, 31
	v_mov_b32_e32 v11, 0
	s_lshl_b64 s[2:3], s[28:29], 3
	s_mov_b32 s0, s20
	s_add_nc_u64 s[2:3], s[4:5], s[2:3]
	s_mov_b32 s4, exec_lo
	s_load_b128 s[40:43], s[2:3], 0x0
	v_sub_nc_u64_e64 v[2:3], v[10:11], s[0:1]
	s_wait_kmcnt 0x0
	s_delay_alu instid0(VALU_DEP_1)
	v_add_nc_u64_e32 v[16:17], s[40:41], v[2:3]
	s_sub_nc_u64 s[0:1], s[42:43], s[0:1]
	s_delay_alu instid0(VALU_DEP_1) | instid1(SALU_CYCLE_1)
	v_cmpx_gt_i64_e64 s[0:1], v[16:17]
	s_cbranch_execz .LBB235_25
; %bb.10:
	v_dual_mov_b32 v3, v11 :: v_dual_bitop2_b32 v2, 63, v0 bitop3:0x40
	s_mov_b32 s3, 0
	s_mov_b32 s2, s21
	;; [unrolled: 1-line block ×3, first 2 shown]
	s_delay_alu instid0(VALU_DEP_1)
	v_sub_nc_u64_e64 v[18:19], v[2:3], s[2:3]
	s_branch .LBB235_12
.LBB235_11:                             ;   in Loop: Header=BB235_12 Depth=1
	s_or_b32 exec_lo, exec_lo, s29
	v_add_nc_u64_e32 v[16:17], 16, v[16:17]
	s_delay_alu instid0(VALU_DEP_1) | instskip(SKIP_1) | instid1(SALU_CYCLE_1)
	v_cmp_le_i64_e32 vcc_lo, s[0:1], v[16:17]
	s_or_b32 s5, vcc_lo, s5
	s_and_not1_b32 exec_lo, exec_lo, s5
	s_cbranch_execz .LBB235_25
.LBB235_12:                             ; =>This Loop Header: Depth=1
                                        ;     Child Loop BB235_16 Depth 2
                                        ;       Child Loop BB235_19 Depth 3
	v_lshl_add_u64 v[2:3], v[16:17], 2, s[6:7]
	s_mov_b32 s29, exec_lo
	global_load_b32 v1, v[2:3], off
	s_wait_loadcnt 0x0
	s_wait_xcnt 0x0
	v_subrev_nc_u32_e32 v2, s20, v1
	s_delay_alu instid0(VALU_DEP_1) | instskip(NEXT) | instid1(VALU_DEP_1)
	v_ashrrev_i32_e32 v3, 31, v2
	v_lshl_add_u64 v[2:3], v[2:3], 3, s[10:11]
	global_load_b128 v[2:5], v[2:3], off
	s_wait_loadcnt 0x0
	v_sub_nc_u64_e64 v[20:21], v[4:5], s[2:3]
	v_add_nc_u64_e32 v[22:23], v[2:3], v[18:19]
	s_wait_xcnt 0x0
	s_delay_alu instid0(VALU_DEP_1)
	v_cmpx_lt_i64_e64 v[22:23], v[20:21]
	s_cbranch_execz .LBB235_11
; %bb.13:                               ;   in Loop: Header=BB235_12 Depth=1
	v_lshl_add_u64 v[2:3], v[16:17], 4, s[8:9]
	s_mov_b32 s30, 0
	global_load_b128 v[2:5], v[2:3], off
	s_wait_loadcnt 0x0
	v_mul_f64_e64 v[24:25], v[4:5], -v[14:15]
	v_mul_f64_e32 v[26:27], v[12:13], v[4:5]
	s_delay_alu instid0(VALU_DEP_2) | instskip(NEXT) | instid1(VALU_DEP_2)
	v_fmac_f64_e32 v[24:25], v[12:13], v[2:3]
	v_fmac_f64_e32 v[26:27], v[14:15], v[2:3]
	s_branch .LBB235_16
.LBB235_14:                             ;   in Loop: Header=BB235_16 Depth=2
	s_or_b32 exec_lo, exec_lo, s37
.LBB235_15:                             ;   in Loop: Header=BB235_16 Depth=2
	s_delay_alu instid0(SALU_CYCLE_1) | instskip(SKIP_4) | instid1(VALU_DEP_3)
	s_or_b32 exec_lo, exec_lo, s31
	s_wait_loadcnt 0x0
	v_dual_mul_f64 v[32:33], v[4:5], -v[26:27] :: v_dual_lshlrev_b32 v1, 4, v1
	v_mul_f64_e32 v[4:5], v[24:25], v[4:5]
	v_add_nc_u64_e32 v[22:23], 64, v[22:23]
	v_add3_u32 v1, 0, v1, 0x10000
	s_delay_alu instid0(VALU_DEP_2)
	v_cmp_ge_i64_e32 vcc_lo, v[22:23], v[20:21]
	s_or_b32 s30, vcc_lo, s30
	v_fmac_f64_e32 v[32:33], v[24:25], v[2:3]
	v_fmac_f64_e32 v[4:5], v[26:27], v[2:3]
	ds_add_f64 v1, v[32:33]
	ds_add_f64 v1, v[4:5] offset:8
	s_and_not1_b32 exec_lo, exec_lo, s30
	s_cbranch_execz .LBB235_11
.LBB235_16:                             ;   Parent Loop BB235_12 Depth=1
                                        ; =>  This Loop Header: Depth=2
                                        ;       Child Loop BB235_19 Depth 3
	s_wait_xcnt 0x0
	v_lshl_add_u64 v[2:3], v[22:23], 2, s[24:25]
	s_mov_b32 s31, exec_lo
	global_load_b32 v1, v[2:3], off
	s_wait_xcnt 0x0
	v_lshl_add_u64 v[2:3], v[22:23], 4, s[26:27]
	global_load_b128 v[2:5], v[2:3], off
	s_wait_loadcnt 0x1
	v_subrev_nc_u32_e32 v11, s21, v1
	s_delay_alu instid0(VALU_DEP_1) | instskip(NEXT) | instid1(VALU_DEP_1)
	v_mul_lo_u32 v1, 0x89, v11
	v_and_b32_e32 v1, 0x3fff, v1
	s_delay_alu instid0(VALU_DEP_1)
	v_lshl_add_u32 v32, v1, 2, 0
	ds_load_b32 v33, v32
	s_wait_dscnt 0x0
	s_wait_xcnt 0x0
	v_cmpx_ne_u32_e64 v33, v11
	s_cbranch_execz .LBB235_15
; %bb.17:                               ;   in Loop: Header=BB235_16 Depth=2
	s_mov_b32 s37, 0
	s_branch .LBB235_19
.LBB235_18:                             ;   in Loop: Header=BB235_19 Depth=3
	s_or_b32 exec_lo, exec_lo, s40
	s_delay_alu instid0(SALU_CYCLE_1) | instskip(NEXT) | instid1(SALU_CYCLE_1)
	s_and_b32 s38, exec_lo, s39
	s_or_b32 s37, s38, s37
	s_delay_alu instid0(SALU_CYCLE_1)
	s_and_not1_b32 exec_lo, exec_lo, s37
	s_cbranch_execz .LBB235_14
.LBB235_19:                             ;   Parent Loop BB235_12 Depth=1
                                        ;     Parent Loop BB235_16 Depth=2
                                        ; =>    This Inner Loop Header: Depth=3
	s_mov_b32 s38, 0
	s_mov_b32 s39, exec_lo
	v_cmpx_ne_u32_e64 s33, v33
	s_xor_b32 s39, exec_lo, s39
	s_cbranch_execz .LBB235_21
; %bb.20:                               ;   in Loop: Header=BB235_19 Depth=3
	v_add_nc_u32_e32 v1, 1, v1
	s_mov_b32 s38, exec_lo
                                        ; implicit-def: $vgpr32
	s_delay_alu instid0(VALU_DEP_1)
	v_and_b32_e32 v1, 0x3fff, v1
	s_and_not1_saveexec_b32 s39, s39
	s_cbranch_execz .LBB235_23
	s_branch .LBB235_22
.LBB235_21:                             ;   in Loop: Header=BB235_19 Depth=3
	s_and_not1_saveexec_b32 s39, s39
	s_cbranch_execz .LBB235_23
.LBB235_22:                             ;   in Loop: Header=BB235_19 Depth=3
	v_mov_b32_e32 v33, s33
	s_and_not1_b32 s38, s38, exec_lo
	ds_cmpstore_rtn_b32 v32, v32, v11, v33
	s_wait_dscnt 0x0
	v_cmp_ne_u32_e32 vcc_lo, s33, v32
	s_and_b32 s40, vcc_lo, exec_lo
	s_delay_alu instid0(SALU_CYCLE_1)
	s_or_b32 s38, s38, s40
.LBB235_23:                             ;   in Loop: Header=BB235_19 Depth=3
	s_or_b32 exec_lo, exec_lo, s39
	s_mov_b32 s39, -1
                                        ; implicit-def: $vgpr32
                                        ; implicit-def: $vgpr33
	s_and_saveexec_b32 s40, s38
	s_cbranch_execz .LBB235_18
; %bb.24:                               ;   in Loop: Header=BB235_19 Depth=3
	v_lshl_add_u32 v32, v1, 2, 0
	ds_load_b32 v33, v32
	s_wait_dscnt 0x0
	v_cmp_eq_u32_e32 vcc_lo, v33, v11
	s_or_not1_b32 s39, vcc_lo, exec_lo
	s_branch .LBB235_18
.LBB235_25:
	s_or_b32 exec_lo, exec_lo, s4
.LBB235_26:
	s_delay_alu instid0(SALU_CYCLE_1)
	s_and_not1_b32 vcc_lo, exec_lo, s36
	s_cbranch_vccnz .LBB235_29
; %bb.27:
	s_wait_kmcnt 0x0
	s_ashr_i32 s29, s28, 31
	v_mov_b32_e32 v1, 0
	s_lshl_b64 s[0:1], s[28:29], 3
	s_delay_alu instid0(SALU_CYCLE_1) | instskip(SKIP_4) | instid1(SALU_CYCLE_1)
	s_add_nc_u64 s[0:1], s[12:13], s[0:1]
	s_load_b128 s[4:7], s[0:1], 0x0
	s_wait_xcnt 0x0
	s_mov_b32 s1, 0
	s_mov_b32 s0, s23
	v_sub_nc_u64_e64 v[2:3], v[0:1], s[0:1]
	s_wait_kmcnt 0x0
	s_delay_alu instid0(VALU_DEP_1) | instskip(SKIP_2) | instid1(VALU_DEP_1)
	v_add_nc_u64_e32 v[12:13], s[4:5], v[2:3]
	s_sub_nc_u64 s[2:3], s[6:7], s[0:1]
	s_mov_b32 s0, exec_lo
	v_cmpx_gt_i64_e64 s[2:3], v[12:13]
	s_cbranch_execnz .LBB235_67
.LBB235_28:
	s_or_b32 exec_lo, exec_lo, s0
.LBB235_29:
	v_lshlrev_b32_e32 v3, 2, v10
	s_add_co_i32 s36, 0, 0x5003c
	s_delay_alu instid0(SALU_CYCLE_1)
	v_dual_mov_b32 v5, s36 :: v_dual_bitop2_b32 v1, 31, v30 bitop3:0x14
	s_wait_xcnt 0x0
	v_cmp_lt_u32_e64 s0, 63, v0
	v_cmp_lt_u32_e64 s1, 0x7f, v0
	;; [unrolled: 1-line block ×3, first 2 shown]
	v_lshrrev_b32_e64 v2, v1, -1
	v_mov_b32_e32 v1, 0
	v_add3_u32 v3, 0x50000, 0, v3
	v_cmp_lt_u32_e64 s3, 0xff, v0
	v_cmp_lt_u32_e64 s4, 0x13f, v0
	;; [unrolled: 1-line block ×12, first 2 shown]
	v_add3_u32 v4, v31, 0, 0x10000
	s_mov_b32 s16, 0
	s_add_co_i32 s17, 0, 0x50000
	s_add_co_i32 s20, 0, 0x50004
	;; [unrolled: 1-line block ×15, first 2 shown]
	s_wait_dscnt 0x0
	s_barrier_signal -1
	s_barrier_wait -1
	v_cmp_eq_u32_e32 vcc_lo, 0x3ff, v0
	s_branch .LBB235_31
.LBB235_30:                             ;   in Loop: Header=BB235_31 Depth=1
	s_or_b32 exec_lo, exec_lo, s15
	s_wait_dscnt 0x0
	s_barrier_signal -1
	s_barrier_wait -1
	ds_load_b32 v6, v5
	v_add_nc_u32_e32 v28, 0x400, v28
	v_add_nc_u32_e32 v4, 0x4000, v4
	;; [unrolled: 1-line block ×3, first 2 shown]
	s_delay_alu instid0(VALU_DEP_3)
	v_cmp_lt_u32_e64 s15, 0x3bff, v28
	s_or_b32 s16, s15, s16
	s_wait_dscnt 0x0
	v_add_nc_u32_e32 v1, v6, v1
	s_and_not1_b32 exec_lo, exec_lo, s16
	s_cbranch_execz .LBB235_76
.LBB235_31:                             ; =>This Inner Loop Header: Depth=1
	ds_load_b32 v6, v29
	ds_load_2addr_b64 v[8:11], v4 offset1:1
	s_wait_dscnt 0x1
	v_cmp_gt_i32_e64 s15, s33, v6
	s_wait_dscnt 0x0
	scratch_store_b128 off, v[8:11], off
	s_wait_storecnt 0x0
	s_barrier_signal -1
	s_barrier_wait -1
	s_bcnt1_i32_b32 s41, s15
	s_wait_xcnt 0x0
	v_dual_mov_b32 v8, s41 :: v_dual_bitop2_b32 v7, s15, v2 bitop3:0x40
	s_delay_alu instid0(VALU_DEP_1)
	v_bcnt_u32_b32 v7, v7, 0
	ds_store_b32 v3, v8
	s_wait_dscnt 0x0
	s_barrier_signal -1
	s_barrier_wait -1
	s_and_saveexec_b32 s41, s0
	s_cbranch_execz .LBB235_48
; %bb.32:                               ;   in Loop: Header=BB235_31 Depth=1
	v_mov_b32_e32 v8, s17
	ds_load_b32 v8, v8
	s_wait_dscnt 0x0
	v_add_nc_u32_e32 v7, v8, v7
	s_or_b32 exec_lo, exec_lo, s41
	s_and_saveexec_b32 s41, s1
	s_cbranch_execnz .LBB235_49
.LBB235_33:                             ;   in Loop: Header=BB235_31 Depth=1
	s_or_b32 exec_lo, exec_lo, s41
	s_and_saveexec_b32 s41, s2
	s_cbranch_execz .LBB235_50
.LBB235_34:                             ;   in Loop: Header=BB235_31 Depth=1
	v_mov_b32_e32 v8, s21
	ds_load_b32 v8, v8
	s_wait_dscnt 0x0
	v_add_nc_u32_e32 v7, v8, v7
	s_or_b32 exec_lo, exec_lo, s41
	s_and_saveexec_b32 s41, s3
	s_cbranch_execnz .LBB235_51
.LBB235_35:                             ;   in Loop: Header=BB235_31 Depth=1
	s_or_b32 exec_lo, exec_lo, s41
	s_and_saveexec_b32 s41, s4
	s_cbranch_execz .LBB235_52
.LBB235_36:                             ;   in Loop: Header=BB235_31 Depth=1
	v_mov_b32_e32 v8, s24
	ds_load_b32 v8, v8
	s_wait_dscnt 0x0
	v_add_nc_u32_e32 v7, v8, v7
	s_or_b32 exec_lo, exec_lo, s41
	s_and_saveexec_b32 s41, s5
	s_cbranch_execnz .LBB235_53
.LBB235_37:                             ;   in Loop: Header=BB235_31 Depth=1
	s_or_b32 exec_lo, exec_lo, s41
	s_and_saveexec_b32 s41, s6
	s_cbranch_execz .LBB235_54
.LBB235_38:                             ;   in Loop: Header=BB235_31 Depth=1
	v_mov_b32_e32 v8, s26
	ds_load_b32 v8, v8
	s_wait_dscnt 0x0
	v_add_nc_u32_e32 v7, v8, v7
	s_or_b32 exec_lo, exec_lo, s41
	s_and_saveexec_b32 s41, s7
	s_cbranch_execnz .LBB235_55
.LBB235_39:                             ;   in Loop: Header=BB235_31 Depth=1
	s_or_b32 exec_lo, exec_lo, s41
	s_and_saveexec_b32 s41, s8
	s_cbranch_execz .LBB235_56
.LBB235_40:                             ;   in Loop: Header=BB235_31 Depth=1
	v_mov_b32_e32 v8, s29
	ds_load_b32 v8, v8
	s_wait_dscnt 0x0
	v_add_nc_u32_e32 v7, v8, v7
	s_or_b32 exec_lo, exec_lo, s41
	s_and_saveexec_b32 s41, s9
	s_cbranch_execnz .LBB235_57
.LBB235_41:                             ;   in Loop: Header=BB235_31 Depth=1
	s_or_b32 exec_lo, exec_lo, s41
	s_and_saveexec_b32 s41, s10
	s_cbranch_execz .LBB235_58
.LBB235_42:                             ;   in Loop: Header=BB235_31 Depth=1
	v_mov_b32_e32 v8, s31
	ds_load_b32 v8, v8
	s_wait_dscnt 0x0
	v_add_nc_u32_e32 v7, v8, v7
	s_or_b32 exec_lo, exec_lo, s41
	s_and_saveexec_b32 s41, s11
	s_cbranch_execnz .LBB235_59
.LBB235_43:                             ;   in Loop: Header=BB235_31 Depth=1
	s_or_b32 exec_lo, exec_lo, s41
	s_and_saveexec_b32 s41, s12
	s_cbranch_execz .LBB235_60
.LBB235_44:                             ;   in Loop: Header=BB235_31 Depth=1
	v_mov_b32_e32 v8, s38
	ds_load_b32 v8, v8
	s_wait_dscnt 0x0
	v_add_nc_u32_e32 v7, v8, v7
	s_or_b32 exec_lo, exec_lo, s41
	s_and_saveexec_b32 s41, s13
	s_cbranch_execnz .LBB235_61
.LBB235_45:                             ;   in Loop: Header=BB235_31 Depth=1
	s_or_b32 exec_lo, exec_lo, s41
	s_and_saveexec_b32 s41, s14
	s_cbranch_execz .LBB235_62
.LBB235_46:                             ;   in Loop: Header=BB235_31 Depth=1
	v_mov_b32_e32 v8, s40
	ds_load_b32 v8, v8
	s_wait_dscnt 0x0
	v_add_nc_u32_e32 v7, v8, v7
	s_or_b32 exec_lo, exec_lo, s41
	s_and_saveexec_b32 s41, s15
	s_cbranch_execnz .LBB235_63
.LBB235_47:                             ;   in Loop: Header=BB235_31 Depth=1
	s_or_b32 exec_lo, exec_lo, s41
	s_and_saveexec_b32 s15, vcc_lo
	s_cbranch_execz .LBB235_30
	s_branch .LBB235_64
.LBB235_48:                             ;   in Loop: Header=BB235_31 Depth=1
	s_or_b32 exec_lo, exec_lo, s41
	s_and_saveexec_b32 s41, s1
	s_cbranch_execz .LBB235_33
.LBB235_49:                             ;   in Loop: Header=BB235_31 Depth=1
	v_mov_b32_e32 v8, s20
	ds_load_b32 v8, v8
	s_wait_dscnt 0x0
	v_add_nc_u32_e32 v7, v8, v7
	s_or_b32 exec_lo, exec_lo, s41
	s_and_saveexec_b32 s41, s2
	s_cbranch_execnz .LBB235_34
.LBB235_50:                             ;   in Loop: Header=BB235_31 Depth=1
	s_or_b32 exec_lo, exec_lo, s41
	s_and_saveexec_b32 s41, s3
	s_cbranch_execz .LBB235_35
.LBB235_51:                             ;   in Loop: Header=BB235_31 Depth=1
	v_mov_b32_e32 v8, s23
	ds_load_b32 v8, v8
	s_wait_dscnt 0x0
	v_add_nc_u32_e32 v7, v8, v7
	s_or_b32 exec_lo, exec_lo, s41
	s_and_saveexec_b32 s41, s4
	s_cbranch_execnz .LBB235_36
.LBB235_52:                             ;   in Loop: Header=BB235_31 Depth=1
	s_or_b32 exec_lo, exec_lo, s41
	s_and_saveexec_b32 s41, s5
	s_cbranch_execz .LBB235_37
.LBB235_53:                             ;   in Loop: Header=BB235_31 Depth=1
	v_mov_b32_e32 v8, s25
	ds_load_b32 v8, v8
	s_wait_dscnt 0x0
	v_add_nc_u32_e32 v7, v8, v7
	s_or_b32 exec_lo, exec_lo, s41
	s_and_saveexec_b32 s41, s6
	s_cbranch_execnz .LBB235_38
.LBB235_54:                             ;   in Loop: Header=BB235_31 Depth=1
	s_or_b32 exec_lo, exec_lo, s41
	s_and_saveexec_b32 s41, s7
	s_cbranch_execz .LBB235_39
.LBB235_55:                             ;   in Loop: Header=BB235_31 Depth=1
	v_mov_b32_e32 v8, s27
	ds_load_b32 v8, v8
	s_wait_dscnt 0x0
	v_add_nc_u32_e32 v7, v8, v7
	s_or_b32 exec_lo, exec_lo, s41
	s_and_saveexec_b32 s41, s8
	s_cbranch_execnz .LBB235_40
.LBB235_56:                             ;   in Loop: Header=BB235_31 Depth=1
	s_or_b32 exec_lo, exec_lo, s41
	s_and_saveexec_b32 s41, s9
	s_cbranch_execz .LBB235_41
.LBB235_57:                             ;   in Loop: Header=BB235_31 Depth=1
	v_mov_b32_e32 v8, s30
	ds_load_b32 v8, v8
	s_wait_dscnt 0x0
	v_add_nc_u32_e32 v7, v8, v7
	s_or_b32 exec_lo, exec_lo, s41
	s_and_saveexec_b32 s41, s10
	s_cbranch_execnz .LBB235_42
.LBB235_58:                             ;   in Loop: Header=BB235_31 Depth=1
	s_or_b32 exec_lo, exec_lo, s41
	s_and_saveexec_b32 s41, s11
	s_cbranch_execz .LBB235_43
.LBB235_59:                             ;   in Loop: Header=BB235_31 Depth=1
	v_mov_b32_e32 v8, s37
	ds_load_b32 v8, v8
	s_wait_dscnt 0x0
	v_add_nc_u32_e32 v7, v8, v7
	s_or_b32 exec_lo, exec_lo, s41
	s_and_saveexec_b32 s41, s12
	s_cbranch_execnz .LBB235_44
.LBB235_60:                             ;   in Loop: Header=BB235_31 Depth=1
	s_or_b32 exec_lo, exec_lo, s41
	s_and_saveexec_b32 s41, s13
	s_cbranch_execz .LBB235_45
.LBB235_61:                             ;   in Loop: Header=BB235_31 Depth=1
	v_mov_b32_e32 v8, s39
	ds_load_b32 v8, v8
	s_wait_dscnt 0x0
	v_add_nc_u32_e32 v7, v8, v7
	s_or_b32 exec_lo, exec_lo, s41
	s_and_saveexec_b32 s41, s14
	s_cbranch_execnz .LBB235_46
.LBB235_62:                             ;   in Loop: Header=BB235_31 Depth=1
	s_or_b32 exec_lo, exec_lo, s41
	s_and_saveexec_b32 s41, s15
	s_cbranch_execz .LBB235_47
.LBB235_63:                             ;   in Loop: Header=BB235_31 Depth=1
	scratch_load_b128 v[8:11], off, off
	v_add3_u32 v12, v1, -1, v7
	v_add_lshl_u32 v13, v1, v7, 4
	s_delay_alu instid0(VALU_DEP_2) | instskip(NEXT) | instid1(VALU_DEP_2)
	v_lshl_add_u32 v12, v12, 2, 0
	v_add3_u32 v13, 0, v13, 0xfff0
	ds_store_b32 v12, v6
	s_wait_loadcnt 0x0
	ds_store_2addr_b64 v13, v[8:9], v[10:11] offset1:1
	s_or_b32 exec_lo, exec_lo, s41
	s_and_saveexec_b32 s15, vcc_lo
	s_cbranch_execz .LBB235_30
.LBB235_64:                             ;   in Loop: Header=BB235_31 Depth=1
	v_mov_b32_e32 v6, s36
	ds_store_b32 v6, v7
	s_branch .LBB235_30
.LBB235_65:                             ;   in Loop: Header=BB235_67 Depth=1
	s_or_b32 exec_lo, exec_lo, s5
.LBB235_66:                             ;   in Loop: Header=BB235_67 Depth=1
	s_delay_alu instid0(SALU_CYCLE_1) | instskip(SKIP_4) | instid1(VALU_DEP_3)
	s_or_b32 exec_lo, exec_lo, s4
	s_wait_loadcnt 0x0
	v_dual_mul_f64 v[14:15], v[4:5], -v[6:7] :: v_dual_lshlrev_b32 v1, 4, v1
	v_mul_f64_e32 v[4:5], v[8:9], v[4:5]
	v_add_nc_u64_e32 v[12:13], 0x400, v[12:13]
	v_add3_u32 v1, 0, v1, 0x10000
	s_delay_alu instid0(VALU_DEP_2)
	v_cmp_le_i64_e32 vcc_lo, s[2:3], v[12:13]
	s_or_b32 s1, vcc_lo, s1
	v_fmac_f64_e32 v[14:15], v[8:9], v[2:3]
	v_fmac_f64_e32 v[4:5], v[6:7], v[2:3]
	ds_add_f64 v1, v[14:15]
	ds_add_f64 v1, v[4:5] offset:8
	s_and_not1_b32 exec_lo, exec_lo, s1
	s_cbranch_execz .LBB235_28
.LBB235_67:                             ; =>This Loop Header: Depth=1
                                        ;     Child Loop BB235_70 Depth 2
	v_lshl_add_u64 v[2:3], v[12:13], 2, s[14:15]
	s_mov_b32 s4, exec_lo
	global_load_b32 v1, v[2:3], off
	s_wait_xcnt 0x0
	v_lshl_add_u64 v[2:3], v[12:13], 4, s[16:17]
	global_load_b128 v[2:5], v[2:3], off
	s_wait_loadcnt 0x1
	v_subrev_nc_u32_e32 v11, s23, v1
	s_delay_alu instid0(VALU_DEP_1) | instskip(NEXT) | instid1(VALU_DEP_1)
	v_mul_lo_u32 v1, 0x89, v11
	v_and_b32_e32 v1, 0x3fff, v1
	s_delay_alu instid0(VALU_DEP_1)
	v_lshl_add_u32 v14, v1, 2, 0
	ds_load_b32 v15, v14
	s_wait_dscnt 0x0
	s_wait_xcnt 0x0
	v_cmpx_ne_u32_e64 v15, v11
	s_cbranch_execz .LBB235_66
; %bb.68:                               ;   in Loop: Header=BB235_67 Depth=1
	s_mov_b32 s5, 0
	s_branch .LBB235_70
.LBB235_69:                             ;   in Loop: Header=BB235_70 Depth=2
	s_or_b32 exec_lo, exec_lo, s8
	s_delay_alu instid0(SALU_CYCLE_1) | instskip(NEXT) | instid1(SALU_CYCLE_1)
	s_and_b32 s6, exec_lo, s7
	s_or_b32 s5, s6, s5
	s_delay_alu instid0(SALU_CYCLE_1)
	s_and_not1_b32 exec_lo, exec_lo, s5
	s_cbranch_execz .LBB235_65
.LBB235_70:                             ;   Parent Loop BB235_67 Depth=1
                                        ; =>  This Inner Loop Header: Depth=2
	s_mov_b32 s6, 0
	s_mov_b32 s7, exec_lo
	v_cmpx_ne_u32_e64 s33, v15
	s_xor_b32 s7, exec_lo, s7
	s_cbranch_execz .LBB235_72
; %bb.71:                               ;   in Loop: Header=BB235_70 Depth=2
	v_add_nc_u32_e32 v1, 1, v1
	s_mov_b32 s6, exec_lo
                                        ; implicit-def: $vgpr14
	s_delay_alu instid0(VALU_DEP_1)
	v_and_b32_e32 v1, 0x3fff, v1
	s_and_not1_saveexec_b32 s7, s7
	s_cbranch_execz .LBB235_74
	s_branch .LBB235_73
.LBB235_72:                             ;   in Loop: Header=BB235_70 Depth=2
	s_and_not1_saveexec_b32 s7, s7
	s_cbranch_execz .LBB235_74
.LBB235_73:                             ;   in Loop: Header=BB235_70 Depth=2
	v_mov_b32_e32 v15, s33
	s_and_not1_b32 s6, s6, exec_lo
	ds_cmpstore_rtn_b32 v14, v14, v11, v15
	s_wait_dscnt 0x0
	v_cmp_ne_u32_e32 vcc_lo, s33, v14
	s_and_b32 s8, vcc_lo, exec_lo
	s_delay_alu instid0(SALU_CYCLE_1)
	s_or_b32 s6, s6, s8
.LBB235_74:                             ;   in Loop: Header=BB235_70 Depth=2
	s_or_b32 exec_lo, exec_lo, s7
	s_mov_b32 s7, -1
                                        ; implicit-def: $vgpr14
                                        ; implicit-def: $vgpr15
	s_and_saveexec_b32 s8, s6
	s_cbranch_execz .LBB235_69
; %bb.75:                               ;   in Loop: Header=BB235_70 Depth=2
	v_lshl_add_u32 v14, v1, 2, 0
	ds_load_b32 v15, v14
	s_wait_dscnt 0x0
	v_cmp_eq_u32_e32 vcc_lo, v15, v11
	s_or_not1_b32 s7, vcc_lo, exec_lo
	s_branch .LBB235_69
.LBB235_76:
	s_or_b32 exec_lo, exec_lo, s16
	s_wait_kmcnt 0x0
	s_ashr_i32 s29, s28, 31
	s_delay_alu instid0(SALU_CYCLE_1) | instskip(NEXT) | instid1(SALU_CYCLE_1)
	s_lshl_b64 s[0:1], s[28:29], 3
	s_add_nc_u64 s[4:5], s[18:19], s[0:1]
	s_load_b128 s[0:3], s[4:5], 0x0
	s_wait_xcnt 0x0
	s_mov_b32 s4, exec_lo
	s_wait_kmcnt 0x0
	s_sub_co_i32 s3, s2, s0
	s_delay_alu instid0(SALU_CYCLE_1)
	v_cmpx_gt_i32_e64 s3, v0
	s_cbranch_execz .LBB235_86
; %bb.77:
	s_sub_co_i32 s4, s0, s2
	s_and_b32 s2, s3, 7
	s_cmp_lt_u32 s4, -7
	s_mov_b32 s23, 0
	s_cselect_b32 s4, -1, 0
	s_and_b32 s5, s3, -8
	s_cmp_lg_u32 s2, 0
	s_sub_nc_u64 s[0:1], s[0:1], s[22:23]
	s_cselect_b32 s6, -1, 0
	s_mov_b32 s7, 0
	s_branch .LBB235_79
.LBB235_78:                             ;   in Loop: Header=BB235_79 Depth=1
	s_wait_dscnt 0x0
	v_lshlrev_b32_e32 v1, 4, v0
	v_add_nc_u32_e32 v0, 0x400, v0
	s_delay_alu instid0(VALU_DEP_3) | instskip(NEXT) | instid1(VALU_DEP_3)
	v_lshl_add_u64 v[2:3], v[2:3], 4, s[34:35]
	v_add3_u32 v1, 0, v1, 0x10000
	s_delay_alu instid0(VALU_DEP_3)
	v_cmp_le_i32_e32 vcc_lo, s3, v0
	ds_load_2addr_b64 v[4:7], v1 offset1:1
	s_or_b32 s7, vcc_lo, s7
	s_wait_dscnt 0x0
	global_store_b128 v[2:3], v[4:7], off
	s_wait_xcnt 0x0
	s_and_not1_b32 exec_lo, exec_lo, s7
	s_cbranch_execz .LBB235_86
.LBB235_79:                             ; =>This Loop Header: Depth=1
                                        ;     Child Loop BB235_81 Depth 2
                                        ;     Child Loop BB235_85 Depth 2
	v_lshl_add_u32 v1, v0, 2, 0
	v_mov_b64_e32 v[2:3], s[0:1]
	s_and_not1_b32 vcc_lo, exec_lo, s4
	s_mov_b32 s8, 0
	ds_load_b32 v1, v1
	s_cbranch_vccnz .LBB235_83
; %bb.80:                               ;   in Loop: Header=BB235_79 Depth=1
	v_mov_b64_e32 v[2:3], s[0:1]
	s_mov_b32 s9, 0
.LBB235_81:                             ;   Parent Loop BB235_79 Depth=1
                                        ; =>  This Inner Loop Header: Depth=2
	s_delay_alu instid0(SALU_CYCLE_1)
	v_dual_mov_b32 v8, s9 :: v_dual_mov_b32 v9, s23
	v_mov_b32_e32 v15, s23
	s_add_co_i32 s8, s8, 8
	s_add_co_i32 s9, s9, 32
	ds_load_2addr_b32 v[4:5], v8 offset1:1
	ds_load_2addr_b32 v[6:7], v8 offset0:2 offset1:3
	ds_load_2addr_b32 v[10:11], v8 offset0:4 offset1:5
	ds_load_2addr_b32 v[12:13], v8 offset0:6 offset1:7
	s_cmp_eq_u32 s5, s8
	s_wait_dscnt 0x3
	v_cmp_gt_i32_e32 vcc_lo, v1, v4
	v_cndmask_b32_e64 v8, 0, 1, vcc_lo
	v_cmp_gt_i32_e32 vcc_lo, v1, v5
	v_mov_b32_e32 v5, s23
	s_delay_alu instid0(VALU_DEP_3) | instskip(SKIP_4) | instid1(VALU_DEP_3)
	v_add_nc_u64_e32 v[2:3], v[2:3], v[8:9]
	v_cndmask_b32_e64 v14, 0, 1, vcc_lo
	s_wait_dscnt 0x2
	v_cmp_gt_i32_e32 vcc_lo, v1, v6
	v_cndmask_b32_e64 v4, 0, 1, vcc_lo
	v_add_nc_u64_e32 v[2:3], v[2:3], v[14:15]
	v_cmp_gt_i32_e32 vcc_lo, v1, v7
	v_mov_b32_e32 v7, s23
	v_cndmask_b32_e64 v8, 0, 1, vcc_lo
	s_delay_alu instid0(VALU_DEP_4) | instskip(SKIP_3) | instid1(VALU_DEP_3)
	v_add_nc_u64_e32 v[2:3], v[2:3], v[4:5]
	s_wait_dscnt 0x1
	v_cmp_gt_i32_e32 vcc_lo, v1, v10
	v_cndmask_b32_e64 v4, 0, 1, vcc_lo
	v_add_nc_u64_e32 v[2:3], v[2:3], v[8:9]
	v_cmp_gt_i32_e32 vcc_lo, v1, v11
	v_cndmask_b32_e64 v6, 0, 1, vcc_lo
	s_delay_alu instid0(VALU_DEP_3) | instskip(SKIP_3) | instid1(VALU_DEP_3)
	v_add_nc_u64_e32 v[2:3], v[2:3], v[4:5]
	s_wait_dscnt 0x0
	v_cmp_gt_i32_e32 vcc_lo, v1, v12
	v_cndmask_b32_e64 v4, 0, 1, vcc_lo
	v_add_nc_u64_e32 v[2:3], v[2:3], v[6:7]
	v_cmp_gt_i32_e32 vcc_lo, v1, v13
	v_cndmask_b32_e64 v6, 0, 1, vcc_lo
	s_delay_alu instid0(VALU_DEP_3) | instskip(NEXT) | instid1(VALU_DEP_1)
	v_add_nc_u64_e32 v[2:3], v[2:3], v[4:5]
	v_add_nc_u64_e32 v[2:3], v[2:3], v[6:7]
	s_cbranch_scc0 .LBB235_81
; %bb.82:                               ;   in Loop: Header=BB235_79 Depth=1
	s_mov_b32 s8, s5
.LBB235_83:                             ;   in Loop: Header=BB235_79 Depth=1
	s_and_not1_b32 vcc_lo, exec_lo, s6
	s_cbranch_vccnz .LBB235_78
; %bb.84:                               ;   in Loop: Header=BB235_79 Depth=1
	s_lshl_b32 s8, s8, 2
	s_mov_b32 s9, s2
	s_add_co_i32 s8, s8, 0
.LBB235_85:                             ;   Parent Loop BB235_79 Depth=1
                                        ; =>  This Inner Loop Header: Depth=2
	s_delay_alu instid0(SALU_CYCLE_1)
	v_dual_mov_b32 v4, s8 :: v_dual_mov_b32 v5, s23
	s_add_co_i32 s9, s9, -1
	s_add_co_i32 s8, s8, 4
	s_cmp_lg_u32 s9, 0
	ds_load_b32 v4, v4
	s_wait_dscnt 0x0
	v_cmp_gt_i32_e32 vcc_lo, v1, v4
	v_cndmask_b32_e64 v4, 0, 1, vcc_lo
	s_delay_alu instid0(VALU_DEP_1)
	v_add_nc_u64_e32 v[2:3], v[2:3], v[4:5]
	s_cbranch_scc1 .LBB235_85
	s_branch .LBB235_78
.LBB235_86:
	s_endpgm
	.section	.rodata,"a",@progbits
	.p2align	6, 0x0
	.amdhsa_kernel _ZN9rocsparseL41csrgemm_numeric_fill_block_per_row_kernelILj1024ELj64ELj16384ELj137ELj64Eli21rocsparse_complex_numIdEEEvT5_PKS3_S5_NS_24const_host_device_scalarIT6_EEPKT4_S5_PKS7_SB_S5_SD_S8_SB_S5_SD_SB_S5_PS7_21rocsparse_index_base_SF_SF_SF_bbb
		.amdhsa_group_segment_fixed_size 0
		.amdhsa_private_segment_fixed_size 40
		.amdhsa_kernarg_size 172
		.amdhsa_user_sgpr_count 2
		.amdhsa_user_sgpr_dispatch_ptr 0
		.amdhsa_user_sgpr_queue_ptr 0
		.amdhsa_user_sgpr_kernarg_segment_ptr 1
		.amdhsa_user_sgpr_dispatch_id 0
		.amdhsa_user_sgpr_kernarg_preload_length 0
		.amdhsa_user_sgpr_kernarg_preload_offset 0
		.amdhsa_user_sgpr_private_segment_size 0
		.amdhsa_wavefront_size32 1
		.amdhsa_uses_dynamic_stack 0
		.amdhsa_enable_private_segment 1
		.amdhsa_system_sgpr_workgroup_id_x 1
		.amdhsa_system_sgpr_workgroup_id_y 0
		.amdhsa_system_sgpr_workgroup_id_z 0
		.amdhsa_system_sgpr_workgroup_info 0
		.amdhsa_system_vgpr_workitem_id 0
		.amdhsa_next_free_vgpr 34
		.amdhsa_next_free_sgpr 44
		.amdhsa_named_barrier_count 0
		.amdhsa_reserve_vcc 1
		.amdhsa_float_round_mode_32 0
		.amdhsa_float_round_mode_16_64 0
		.amdhsa_float_denorm_mode_32 3
		.amdhsa_float_denorm_mode_16_64 3
		.amdhsa_fp16_overflow 0
		.amdhsa_memory_ordered 1
		.amdhsa_forward_progress 1
		.amdhsa_inst_pref_size 30
		.amdhsa_round_robin_scheduling 0
		.amdhsa_exception_fp_ieee_invalid_op 0
		.amdhsa_exception_fp_denorm_src 0
		.amdhsa_exception_fp_ieee_div_zero 0
		.amdhsa_exception_fp_ieee_overflow 0
		.amdhsa_exception_fp_ieee_underflow 0
		.amdhsa_exception_fp_ieee_inexact 0
		.amdhsa_exception_int_div_zero 0
	.end_amdhsa_kernel
	.section	.text._ZN9rocsparseL41csrgemm_numeric_fill_block_per_row_kernelILj1024ELj64ELj16384ELj137ELj64Eli21rocsparse_complex_numIdEEEvT5_PKS3_S5_NS_24const_host_device_scalarIT6_EEPKT4_S5_PKS7_SB_S5_SD_S8_SB_S5_SD_SB_S5_PS7_21rocsparse_index_base_SF_SF_SF_bbb,"axG",@progbits,_ZN9rocsparseL41csrgemm_numeric_fill_block_per_row_kernelILj1024ELj64ELj16384ELj137ELj64Eli21rocsparse_complex_numIdEEEvT5_PKS3_S5_NS_24const_host_device_scalarIT6_EEPKT4_S5_PKS7_SB_S5_SD_S8_SB_S5_SD_SB_S5_PS7_21rocsparse_index_base_SF_SF_SF_bbb,comdat
.Lfunc_end235:
	.size	_ZN9rocsparseL41csrgemm_numeric_fill_block_per_row_kernelILj1024ELj64ELj16384ELj137ELj64Eli21rocsparse_complex_numIdEEEvT5_PKS3_S5_NS_24const_host_device_scalarIT6_EEPKT4_S5_PKS7_SB_S5_SD_S8_SB_S5_SD_SB_S5_PS7_21rocsparse_index_base_SF_SF_SF_bbb, .Lfunc_end235-_ZN9rocsparseL41csrgemm_numeric_fill_block_per_row_kernelILj1024ELj64ELj16384ELj137ELj64Eli21rocsparse_complex_numIdEEEvT5_PKS3_S5_NS_24const_host_device_scalarIT6_EEPKT4_S5_PKS7_SB_S5_SD_S8_SB_S5_SD_SB_S5_PS7_21rocsparse_index_base_SF_SF_SF_bbb
                                        ; -- End function
	.set _ZN9rocsparseL41csrgemm_numeric_fill_block_per_row_kernelILj1024ELj64ELj16384ELj137ELj64Eli21rocsparse_complex_numIdEEEvT5_PKS3_S5_NS_24const_host_device_scalarIT6_EEPKT4_S5_PKS7_SB_S5_SD_S8_SB_S5_SD_SB_S5_PS7_21rocsparse_index_base_SF_SF_SF_bbb.num_vgpr, 34
	.set _ZN9rocsparseL41csrgemm_numeric_fill_block_per_row_kernelILj1024ELj64ELj16384ELj137ELj64Eli21rocsparse_complex_numIdEEEvT5_PKS3_S5_NS_24const_host_device_scalarIT6_EEPKT4_S5_PKS7_SB_S5_SD_S8_SB_S5_SD_SB_S5_PS7_21rocsparse_index_base_SF_SF_SF_bbb.num_agpr, 0
	.set _ZN9rocsparseL41csrgemm_numeric_fill_block_per_row_kernelILj1024ELj64ELj16384ELj137ELj64Eli21rocsparse_complex_numIdEEEvT5_PKS3_S5_NS_24const_host_device_scalarIT6_EEPKT4_S5_PKS7_SB_S5_SD_S8_SB_S5_SD_SB_S5_PS7_21rocsparse_index_base_SF_SF_SF_bbb.numbered_sgpr, 44
	.set _ZN9rocsparseL41csrgemm_numeric_fill_block_per_row_kernelILj1024ELj64ELj16384ELj137ELj64Eli21rocsparse_complex_numIdEEEvT5_PKS3_S5_NS_24const_host_device_scalarIT6_EEPKT4_S5_PKS7_SB_S5_SD_S8_SB_S5_SD_SB_S5_PS7_21rocsparse_index_base_SF_SF_SF_bbb.num_named_barrier, 0
	.set _ZN9rocsparseL41csrgemm_numeric_fill_block_per_row_kernelILj1024ELj64ELj16384ELj137ELj64Eli21rocsparse_complex_numIdEEEvT5_PKS3_S5_NS_24const_host_device_scalarIT6_EEPKT4_S5_PKS7_SB_S5_SD_S8_SB_S5_SD_SB_S5_PS7_21rocsparse_index_base_SF_SF_SF_bbb.private_seg_size, 40
	.set _ZN9rocsparseL41csrgemm_numeric_fill_block_per_row_kernelILj1024ELj64ELj16384ELj137ELj64Eli21rocsparse_complex_numIdEEEvT5_PKS3_S5_NS_24const_host_device_scalarIT6_EEPKT4_S5_PKS7_SB_S5_SD_S8_SB_S5_SD_SB_S5_PS7_21rocsparse_index_base_SF_SF_SF_bbb.uses_vcc, 1
	.set _ZN9rocsparseL41csrgemm_numeric_fill_block_per_row_kernelILj1024ELj64ELj16384ELj137ELj64Eli21rocsparse_complex_numIdEEEvT5_PKS3_S5_NS_24const_host_device_scalarIT6_EEPKT4_S5_PKS7_SB_S5_SD_S8_SB_S5_SD_SB_S5_PS7_21rocsparse_index_base_SF_SF_SF_bbb.uses_flat_scratch, 1
	.set _ZN9rocsparseL41csrgemm_numeric_fill_block_per_row_kernelILj1024ELj64ELj16384ELj137ELj64Eli21rocsparse_complex_numIdEEEvT5_PKS3_S5_NS_24const_host_device_scalarIT6_EEPKT4_S5_PKS7_SB_S5_SD_S8_SB_S5_SD_SB_S5_PS7_21rocsparse_index_base_SF_SF_SF_bbb.has_dyn_sized_stack, 0
	.set _ZN9rocsparseL41csrgemm_numeric_fill_block_per_row_kernelILj1024ELj64ELj16384ELj137ELj64Eli21rocsparse_complex_numIdEEEvT5_PKS3_S5_NS_24const_host_device_scalarIT6_EEPKT4_S5_PKS7_SB_S5_SD_S8_SB_S5_SD_SB_S5_PS7_21rocsparse_index_base_SF_SF_SF_bbb.has_recursion, 0
	.set _ZN9rocsparseL41csrgemm_numeric_fill_block_per_row_kernelILj1024ELj64ELj16384ELj137ELj64Eli21rocsparse_complex_numIdEEEvT5_PKS3_S5_NS_24const_host_device_scalarIT6_EEPKT4_S5_PKS7_SB_S5_SD_S8_SB_S5_SD_SB_S5_PS7_21rocsparse_index_base_SF_SF_SF_bbb.has_indirect_call, 0
	.section	.AMDGPU.csdata,"",@progbits
; Kernel info:
; codeLenInByte = 3760
; TotalNumSgprs: 46
; NumVgprs: 34
; ScratchSize: 40
; MemoryBound: 0
; FloatMode: 240
; IeeeMode: 1
; LDSByteSize: 0 bytes/workgroup (compile time only)
; SGPRBlocks: 0
; VGPRBlocks: 2
; NumSGPRsForWavesPerEU: 46
; NumVGPRsForWavesPerEU: 34
; NamedBarCnt: 0
; Occupancy: 16
; WaveLimiterHint : 1
; COMPUTE_PGM_RSRC2:SCRATCH_EN: 1
; COMPUTE_PGM_RSRC2:USER_SGPR: 2
; COMPUTE_PGM_RSRC2:TRAP_HANDLER: 0
; COMPUTE_PGM_RSRC2:TGID_X_EN: 1
; COMPUTE_PGM_RSRC2:TGID_Y_EN: 0
; COMPUTE_PGM_RSRC2:TGID_Z_EN: 0
; COMPUTE_PGM_RSRC2:TIDIG_COMP_CNT: 0
	.section	.text._ZN9rocsparseL41csrgemm_numeric_fill_block_per_row_kernelILj1024ELj64ELj32768ELj137ELj32Eli21rocsparse_complex_numIdEEEvT5_PKS3_S5_NS_24const_host_device_scalarIT6_EEPKT4_S5_PKS7_SB_S5_SD_S8_SB_S5_SD_SB_S5_PS7_21rocsparse_index_base_SF_SF_SF_bbb,"axG",@progbits,_ZN9rocsparseL41csrgemm_numeric_fill_block_per_row_kernelILj1024ELj64ELj32768ELj137ELj32Eli21rocsparse_complex_numIdEEEvT5_PKS3_S5_NS_24const_host_device_scalarIT6_EEPKT4_S5_PKS7_SB_S5_SD_S8_SB_S5_SD_SB_S5_PS7_21rocsparse_index_base_SF_SF_SF_bbb,comdat
	.globl	_ZN9rocsparseL41csrgemm_numeric_fill_block_per_row_kernelILj1024ELj64ELj32768ELj137ELj32Eli21rocsparse_complex_numIdEEEvT5_PKS3_S5_NS_24const_host_device_scalarIT6_EEPKT4_S5_PKS7_SB_S5_SD_S8_SB_S5_SD_SB_S5_PS7_21rocsparse_index_base_SF_SF_SF_bbb ; -- Begin function _ZN9rocsparseL41csrgemm_numeric_fill_block_per_row_kernelILj1024ELj64ELj32768ELj137ELj32Eli21rocsparse_complex_numIdEEEvT5_PKS3_S5_NS_24const_host_device_scalarIT6_EEPKT4_S5_PKS7_SB_S5_SD_S8_SB_S5_SD_SB_S5_PS7_21rocsparse_index_base_SF_SF_SF_bbb
	.p2align	8
	.type	_ZN9rocsparseL41csrgemm_numeric_fill_block_per_row_kernelILj1024ELj64ELj32768ELj137ELj32Eli21rocsparse_complex_numIdEEEvT5_PKS3_S5_NS_24const_host_device_scalarIT6_EEPKT4_S5_PKS7_SB_S5_SD_S8_SB_S5_SD_SB_S5_PS7_21rocsparse_index_base_SF_SF_SF_bbb,@function
_ZN9rocsparseL41csrgemm_numeric_fill_block_per_row_kernelILj1024ELj64ELj32768ELj137ELj32Eli21rocsparse_complex_numIdEEEvT5_PKS3_S5_NS_24const_host_device_scalarIT6_EEPKT4_S5_PKS7_SB_S5_SD_S8_SB_S5_SD_SB_S5_PS7_21rocsparse_index_base_SF_SF_SF_bbb: ; @_ZN9rocsparseL41csrgemm_numeric_fill_block_per_row_kernelILj1024ELj64ELj32768ELj137ELj32Eli21rocsparse_complex_numIdEEEvT5_PKS3_S5_NS_24const_host_device_scalarIT6_EEPKT4_S5_PKS7_SB_S5_SD_S8_SB_S5_SD_SB_S5_PS7_21rocsparse_index_base_SF_SF_SF_bbb
; %bb.0:
	s_clause 0x3
	s_load_b32 s12, s[0:1], 0xa8
	s_load_b128 s[8:11], s[0:1], 0x18
	s_load_b128 s[4:7], s[0:1], 0x58
	;; [unrolled: 1-line block ×3, first 2 shown]
	v_mov_b64_e32 v[6:7], 0
	v_mov_b64_e32 v[10:11], 0
	;; [unrolled: 1-line block ×3, first 2 shown]
	v_mbcnt_lo_u32_b32 v28, -1, 0
	s_wait_kmcnt 0x0
	s_bitcmp1_b32 s12, 0
	v_mov_b64_e32 v[2:3], s[8:9]
	s_cselect_b32 s3, -1, 0
	s_bitcmp1_b32 s12, 16
	v_mov_b64_e32 v[4:5], s[4:5]
	s_cselect_b32 s2, -1, 0
	s_clause 0x1
	scratch_store_b64 off, v[2:3], off offset:16
	scratch_store_b64 off, v[4:5], off offset:24
	s_xor_b32 s13, s2, -1
	s_bitcmp0_b32 s12, 0
	v_cndmask_b32_e64 v1, 0, 1, s13
	s_delay_alu instid0(VALU_DEP_1)
	v_cmp_ne_u32_e32 vcc_lo, 1, v1
	s_cbranch_scc1 .LBB236_3
; %bb.1:
	s_wait_xcnt 0x1
	v_dual_mov_b32 v2, 16 :: v_dual_lshlrev_b32 v3, 20, v28
	v_mov_b64_e32 v[12:13], s[10:11]
	s_and_b32 vcc_lo, exec_lo, vcc_lo
	s_delay_alu instid0(VALU_DEP_2) | instskip(NEXT) | instid1(VALU_DEP_1)
	v_add_nc_u64_e32 v[2:3], src_flat_scratch_base_lo, v[2:3]
	v_cndmask_b32_e64 v3, s9, v3, s2
	s_delay_alu instid0(VALU_DEP_2)
	v_cndmask_b32_e64 v2, s8, v2, s2
	flat_load_b64 v[10:11], v[2:3]
	s_cbranch_vccnz .LBB236_3
; %bb.2:
	v_mov_b32_e32 v1, 0
	flat_load_b64 v[12:13], v1, s[8:9] offset:8
.LBB236_3:
	s_load_b128 s[16:19], s[0:1], 0x8
	v_mov_b64_e32 v[8:9], 0
	s_bitcmp1_b32 s12, 8
	s_cselect_b32 s20, -1, 0
	s_bfe_u32 s8, s12, 0x10008
	s_delay_alu instid0(SALU_CYCLE_1)
	s_cmp_eq_u32 s8, 0
	s_cbranch_scc1 .LBB236_6
; %bb.4:
	v_dual_mov_b32 v2, 24 :: v_dual_lshlrev_b32 v3, 20, v28
	v_mov_b64_e32 v[6:7], s[6:7]
	s_and_not1_b32 vcc_lo, exec_lo, s13
	s_delay_alu instid0(VALU_DEP_2) | instskip(NEXT) | instid1(VALU_DEP_1)
	v_add_nc_u64_e32 v[2:3], src_flat_scratch_base_lo, v[2:3]
	v_cndmask_b32_e64 v3, s5, v3, s2
	s_delay_alu instid0(VALU_DEP_2)
	v_cndmask_b32_e64 v2, s4, v2, s2
	flat_load_b64 v[8:9], v[2:3]
	s_cbranch_vccnz .LBB236_6
; %bb.5:
	v_mov_b32_e32 v1, 0
	flat_load_b64 v[6:7], v1, s[4:5] offset:8
.LBB236_6:
	s_clause 0x4
	s_load_b32 s33, s[0:1], 0x0
	s_load_b64 s[34:35], s[0:1], 0x90
	s_load_b256 s[36:43], s[0:1], 0x68
	s_load_b128 s[12:15], s[0:1], 0x48
	s_load_b256 s[4:11], s[0:1], 0x28
	s_wait_xcnt 0x0
	s_mov_b32 s0, 0
	v_or_b32_e32 v26, 0xfffffc00, v0
	v_lshl_add_u32 v27, v0, 2, 0
	v_lshlrev_b32_e32 v29, 4, v0
	s_mov_b32 s1, s0
	s_mov_b32 s22, s0
	;; [unrolled: 1-line block ×3, first 2 shown]
	v_mov_b64_e32 v[2:3], s[0:1]
	v_mov_b64_e32 v[4:5], s[22:23]
	v_mov_b32_e32 v14, v27
	v_add3_u32 v1, v29, 0, 0x20008
	s_wait_kmcnt 0x0
	v_dual_mov_b32 v16, v26 :: v_dual_mov_b32 v15, s33
.LBB236_7:                              ; =>This Inner Loop Header: Depth=1
	s_delay_alu instid0(VALU_DEP_1)
	v_add_nc_u32_e32 v16, 0x400, v16
	ds_store_b32 v14, v15
	v_add_nc_u32_e32 v17, -8, v1
	v_add_nc_u32_e32 v1, 0x4000, v1
	v_add_nc_u32_e32 v14, 0x1000, v14
	v_cmp_lt_u32_e32 vcc_lo, 0x7bff, v16
	ds_store_2addr_b64 v17, v[2:3], v[4:5] offset1:1
	s_or_b32 s0, vcc_lo, s0
	s_delay_alu instid0(SALU_CYCLE_1)
	s_and_not1_b32 exec_lo, exec_lo, s0
	s_cbranch_execnz .LBB236_7
; %bb.8:
	s_or_b32 exec_lo, exec_lo, s0
	s_wait_storecnt 0x0
	s_wait_loadcnt_dscnt 0x0
	s_barrier_signal -1
	s_barrier_wait -1
	s_load_b32 s0, s[16:17], 0x0
	s_bfe_u32 s1, ttmp6, 0x4000c
	s_and_b32 s2, ttmp6, 15
	s_add_co_i32 s1, s1, 1
	s_wait_xcnt 0x0
	s_getreg_b32 s16, hwreg(HW_REG_IB_STS2, 6, 4)
	s_mul_i32 s1, ttmp9, s1
	s_delay_alu instid0(SALU_CYCLE_1)
	s_add_co_i32 s2, s2, s1
	s_cmp_eq_u32 s16, 0
	s_cselect_b32 s1, ttmp9, s2
	s_and_b32 vcc_lo, exec_lo, s3
	s_wait_kmcnt 0x0
	s_add_co_i32 s0, s0, s1
	s_mov_b32 s1, 0
	s_load_b32 s48, s[18:19], s0 offset:0x0 scale_offset
	s_cbranch_vccz .LBB236_26
; %bb.9:
	s_wait_kmcnt 0x0
	s_ashr_i32 s49, s48, 31
	v_dual_mov_b32 v3, 0 :: v_dual_lshrrev_b32 v2, 6, v0
	s_lshl_b64 s[2:3], s[48:49], 3
	s_mov_b32 s0, s44
	s_add_nc_u64 s[2:3], s[4:5], s[2:3]
	s_mov_b32 s4, exec_lo
	s_load_b128 s[16:19], s[2:3], 0x0
	v_sub_nc_u64_e64 v[4:5], v[2:3], s[0:1]
	s_wait_kmcnt 0x0
	s_delay_alu instid0(VALU_DEP_1)
	v_add_nc_u64_e32 v[14:15], s[16:17], v[4:5]
	s_sub_nc_u64 s[0:1], s[18:19], s[0:1]
	s_delay_alu instid0(VALU_DEP_1) | instid1(SALU_CYCLE_1)
	v_cmpx_gt_i64_e64 s[0:1], v[14:15]
	s_cbranch_execz .LBB236_25
; %bb.10:
	v_and_b32_e32 v2, 63, v0
	s_mov_b32 s3, 0
	s_mov_b32 s2, s45
	;; [unrolled: 1-line block ×3, first 2 shown]
	s_delay_alu instid0(VALU_DEP_1)
	v_sub_nc_u64_e64 v[16:17], v[2:3], s[2:3]
	s_branch .LBB236_12
.LBB236_11:                             ;   in Loop: Header=BB236_12 Depth=1
	s_or_b32 exec_lo, exec_lo, s16
	v_add_nc_u64_e32 v[14:15], 16, v[14:15]
	s_delay_alu instid0(VALU_DEP_1) | instskip(SKIP_1) | instid1(SALU_CYCLE_1)
	v_cmp_le_i64_e32 vcc_lo, s[0:1], v[14:15]
	s_or_b32 s5, vcc_lo, s5
	s_and_not1_b32 exec_lo, exec_lo, s5
	s_cbranch_execz .LBB236_25
.LBB236_12:                             ; =>This Loop Header: Depth=1
                                        ;     Child Loop BB236_16 Depth 2
                                        ;       Child Loop BB236_19 Depth 3
	v_lshl_add_u64 v[2:3], v[14:15], 2, s[6:7]
	s_mov_b32 s16, exec_lo
	global_load_b32 v1, v[2:3], off
	s_wait_loadcnt 0x0
	s_wait_xcnt 0x0
	v_subrev_nc_u32_e32 v2, s44, v1
	s_delay_alu instid0(VALU_DEP_1) | instskip(NEXT) | instid1(VALU_DEP_1)
	v_ashrrev_i32_e32 v3, 31, v2
	v_lshl_add_u64 v[2:3], v[2:3], 3, s[10:11]
	global_load_b128 v[2:5], v[2:3], off
	s_wait_loadcnt 0x0
	v_sub_nc_u64_e64 v[18:19], v[4:5], s[2:3]
	v_add_nc_u64_e32 v[20:21], v[2:3], v[16:17]
	s_wait_xcnt 0x0
	s_delay_alu instid0(VALU_DEP_1)
	v_cmpx_lt_i64_e64 v[20:21], v[18:19]
	s_cbranch_execz .LBB236_11
; %bb.13:                               ;   in Loop: Header=BB236_12 Depth=1
	v_lshl_add_u64 v[2:3], v[14:15], 4, s[8:9]
	s_mov_b32 s17, 0
	global_load_b128 v[2:5], v[2:3], off
	s_wait_loadcnt 0x0
	v_mul_f64_e64 v[22:23], v[4:5], -v[12:13]
	v_mul_f64_e32 v[24:25], v[10:11], v[4:5]
	s_delay_alu instid0(VALU_DEP_2) | instskip(NEXT) | instid1(VALU_DEP_2)
	v_fmac_f64_e32 v[22:23], v[10:11], v[2:3]
	v_fmac_f64_e32 v[24:25], v[12:13], v[2:3]
	s_branch .LBB236_16
.LBB236_14:                             ;   in Loop: Header=BB236_16 Depth=2
	s_or_b32 exec_lo, exec_lo, s19
.LBB236_15:                             ;   in Loop: Header=BB236_16 Depth=2
	s_delay_alu instid0(SALU_CYCLE_1)
	s_or_b32 exec_lo, exec_lo, s18
	s_wait_loadcnt 0x0
	v_mul_f64_e64 v[30:31], v[4:5], -v[24:25]
	v_mul_f64_e32 v[4:5], v[22:23], v[4:5]
	v_lshlrev_b32_e32 v1, 4, v1
	v_add_nc_u64_e32 v[20:21], 64, v[20:21]
	s_delay_alu instid0(VALU_DEP_2) | instskip(NEXT) | instid1(VALU_DEP_2)
	v_add3_u32 v1, 0, v1, 0x20000
	v_cmp_ge_i64_e32 vcc_lo, v[20:21], v[18:19]
	s_or_b32 s17, vcc_lo, s17
	v_fmac_f64_e32 v[30:31], v[22:23], v[2:3]
	v_fmac_f64_e32 v[4:5], v[24:25], v[2:3]
	ds_add_f64 v1, v[30:31]
	ds_add_f64 v1, v[4:5] offset:8
	s_and_not1_b32 exec_lo, exec_lo, s17
	s_cbranch_execz .LBB236_11
.LBB236_16:                             ;   Parent Loop BB236_12 Depth=1
                                        ; =>  This Loop Header: Depth=2
                                        ;       Child Loop BB236_19 Depth 3
	s_wait_xcnt 0x0
	v_lshl_add_u64 v[2:3], v[20:21], 2, s[12:13]
	s_mov_b32 s18, exec_lo
	global_load_b32 v1, v[2:3], off
	s_wait_xcnt 0x0
	v_lshl_add_u64 v[2:3], v[20:21], 4, s[14:15]
	global_load_b128 v[2:5], v[2:3], off
	s_wait_loadcnt 0x1
	v_subrev_nc_u32_e32 v30, s45, v1
	s_delay_alu instid0(VALU_DEP_1) | instskip(NEXT) | instid1(VALU_DEP_1)
	v_mul_lo_u32 v1, 0x89, v30
	v_and_b32_e32 v1, 0x7fff, v1
	s_delay_alu instid0(VALU_DEP_1)
	v_lshl_add_u32 v31, v1, 2, 0
	ds_load_b32 v32, v31
	s_wait_dscnt 0x0
	s_wait_xcnt 0x0
	v_cmpx_ne_u32_e64 v32, v30
	s_cbranch_execz .LBB236_15
; %bb.17:                               ;   in Loop: Header=BB236_16 Depth=2
	s_mov_b32 s19, 0
	s_branch .LBB236_19
.LBB236_18:                             ;   in Loop: Header=BB236_19 Depth=3
	s_or_b32 exec_lo, exec_lo, s23
	s_delay_alu instid0(SALU_CYCLE_1) | instskip(NEXT) | instid1(SALU_CYCLE_1)
	s_and_b32 s21, exec_lo, s22
	s_or_b32 s19, s21, s19
	s_delay_alu instid0(SALU_CYCLE_1)
	s_and_not1_b32 exec_lo, exec_lo, s19
	s_cbranch_execz .LBB236_14
.LBB236_19:                             ;   Parent Loop BB236_12 Depth=1
                                        ;     Parent Loop BB236_16 Depth=2
                                        ; =>    This Inner Loop Header: Depth=3
	s_mov_b32 s21, 0
	s_mov_b32 s22, exec_lo
	v_cmpx_ne_u32_e64 s33, v32
	s_xor_b32 s22, exec_lo, s22
	s_cbranch_execz .LBB236_21
; %bb.20:                               ;   in Loop: Header=BB236_19 Depth=3
	v_add_nc_u32_e32 v1, 1, v1
	s_mov_b32 s21, exec_lo
                                        ; implicit-def: $vgpr31
	s_delay_alu instid0(VALU_DEP_1)
	v_and_b32_e32 v1, 0x7fff, v1
	s_and_not1_saveexec_b32 s22, s22
	s_cbranch_execz .LBB236_23
	s_branch .LBB236_22
.LBB236_21:                             ;   in Loop: Header=BB236_19 Depth=3
	s_and_not1_saveexec_b32 s22, s22
	s_cbranch_execz .LBB236_23
.LBB236_22:                             ;   in Loop: Header=BB236_19 Depth=3
	v_mov_b32_e32 v32, s33
	s_and_not1_b32 s21, s21, exec_lo
	ds_cmpstore_rtn_b32 v31, v31, v30, v32
	s_wait_dscnt 0x0
	v_cmp_ne_u32_e32 vcc_lo, s33, v31
	s_and_b32 s23, vcc_lo, exec_lo
	s_delay_alu instid0(SALU_CYCLE_1)
	s_or_b32 s21, s21, s23
.LBB236_23:                             ;   in Loop: Header=BB236_19 Depth=3
	s_or_b32 exec_lo, exec_lo, s22
	s_mov_b32 s22, -1
                                        ; implicit-def: $vgpr31
                                        ; implicit-def: $vgpr32
	s_and_saveexec_b32 s23, s21
	s_cbranch_execz .LBB236_18
; %bb.24:                               ;   in Loop: Header=BB236_19 Depth=3
	v_lshl_add_u32 v31, v1, 2, 0
	ds_load_b32 v32, v31
	s_wait_dscnt 0x0
	v_cmp_eq_u32_e32 vcc_lo, v32, v30
	s_or_not1_b32 s22, vcc_lo, exec_lo
	s_branch .LBB236_18
.LBB236_25:
	s_or_b32 exec_lo, exec_lo, s4
.LBB236_26:
	s_delay_alu instid0(SALU_CYCLE_1)
	s_and_not1_b32 vcc_lo, exec_lo, s20
	s_cbranch_vccnz .LBB236_29
; %bb.27:
	s_wait_kmcnt 0x0
	s_ashr_i32 s49, s48, 31
	v_mov_b32_e32 v1, 0
	s_lshl_b64 s[0:1], s[48:49], 3
	s_delay_alu instid0(SALU_CYCLE_1) | instskip(SKIP_4) | instid1(SALU_CYCLE_1)
	s_add_nc_u64 s[0:1], s[36:37], s[0:1]
	s_load_b128 s[4:7], s[0:1], 0x0
	s_wait_xcnt 0x0
	s_mov_b32 s1, 0
	s_mov_b32 s0, s47
	v_sub_nc_u64_e64 v[2:3], v[0:1], s[0:1]
	s_wait_kmcnt 0x0
	s_delay_alu instid0(VALU_DEP_1) | instskip(SKIP_2) | instid1(VALU_DEP_1)
	v_add_nc_u64_e32 v[10:11], s[4:5], v[2:3]
	s_sub_nc_u64 s[2:3], s[6:7], s[0:1]
	s_mov_b32 s0, exec_lo
	v_cmpx_gt_i64_e64 s[2:3], v[10:11]
	s_cbranch_execnz .LBB236_99
.LBB236_28:
	s_or_b32 exec_lo, exec_lo, s0
.LBB236_29:
	v_lshrrev_b32_e32 v1, 3, v0
	v_xor_b32_e32 v2, 31, v28
	s_wait_xcnt 0x0
	v_cmp_lt_u32_e64 s0, 31, v0
	v_cmp_lt_u32_e64 s1, 63, v0
	;; [unrolled: 1-line block ×3, first 2 shown]
	v_and_b32_e32 v3, 0x7c, v1
	v_mov_b32_e32 v1, 0
	v_lshrrev_b32_e64 v2, v2, -1
	v_cmp_lt_u32_e64 s3, 0x7f, v0
	v_cmp_lt_u32_e64 s4, 0x9f, v0
	v_add3_u32 v3, 0xa0000, 0, v3
	v_cmp_lt_u32_e64 s5, 0xbf, v0
	v_cmp_lt_u32_e64 s6, 0xdf, v0
	;; [unrolled: 1-line block ×26, first 2 shown]
	v_add3_u32 v4, v29, 0, 0x20000
	s_mov_b32 s36, 0
	s_add_co_i32 s37, 0, 0xa0000
	s_add_co_i32 s38, 0, 0xa0004
	;; [unrolled: 1-line block ×32, first 2 shown]
	s_wait_dscnt 0x0
	s_barrier_signal -1
	s_barrier_wait -1
	v_cmp_eq_u32_e32 vcc_lo, 0x3ff, v0
	s_branch .LBB236_31
.LBB236_30:                             ;   in Loop: Header=BB236_31 Depth=1
	s_or_b32 exec_lo, exec_lo, s31
	v_dual_mov_b32 v5, s72 :: v_dual_add_nc_u32 v26, 0x400, v26
	s_wait_dscnt 0x0
	s_barrier_signal -1
	s_barrier_wait -1
	ds_load_b32 v5, v5
	v_cmp_lt_u32_e64 s31, 0x7bff, v26
	v_add_nc_u32_e32 v4, 0x4000, v4
	v_add_nc_u32_e32 v27, 0x1000, v27
	s_or_b32 s36, s31, s36
	s_wait_dscnt 0x0
	v_add_nc_u32_e32 v1, v5, v1
	s_and_not1_b32 exec_lo, exec_lo, s36
	s_cbranch_execz .LBB236_108
.LBB236_31:                             ; =>This Inner Loop Header: Depth=1
	ds_load_b32 v5, v27
	ds_load_2addr_b64 v[6:9], v4 offset1:1
	s_wait_dscnt 0x1
	v_cmp_gt_i32_e64 s31, s33, v5
	s_wait_dscnt 0x0
	scratch_store_b128 off, v[6:9], off
	s_wait_storecnt 0x0
	s_barrier_signal -1
	s_barrier_wait -1
	s_bcnt1_i32_b32 s73, s31
	s_wait_xcnt 0x0
	v_dual_mov_b32 v7, s73 :: v_dual_bitop2_b32 v6, s31, v2 bitop3:0x40
	s_delay_alu instid0(VALU_DEP_1)
	v_bcnt_u32_b32 v6, v6, 0
	ds_store_b32 v3, v7
	s_wait_dscnt 0x0
	s_barrier_signal -1
	s_barrier_wait -1
	s_and_saveexec_b32 s73, s0
	s_cbranch_execz .LBB236_64
; %bb.32:                               ;   in Loop: Header=BB236_31 Depth=1
	v_mov_b32_e32 v7, s37
	ds_load_b32 v7, v7
	s_wait_dscnt 0x0
	v_add_nc_u32_e32 v6, v7, v6
	s_or_b32 exec_lo, exec_lo, s73
	s_and_saveexec_b32 s73, s1
	s_cbranch_execnz .LBB236_65
.LBB236_33:                             ;   in Loop: Header=BB236_31 Depth=1
	s_or_b32 exec_lo, exec_lo, s73
	s_and_saveexec_b32 s73, s2
	s_cbranch_execz .LBB236_66
.LBB236_34:                             ;   in Loop: Header=BB236_31 Depth=1
	v_mov_b32_e32 v7, s39
	ds_load_b32 v7, v7
	s_wait_dscnt 0x0
	v_add_nc_u32_e32 v6, v7, v6
	s_or_b32 exec_lo, exec_lo, s73
	s_and_saveexec_b32 s73, s3
	s_cbranch_execnz .LBB236_67
.LBB236_35:                             ;   in Loop: Header=BB236_31 Depth=1
	s_or_b32 exec_lo, exec_lo, s73
	s_and_saveexec_b32 s73, s4
	s_cbranch_execz .LBB236_68
.LBB236_36:                             ;   in Loop: Header=BB236_31 Depth=1
	v_mov_b32_e32 v7, s41
	ds_load_b32 v7, v7
	s_wait_dscnt 0x0
	v_add_nc_u32_e32 v6, v7, v6
	s_or_b32 exec_lo, exec_lo, s73
	s_and_saveexec_b32 s73, s5
	s_cbranch_execnz .LBB236_69
.LBB236_37:                             ;   in Loop: Header=BB236_31 Depth=1
	s_or_b32 exec_lo, exec_lo, s73
	s_and_saveexec_b32 s73, s6
	s_cbranch_execz .LBB236_70
.LBB236_38:                             ;   in Loop: Header=BB236_31 Depth=1
	v_mov_b32_e32 v7, s45
	ds_load_b32 v7, v7
	s_wait_dscnt 0x0
	v_add_nc_u32_e32 v6, v7, v6
	s_or_b32 exec_lo, exec_lo, s73
	s_and_saveexec_b32 s73, s7
	s_cbranch_execnz .LBB236_71
.LBB236_39:                             ;   in Loop: Header=BB236_31 Depth=1
	s_or_b32 exec_lo, exec_lo, s73
	s_and_saveexec_b32 s73, s8
	s_cbranch_execz .LBB236_72
.LBB236_40:                             ;   in Loop: Header=BB236_31 Depth=1
	v_mov_b32_e32 v7, s49
	ds_load_b32 v7, v7
	s_wait_dscnt 0x0
	v_add_nc_u32_e32 v6, v7, v6
	s_or_b32 exec_lo, exec_lo, s73
	s_and_saveexec_b32 s73, s9
	s_cbranch_execnz .LBB236_73
.LBB236_41:                             ;   in Loop: Header=BB236_31 Depth=1
	s_or_b32 exec_lo, exec_lo, s73
	s_and_saveexec_b32 s73, s10
	s_cbranch_execz .LBB236_74
.LBB236_42:                             ;   in Loop: Header=BB236_31 Depth=1
	v_mov_b32_e32 v7, s51
	ds_load_b32 v7, v7
	s_wait_dscnt 0x0
	v_add_nc_u32_e32 v6, v7, v6
	s_or_b32 exec_lo, exec_lo, s73
	s_and_saveexec_b32 s73, s11
	s_cbranch_execnz .LBB236_75
.LBB236_43:                             ;   in Loop: Header=BB236_31 Depth=1
	s_or_b32 exec_lo, exec_lo, s73
	s_and_saveexec_b32 s73, s12
	s_cbranch_execz .LBB236_76
.LBB236_44:                             ;   in Loop: Header=BB236_31 Depth=1
	v_mov_b32_e32 v7, s53
	ds_load_b32 v7, v7
	s_wait_dscnt 0x0
	v_add_nc_u32_e32 v6, v7, v6
	s_or_b32 exec_lo, exec_lo, s73
	s_and_saveexec_b32 s73, s13
	s_cbranch_execnz .LBB236_77
.LBB236_45:                             ;   in Loop: Header=BB236_31 Depth=1
	s_or_b32 exec_lo, exec_lo, s73
	s_and_saveexec_b32 s73, s14
	s_cbranch_execz .LBB236_78
.LBB236_46:                             ;   in Loop: Header=BB236_31 Depth=1
	v_mov_b32_e32 v7, s55
	ds_load_b32 v7, v7
	s_wait_dscnt 0x0
	v_add_nc_u32_e32 v6, v7, v6
	s_or_b32 exec_lo, exec_lo, s73
	s_and_saveexec_b32 s73, s15
	s_cbranch_execnz .LBB236_79
.LBB236_47:                             ;   in Loop: Header=BB236_31 Depth=1
	s_or_b32 exec_lo, exec_lo, s73
	s_and_saveexec_b32 s73, s16
	s_cbranch_execz .LBB236_80
.LBB236_48:                             ;   in Loop: Header=BB236_31 Depth=1
	v_mov_b32_e32 v7, s57
	ds_load_b32 v7, v7
	s_wait_dscnt 0x0
	v_add_nc_u32_e32 v6, v7, v6
	s_or_b32 exec_lo, exec_lo, s73
	s_and_saveexec_b32 s73, s17
	s_cbranch_execnz .LBB236_81
.LBB236_49:                             ;   in Loop: Header=BB236_31 Depth=1
	s_or_b32 exec_lo, exec_lo, s73
	s_and_saveexec_b32 s73, s18
	s_cbranch_execz .LBB236_82
.LBB236_50:                             ;   in Loop: Header=BB236_31 Depth=1
	v_mov_b32_e32 v7, s59
	ds_load_b32 v7, v7
	s_wait_dscnt 0x0
	v_add_nc_u32_e32 v6, v7, v6
	s_or_b32 exec_lo, exec_lo, s73
	s_and_saveexec_b32 s73, s19
	s_cbranch_execnz .LBB236_83
.LBB236_51:                             ;   in Loop: Header=BB236_31 Depth=1
	s_or_b32 exec_lo, exec_lo, s73
	s_and_saveexec_b32 s73, s20
	s_cbranch_execz .LBB236_84
.LBB236_52:                             ;   in Loop: Header=BB236_31 Depth=1
	v_mov_b32_e32 v7, s61
	ds_load_b32 v7, v7
	s_wait_dscnt 0x0
	v_add_nc_u32_e32 v6, v7, v6
	s_or_b32 exec_lo, exec_lo, s73
	s_and_saveexec_b32 s73, s21
	s_cbranch_execnz .LBB236_85
.LBB236_53:                             ;   in Loop: Header=BB236_31 Depth=1
	s_or_b32 exec_lo, exec_lo, s73
	s_and_saveexec_b32 s73, s22
	s_cbranch_execz .LBB236_86
.LBB236_54:                             ;   in Loop: Header=BB236_31 Depth=1
	v_mov_b32_e32 v7, s63
	ds_load_b32 v7, v7
	s_wait_dscnt 0x0
	v_add_nc_u32_e32 v6, v7, v6
	s_or_b32 exec_lo, exec_lo, s73
	s_and_saveexec_b32 s73, s23
	s_cbranch_execnz .LBB236_87
.LBB236_55:                             ;   in Loop: Header=BB236_31 Depth=1
	s_or_b32 exec_lo, exec_lo, s73
	s_and_saveexec_b32 s73, s24
	s_cbranch_execz .LBB236_88
.LBB236_56:                             ;   in Loop: Header=BB236_31 Depth=1
	v_mov_b32_e32 v7, s65
	ds_load_b32 v7, v7
	s_wait_dscnt 0x0
	v_add_nc_u32_e32 v6, v7, v6
	s_or_b32 exec_lo, exec_lo, s73
	s_and_saveexec_b32 s73, s25
	s_cbranch_execnz .LBB236_89
.LBB236_57:                             ;   in Loop: Header=BB236_31 Depth=1
	s_or_b32 exec_lo, exec_lo, s73
	s_and_saveexec_b32 s73, s26
	s_cbranch_execz .LBB236_90
.LBB236_58:                             ;   in Loop: Header=BB236_31 Depth=1
	v_mov_b32_e32 v7, s67
	ds_load_b32 v7, v7
	s_wait_dscnt 0x0
	v_add_nc_u32_e32 v6, v7, v6
	s_or_b32 exec_lo, exec_lo, s73
	s_and_saveexec_b32 s73, s27
	s_cbranch_execnz .LBB236_91
.LBB236_59:                             ;   in Loop: Header=BB236_31 Depth=1
	s_or_b32 exec_lo, exec_lo, s73
	s_and_saveexec_b32 s73, s28
	s_cbranch_execz .LBB236_92
.LBB236_60:                             ;   in Loop: Header=BB236_31 Depth=1
	v_mov_b32_e32 v7, s69
	ds_load_b32 v7, v7
	s_wait_dscnt 0x0
	v_add_nc_u32_e32 v6, v7, v6
	s_or_b32 exec_lo, exec_lo, s73
	s_and_saveexec_b32 s73, s29
	s_cbranch_execnz .LBB236_93
.LBB236_61:                             ;   in Loop: Header=BB236_31 Depth=1
	s_or_b32 exec_lo, exec_lo, s73
	s_and_saveexec_b32 s73, s30
	s_cbranch_execz .LBB236_94
.LBB236_62:                             ;   in Loop: Header=BB236_31 Depth=1
	v_mov_b32_e32 v7, s71
	ds_load_b32 v7, v7
	s_wait_dscnt 0x0
	v_add_nc_u32_e32 v6, v7, v6
	s_or_b32 exec_lo, exec_lo, s73
	s_and_saveexec_b32 s73, s31
	s_cbranch_execnz .LBB236_95
.LBB236_63:                             ;   in Loop: Header=BB236_31 Depth=1
	s_or_b32 exec_lo, exec_lo, s73
	s_and_saveexec_b32 s31, vcc_lo
	s_cbranch_execz .LBB236_30
	s_branch .LBB236_96
.LBB236_64:                             ;   in Loop: Header=BB236_31 Depth=1
	s_or_b32 exec_lo, exec_lo, s73
	s_and_saveexec_b32 s73, s1
	s_cbranch_execz .LBB236_33
.LBB236_65:                             ;   in Loop: Header=BB236_31 Depth=1
	v_mov_b32_e32 v7, s38
	ds_load_b32 v7, v7
	s_wait_dscnt 0x0
	v_add_nc_u32_e32 v6, v7, v6
	s_or_b32 exec_lo, exec_lo, s73
	s_and_saveexec_b32 s73, s2
	s_cbranch_execnz .LBB236_34
.LBB236_66:                             ;   in Loop: Header=BB236_31 Depth=1
	s_or_b32 exec_lo, exec_lo, s73
	s_and_saveexec_b32 s73, s3
	s_cbranch_execz .LBB236_35
.LBB236_67:                             ;   in Loop: Header=BB236_31 Depth=1
	v_mov_b32_e32 v7, s40
	ds_load_b32 v7, v7
	s_wait_dscnt 0x0
	v_add_nc_u32_e32 v6, v7, v6
	s_or_b32 exec_lo, exec_lo, s73
	s_and_saveexec_b32 s73, s4
	s_cbranch_execnz .LBB236_36
.LBB236_68:                             ;   in Loop: Header=BB236_31 Depth=1
	s_or_b32 exec_lo, exec_lo, s73
	s_and_saveexec_b32 s73, s5
	s_cbranch_execz .LBB236_37
.LBB236_69:                             ;   in Loop: Header=BB236_31 Depth=1
	v_mov_b32_e32 v7, s44
	ds_load_b32 v7, v7
	s_wait_dscnt 0x0
	v_add_nc_u32_e32 v6, v7, v6
	s_or_b32 exec_lo, exec_lo, s73
	s_and_saveexec_b32 s73, s6
	s_cbranch_execnz .LBB236_38
.LBB236_70:                             ;   in Loop: Header=BB236_31 Depth=1
	s_or_b32 exec_lo, exec_lo, s73
	s_and_saveexec_b32 s73, s7
	s_cbranch_execz .LBB236_39
.LBB236_71:                             ;   in Loop: Header=BB236_31 Depth=1
	v_mov_b32_e32 v7, s47
	ds_load_b32 v7, v7
	s_wait_dscnt 0x0
	v_add_nc_u32_e32 v6, v7, v6
	s_or_b32 exec_lo, exec_lo, s73
	s_and_saveexec_b32 s73, s8
	s_cbranch_execnz .LBB236_40
.LBB236_72:                             ;   in Loop: Header=BB236_31 Depth=1
	s_or_b32 exec_lo, exec_lo, s73
	s_and_saveexec_b32 s73, s9
	s_cbranch_execz .LBB236_41
.LBB236_73:                             ;   in Loop: Header=BB236_31 Depth=1
	v_mov_b32_e32 v7, s50
	ds_load_b32 v7, v7
	s_wait_dscnt 0x0
	v_add_nc_u32_e32 v6, v7, v6
	s_or_b32 exec_lo, exec_lo, s73
	s_and_saveexec_b32 s73, s10
	s_cbranch_execnz .LBB236_42
.LBB236_74:                             ;   in Loop: Header=BB236_31 Depth=1
	s_or_b32 exec_lo, exec_lo, s73
	s_and_saveexec_b32 s73, s11
	s_cbranch_execz .LBB236_43
.LBB236_75:                             ;   in Loop: Header=BB236_31 Depth=1
	v_mov_b32_e32 v7, s52
	ds_load_b32 v7, v7
	s_wait_dscnt 0x0
	v_add_nc_u32_e32 v6, v7, v6
	s_or_b32 exec_lo, exec_lo, s73
	s_and_saveexec_b32 s73, s12
	s_cbranch_execnz .LBB236_44
.LBB236_76:                             ;   in Loop: Header=BB236_31 Depth=1
	s_or_b32 exec_lo, exec_lo, s73
	s_and_saveexec_b32 s73, s13
	s_cbranch_execz .LBB236_45
.LBB236_77:                             ;   in Loop: Header=BB236_31 Depth=1
	v_mov_b32_e32 v7, s54
	ds_load_b32 v7, v7
	s_wait_dscnt 0x0
	v_add_nc_u32_e32 v6, v7, v6
	s_or_b32 exec_lo, exec_lo, s73
	s_and_saveexec_b32 s73, s14
	s_cbranch_execnz .LBB236_46
.LBB236_78:                             ;   in Loop: Header=BB236_31 Depth=1
	s_or_b32 exec_lo, exec_lo, s73
	s_and_saveexec_b32 s73, s15
	s_cbranch_execz .LBB236_47
.LBB236_79:                             ;   in Loop: Header=BB236_31 Depth=1
	v_mov_b32_e32 v7, s56
	ds_load_b32 v7, v7
	s_wait_dscnt 0x0
	v_add_nc_u32_e32 v6, v7, v6
	s_or_b32 exec_lo, exec_lo, s73
	s_and_saveexec_b32 s73, s16
	s_cbranch_execnz .LBB236_48
.LBB236_80:                             ;   in Loop: Header=BB236_31 Depth=1
	s_or_b32 exec_lo, exec_lo, s73
	s_and_saveexec_b32 s73, s17
	s_cbranch_execz .LBB236_49
.LBB236_81:                             ;   in Loop: Header=BB236_31 Depth=1
	v_mov_b32_e32 v7, s58
	ds_load_b32 v7, v7
	s_wait_dscnt 0x0
	v_add_nc_u32_e32 v6, v7, v6
	s_or_b32 exec_lo, exec_lo, s73
	s_and_saveexec_b32 s73, s18
	s_cbranch_execnz .LBB236_50
.LBB236_82:                             ;   in Loop: Header=BB236_31 Depth=1
	s_or_b32 exec_lo, exec_lo, s73
	s_and_saveexec_b32 s73, s19
	s_cbranch_execz .LBB236_51
.LBB236_83:                             ;   in Loop: Header=BB236_31 Depth=1
	v_mov_b32_e32 v7, s60
	ds_load_b32 v7, v7
	s_wait_dscnt 0x0
	v_add_nc_u32_e32 v6, v7, v6
	s_or_b32 exec_lo, exec_lo, s73
	s_and_saveexec_b32 s73, s20
	s_cbranch_execnz .LBB236_52
.LBB236_84:                             ;   in Loop: Header=BB236_31 Depth=1
	s_or_b32 exec_lo, exec_lo, s73
	s_and_saveexec_b32 s73, s21
	s_cbranch_execz .LBB236_53
.LBB236_85:                             ;   in Loop: Header=BB236_31 Depth=1
	v_mov_b32_e32 v7, s62
	ds_load_b32 v7, v7
	s_wait_dscnt 0x0
	v_add_nc_u32_e32 v6, v7, v6
	s_or_b32 exec_lo, exec_lo, s73
	s_and_saveexec_b32 s73, s22
	s_cbranch_execnz .LBB236_54
.LBB236_86:                             ;   in Loop: Header=BB236_31 Depth=1
	s_or_b32 exec_lo, exec_lo, s73
	s_and_saveexec_b32 s73, s23
	s_cbranch_execz .LBB236_55
.LBB236_87:                             ;   in Loop: Header=BB236_31 Depth=1
	v_mov_b32_e32 v7, s64
	ds_load_b32 v7, v7
	s_wait_dscnt 0x0
	v_add_nc_u32_e32 v6, v7, v6
	s_or_b32 exec_lo, exec_lo, s73
	s_and_saveexec_b32 s73, s24
	s_cbranch_execnz .LBB236_56
.LBB236_88:                             ;   in Loop: Header=BB236_31 Depth=1
	s_or_b32 exec_lo, exec_lo, s73
	s_and_saveexec_b32 s73, s25
	s_cbranch_execz .LBB236_57
.LBB236_89:                             ;   in Loop: Header=BB236_31 Depth=1
	v_mov_b32_e32 v7, s66
	ds_load_b32 v7, v7
	s_wait_dscnt 0x0
	v_add_nc_u32_e32 v6, v7, v6
	s_or_b32 exec_lo, exec_lo, s73
	s_and_saveexec_b32 s73, s26
	s_cbranch_execnz .LBB236_58
.LBB236_90:                             ;   in Loop: Header=BB236_31 Depth=1
	s_or_b32 exec_lo, exec_lo, s73
	s_and_saveexec_b32 s73, s27
	s_cbranch_execz .LBB236_59
.LBB236_91:                             ;   in Loop: Header=BB236_31 Depth=1
	v_mov_b32_e32 v7, s68
	ds_load_b32 v7, v7
	s_wait_dscnt 0x0
	v_add_nc_u32_e32 v6, v7, v6
	s_or_b32 exec_lo, exec_lo, s73
	s_and_saveexec_b32 s73, s28
	s_cbranch_execnz .LBB236_60
.LBB236_92:                             ;   in Loop: Header=BB236_31 Depth=1
	s_or_b32 exec_lo, exec_lo, s73
	s_and_saveexec_b32 s73, s29
	s_cbranch_execz .LBB236_61
.LBB236_93:                             ;   in Loop: Header=BB236_31 Depth=1
	v_mov_b32_e32 v7, s70
	ds_load_b32 v7, v7
	s_wait_dscnt 0x0
	v_add_nc_u32_e32 v6, v7, v6
	s_or_b32 exec_lo, exec_lo, s73
	s_and_saveexec_b32 s73, s30
	s_cbranch_execnz .LBB236_62
.LBB236_94:                             ;   in Loop: Header=BB236_31 Depth=1
	s_or_b32 exec_lo, exec_lo, s73
	s_and_saveexec_b32 s73, s31
	s_cbranch_execz .LBB236_63
.LBB236_95:                             ;   in Loop: Header=BB236_31 Depth=1
	scratch_load_b128 v[8:11], off, off
	v_add3_u32 v7, v1, -1, v6
	s_delay_alu instid0(VALU_DEP_1) | instskip(SKIP_1) | instid1(VALU_DEP_2)
	v_lshlrev_b32_e32 v12, 4, v7
	v_lshl_add_u32 v7, v7, 2, 0
	v_add3_u32 v12, 0, v12, 0x20000
	ds_store_b32 v7, v5
	s_wait_loadcnt 0x0
	ds_store_2addr_b64 v12, v[8:9], v[10:11] offset1:1
	s_or_b32 exec_lo, exec_lo, s73
	s_and_saveexec_b32 s31, vcc_lo
	s_cbranch_execz .LBB236_30
.LBB236_96:                             ;   in Loop: Header=BB236_31 Depth=1
	v_mov_b32_e32 v5, s72
	ds_store_b32 v5, v6
	s_branch .LBB236_30
.LBB236_97:                             ;   in Loop: Header=BB236_99 Depth=1
	s_or_b32 exec_lo, exec_lo, s5
.LBB236_98:                             ;   in Loop: Header=BB236_99 Depth=1
	s_delay_alu instid0(SALU_CYCLE_1) | instskip(SKIP_4) | instid1(VALU_DEP_3)
	s_or_b32 exec_lo, exec_lo, s4
	s_wait_loadcnt 0x0
	v_dual_mul_f64 v[12:13], v[4:5], -v[6:7] :: v_dual_lshlrev_b32 v1, 4, v1
	v_mul_f64_e32 v[4:5], v[8:9], v[4:5]
	v_add_nc_u64_e32 v[10:11], 0x400, v[10:11]
	v_add3_u32 v1, 0, v1, 0x20000
	s_delay_alu instid0(VALU_DEP_2)
	v_cmp_le_i64_e32 vcc_lo, s[2:3], v[10:11]
	s_or_b32 s1, vcc_lo, s1
	v_fmac_f64_e32 v[12:13], v[8:9], v[2:3]
	v_fmac_f64_e32 v[4:5], v[6:7], v[2:3]
	ds_add_f64 v1, v[12:13]
	ds_add_f64 v1, v[4:5] offset:8
	s_and_not1_b32 exec_lo, exec_lo, s1
	s_cbranch_execz .LBB236_28
.LBB236_99:                             ; =>This Loop Header: Depth=1
                                        ;     Child Loop BB236_102 Depth 2
	v_lshl_add_u64 v[2:3], v[10:11], 2, s[38:39]
	s_mov_b32 s4, exec_lo
	global_load_b32 v1, v[2:3], off
	s_wait_xcnt 0x0
	v_lshl_add_u64 v[2:3], v[10:11], 4, s[40:41]
	global_load_b128 v[2:5], v[2:3], off
	s_wait_loadcnt 0x1
	v_subrev_nc_u32_e32 v12, s47, v1
	s_delay_alu instid0(VALU_DEP_1) | instskip(NEXT) | instid1(VALU_DEP_1)
	v_mul_lo_u32 v1, 0x89, v12
	v_and_b32_e32 v1, 0x7fff, v1
	s_delay_alu instid0(VALU_DEP_1)
	v_lshl_add_u32 v13, v1, 2, 0
	ds_load_b32 v14, v13
	s_wait_dscnt 0x0
	s_wait_xcnt 0x0
	v_cmpx_ne_u32_e64 v14, v12
	s_cbranch_execz .LBB236_98
; %bb.100:                              ;   in Loop: Header=BB236_99 Depth=1
	s_mov_b32 s5, 0
	s_branch .LBB236_102
.LBB236_101:                            ;   in Loop: Header=BB236_102 Depth=2
	s_or_b32 exec_lo, exec_lo, s8
	s_delay_alu instid0(SALU_CYCLE_1) | instskip(NEXT) | instid1(SALU_CYCLE_1)
	s_and_b32 s6, exec_lo, s7
	s_or_b32 s5, s6, s5
	s_delay_alu instid0(SALU_CYCLE_1)
	s_and_not1_b32 exec_lo, exec_lo, s5
	s_cbranch_execz .LBB236_97
.LBB236_102:                            ;   Parent Loop BB236_99 Depth=1
                                        ; =>  This Inner Loop Header: Depth=2
	s_mov_b32 s6, 0
	s_mov_b32 s7, exec_lo
	v_cmpx_ne_u32_e64 s33, v14
	s_xor_b32 s7, exec_lo, s7
	s_cbranch_execz .LBB236_104
; %bb.103:                              ;   in Loop: Header=BB236_102 Depth=2
	v_add_nc_u32_e32 v1, 1, v1
	s_mov_b32 s6, exec_lo
                                        ; implicit-def: $vgpr13
	s_delay_alu instid0(VALU_DEP_1)
	v_and_b32_e32 v1, 0x7fff, v1
	s_and_not1_saveexec_b32 s7, s7
	s_cbranch_execz .LBB236_106
	s_branch .LBB236_105
.LBB236_104:                            ;   in Loop: Header=BB236_102 Depth=2
	s_and_not1_saveexec_b32 s7, s7
	s_cbranch_execz .LBB236_106
.LBB236_105:                            ;   in Loop: Header=BB236_102 Depth=2
	v_mov_b32_e32 v14, s33
	s_and_not1_b32 s6, s6, exec_lo
	ds_cmpstore_rtn_b32 v13, v13, v12, v14
	s_wait_dscnt 0x0
	v_cmp_ne_u32_e32 vcc_lo, s33, v13
	s_and_b32 s8, vcc_lo, exec_lo
	s_delay_alu instid0(SALU_CYCLE_1)
	s_or_b32 s6, s6, s8
.LBB236_106:                            ;   in Loop: Header=BB236_102 Depth=2
	s_or_b32 exec_lo, exec_lo, s7
	s_mov_b32 s7, -1
                                        ; implicit-def: $vgpr13
                                        ; implicit-def: $vgpr14
	s_and_saveexec_b32 s8, s6
	s_cbranch_execz .LBB236_101
; %bb.107:                              ;   in Loop: Header=BB236_102 Depth=2
	v_lshl_add_u32 v13, v1, 2, 0
	ds_load_b32 v14, v13
	s_wait_dscnt 0x0
	v_cmp_eq_u32_e32 vcc_lo, v14, v12
	s_or_not1_b32 s7, vcc_lo, exec_lo
	s_branch .LBB236_101
.LBB236_108:
	s_or_b32 exec_lo, exec_lo, s36
	s_wait_kmcnt 0x0
	s_ashr_i32 s49, s48, 31
	s_delay_alu instid0(SALU_CYCLE_1) | instskip(NEXT) | instid1(SALU_CYCLE_1)
	s_lshl_b64 s[0:1], s[48:49], 3
	s_add_nc_u64 s[4:5], s[42:43], s[0:1]
	s_load_b128 s[0:3], s[4:5], 0x0
	s_wait_xcnt 0x0
	s_mov_b32 s4, exec_lo
	s_wait_kmcnt 0x0
	s_sub_co_i32 s3, s2, s0
	s_delay_alu instid0(SALU_CYCLE_1)
	v_cmpx_gt_i32_e64 s3, v0
	s_cbranch_execz .LBB236_118
; %bb.109:
	s_sub_co_i32 s4, s0, s2
	s_and_b32 s2, s3, 7
	s_cmp_lt_u32 s4, -7
	s_mov_b32 s47, 0
	s_cselect_b32 s4, -1, 0
	s_and_b32 s5, s3, -8
	s_cmp_lg_u32 s2, 0
	s_sub_nc_u64 s[0:1], s[0:1], s[46:47]
	s_cselect_b32 s6, -1, 0
	s_mov_b32 s7, 0
	s_branch .LBB236_111
.LBB236_110:                            ;   in Loop: Header=BB236_111 Depth=1
	s_wait_dscnt 0x0
	v_lshlrev_b32_e32 v1, 4, v0
	v_add_nc_u32_e32 v0, 0x400, v0
	s_delay_alu instid0(VALU_DEP_3) | instskip(NEXT) | instid1(VALU_DEP_3)
	v_lshl_add_u64 v[2:3], v[2:3], 4, s[34:35]
	v_add3_u32 v1, 0, v1, 0x20000
	s_delay_alu instid0(VALU_DEP_3)
	v_cmp_le_i32_e32 vcc_lo, s3, v0
	ds_load_2addr_b64 v[4:7], v1 offset1:1
	s_or_b32 s7, vcc_lo, s7
	s_wait_dscnt 0x0
	global_store_b128 v[2:3], v[4:7], off
	s_wait_xcnt 0x0
	s_and_not1_b32 exec_lo, exec_lo, s7
	s_cbranch_execz .LBB236_118
.LBB236_111:                            ; =>This Loop Header: Depth=1
                                        ;     Child Loop BB236_113 Depth 2
                                        ;     Child Loop BB236_117 Depth 2
	v_lshl_add_u32 v1, v0, 2, 0
	v_mov_b64_e32 v[2:3], s[0:1]
	s_and_not1_b32 vcc_lo, exec_lo, s4
	s_mov_b32 s8, 0
	ds_load_b32 v1, v1
	s_cbranch_vccnz .LBB236_115
; %bb.112:                              ;   in Loop: Header=BB236_111 Depth=1
	v_mov_b64_e32 v[2:3], s[0:1]
	s_mov_b32 s9, 0
.LBB236_113:                            ;   Parent Loop BB236_111 Depth=1
                                        ; =>  This Inner Loop Header: Depth=2
	s_delay_alu instid0(SALU_CYCLE_1)
	v_dual_mov_b32 v8, s9 :: v_dual_mov_b32 v9, s47
	v_mov_b32_e32 v15, s47
	s_add_co_i32 s8, s8, 8
	s_add_co_i32 s9, s9, 32
	ds_load_2addr_b32 v[4:5], v8 offset1:1
	ds_load_2addr_b32 v[6:7], v8 offset0:2 offset1:3
	ds_load_2addr_b32 v[10:11], v8 offset0:4 offset1:5
	;; [unrolled: 1-line block ×3, first 2 shown]
	s_cmp_eq_u32 s5, s8
	s_wait_dscnt 0x3
	v_cmp_gt_i32_e32 vcc_lo, v1, v4
	v_cndmask_b32_e64 v8, 0, 1, vcc_lo
	v_cmp_gt_i32_e32 vcc_lo, v1, v5
	v_mov_b32_e32 v5, s47
	s_delay_alu instid0(VALU_DEP_3) | instskip(SKIP_4) | instid1(VALU_DEP_3)
	v_add_nc_u64_e32 v[2:3], v[2:3], v[8:9]
	v_cndmask_b32_e64 v14, 0, 1, vcc_lo
	s_wait_dscnt 0x2
	v_cmp_gt_i32_e32 vcc_lo, v1, v6
	v_cndmask_b32_e64 v4, 0, 1, vcc_lo
	v_add_nc_u64_e32 v[2:3], v[2:3], v[14:15]
	v_cmp_gt_i32_e32 vcc_lo, v1, v7
	v_mov_b32_e32 v7, s47
	v_cndmask_b32_e64 v8, 0, 1, vcc_lo
	s_delay_alu instid0(VALU_DEP_4) | instskip(SKIP_3) | instid1(VALU_DEP_3)
	v_add_nc_u64_e32 v[2:3], v[2:3], v[4:5]
	s_wait_dscnt 0x1
	v_cmp_gt_i32_e32 vcc_lo, v1, v10
	v_cndmask_b32_e64 v4, 0, 1, vcc_lo
	v_add_nc_u64_e32 v[2:3], v[2:3], v[8:9]
	v_cmp_gt_i32_e32 vcc_lo, v1, v11
	v_cndmask_b32_e64 v6, 0, 1, vcc_lo
	s_delay_alu instid0(VALU_DEP_3) | instskip(SKIP_3) | instid1(VALU_DEP_3)
	v_add_nc_u64_e32 v[2:3], v[2:3], v[4:5]
	s_wait_dscnt 0x0
	v_cmp_gt_i32_e32 vcc_lo, v1, v12
	v_cndmask_b32_e64 v4, 0, 1, vcc_lo
	v_add_nc_u64_e32 v[2:3], v[2:3], v[6:7]
	v_cmp_gt_i32_e32 vcc_lo, v1, v13
	v_cndmask_b32_e64 v6, 0, 1, vcc_lo
	s_delay_alu instid0(VALU_DEP_3) | instskip(NEXT) | instid1(VALU_DEP_1)
	v_add_nc_u64_e32 v[2:3], v[2:3], v[4:5]
	v_add_nc_u64_e32 v[2:3], v[2:3], v[6:7]
	s_cbranch_scc0 .LBB236_113
; %bb.114:                              ;   in Loop: Header=BB236_111 Depth=1
	s_mov_b32 s8, s5
.LBB236_115:                            ;   in Loop: Header=BB236_111 Depth=1
	s_and_not1_b32 vcc_lo, exec_lo, s6
	s_cbranch_vccnz .LBB236_110
; %bb.116:                              ;   in Loop: Header=BB236_111 Depth=1
	s_lshl_b32 s8, s8, 2
	s_mov_b32 s9, s2
	s_add_co_i32 s8, s8, 0
.LBB236_117:                            ;   Parent Loop BB236_111 Depth=1
                                        ; =>  This Inner Loop Header: Depth=2
	s_delay_alu instid0(SALU_CYCLE_1)
	v_dual_mov_b32 v4, s8 :: v_dual_mov_b32 v5, s47
	s_add_co_i32 s9, s9, -1
	s_add_co_i32 s8, s8, 4
	s_cmp_lg_u32 s9, 0
	ds_load_b32 v4, v4
	s_wait_dscnt 0x0
	v_cmp_gt_i32_e32 vcc_lo, v1, v4
	v_cndmask_b32_e64 v4, 0, 1, vcc_lo
	s_delay_alu instid0(VALU_DEP_1)
	v_add_nc_u64_e32 v[2:3], v[2:3], v[4:5]
	s_cbranch_scc1 .LBB236_117
	s_branch .LBB236_110
.LBB236_118:
	s_endpgm
	.section	.rodata,"a",@progbits
	.p2align	6, 0x0
	.amdhsa_kernel _ZN9rocsparseL41csrgemm_numeric_fill_block_per_row_kernelILj1024ELj64ELj32768ELj137ELj32Eli21rocsparse_complex_numIdEEEvT5_PKS3_S5_NS_24const_host_device_scalarIT6_EEPKT4_S5_PKS7_SB_S5_SD_S8_SB_S5_SD_SB_S5_PS7_21rocsparse_index_base_SF_SF_SF_bbb
		.amdhsa_group_segment_fixed_size 0
		.amdhsa_private_segment_fixed_size 40
		.amdhsa_kernarg_size 172
		.amdhsa_user_sgpr_count 2
		.amdhsa_user_sgpr_dispatch_ptr 0
		.amdhsa_user_sgpr_queue_ptr 0
		.amdhsa_user_sgpr_kernarg_segment_ptr 1
		.amdhsa_user_sgpr_dispatch_id 0
		.amdhsa_user_sgpr_kernarg_preload_length 0
		.amdhsa_user_sgpr_kernarg_preload_offset 0
		.amdhsa_user_sgpr_private_segment_size 0
		.amdhsa_wavefront_size32 1
		.amdhsa_uses_dynamic_stack 0
		.amdhsa_enable_private_segment 1
		.amdhsa_system_sgpr_workgroup_id_x 1
		.amdhsa_system_sgpr_workgroup_id_y 0
		.amdhsa_system_sgpr_workgroup_id_z 0
		.amdhsa_system_sgpr_workgroup_info 0
		.amdhsa_system_vgpr_workitem_id 0
		.amdhsa_next_free_vgpr 33
		.amdhsa_next_free_sgpr 74
		.amdhsa_named_barrier_count 0
		.amdhsa_reserve_vcc 1
		.amdhsa_float_round_mode_32 0
		.amdhsa_float_round_mode_16_64 0
		.amdhsa_float_denorm_mode_32 3
		.amdhsa_float_denorm_mode_16_64 3
		.amdhsa_fp16_overflow 0
		.amdhsa_memory_ordered 1
		.amdhsa_forward_progress 1
		.amdhsa_inst_pref_size 38
		.amdhsa_round_robin_scheduling 0
		.amdhsa_exception_fp_ieee_invalid_op 0
		.amdhsa_exception_fp_denorm_src 0
		.amdhsa_exception_fp_ieee_div_zero 0
		.amdhsa_exception_fp_ieee_overflow 0
		.amdhsa_exception_fp_ieee_underflow 0
		.amdhsa_exception_fp_ieee_inexact 0
		.amdhsa_exception_int_div_zero 0
	.end_amdhsa_kernel
	.section	.text._ZN9rocsparseL41csrgemm_numeric_fill_block_per_row_kernelILj1024ELj64ELj32768ELj137ELj32Eli21rocsparse_complex_numIdEEEvT5_PKS3_S5_NS_24const_host_device_scalarIT6_EEPKT4_S5_PKS7_SB_S5_SD_S8_SB_S5_SD_SB_S5_PS7_21rocsparse_index_base_SF_SF_SF_bbb,"axG",@progbits,_ZN9rocsparseL41csrgemm_numeric_fill_block_per_row_kernelILj1024ELj64ELj32768ELj137ELj32Eli21rocsparse_complex_numIdEEEvT5_PKS3_S5_NS_24const_host_device_scalarIT6_EEPKT4_S5_PKS7_SB_S5_SD_S8_SB_S5_SD_SB_S5_PS7_21rocsparse_index_base_SF_SF_SF_bbb,comdat
.Lfunc_end236:
	.size	_ZN9rocsparseL41csrgemm_numeric_fill_block_per_row_kernelILj1024ELj64ELj32768ELj137ELj32Eli21rocsparse_complex_numIdEEEvT5_PKS3_S5_NS_24const_host_device_scalarIT6_EEPKT4_S5_PKS7_SB_S5_SD_S8_SB_S5_SD_SB_S5_PS7_21rocsparse_index_base_SF_SF_SF_bbb, .Lfunc_end236-_ZN9rocsparseL41csrgemm_numeric_fill_block_per_row_kernelILj1024ELj64ELj32768ELj137ELj32Eli21rocsparse_complex_numIdEEEvT5_PKS3_S5_NS_24const_host_device_scalarIT6_EEPKT4_S5_PKS7_SB_S5_SD_S8_SB_S5_SD_SB_S5_PS7_21rocsparse_index_base_SF_SF_SF_bbb
                                        ; -- End function
	.set _ZN9rocsparseL41csrgemm_numeric_fill_block_per_row_kernelILj1024ELj64ELj32768ELj137ELj32Eli21rocsparse_complex_numIdEEEvT5_PKS3_S5_NS_24const_host_device_scalarIT6_EEPKT4_S5_PKS7_SB_S5_SD_S8_SB_S5_SD_SB_S5_PS7_21rocsparse_index_base_SF_SF_SF_bbb.num_vgpr, 33
	.set _ZN9rocsparseL41csrgemm_numeric_fill_block_per_row_kernelILj1024ELj64ELj32768ELj137ELj32Eli21rocsparse_complex_numIdEEEvT5_PKS3_S5_NS_24const_host_device_scalarIT6_EEPKT4_S5_PKS7_SB_S5_SD_S8_SB_S5_SD_SB_S5_PS7_21rocsparse_index_base_SF_SF_SF_bbb.num_agpr, 0
	.set _ZN9rocsparseL41csrgemm_numeric_fill_block_per_row_kernelILj1024ELj64ELj32768ELj137ELj32Eli21rocsparse_complex_numIdEEEvT5_PKS3_S5_NS_24const_host_device_scalarIT6_EEPKT4_S5_PKS7_SB_S5_SD_S8_SB_S5_SD_SB_S5_PS7_21rocsparse_index_base_SF_SF_SF_bbb.numbered_sgpr, 74
	.set _ZN9rocsparseL41csrgemm_numeric_fill_block_per_row_kernelILj1024ELj64ELj32768ELj137ELj32Eli21rocsparse_complex_numIdEEEvT5_PKS3_S5_NS_24const_host_device_scalarIT6_EEPKT4_S5_PKS7_SB_S5_SD_S8_SB_S5_SD_SB_S5_PS7_21rocsparse_index_base_SF_SF_SF_bbb.num_named_barrier, 0
	.set _ZN9rocsparseL41csrgemm_numeric_fill_block_per_row_kernelILj1024ELj64ELj32768ELj137ELj32Eli21rocsparse_complex_numIdEEEvT5_PKS3_S5_NS_24const_host_device_scalarIT6_EEPKT4_S5_PKS7_SB_S5_SD_S8_SB_S5_SD_SB_S5_PS7_21rocsparse_index_base_SF_SF_SF_bbb.private_seg_size, 40
	.set _ZN9rocsparseL41csrgemm_numeric_fill_block_per_row_kernelILj1024ELj64ELj32768ELj137ELj32Eli21rocsparse_complex_numIdEEEvT5_PKS3_S5_NS_24const_host_device_scalarIT6_EEPKT4_S5_PKS7_SB_S5_SD_S8_SB_S5_SD_SB_S5_PS7_21rocsparse_index_base_SF_SF_SF_bbb.uses_vcc, 1
	.set _ZN9rocsparseL41csrgemm_numeric_fill_block_per_row_kernelILj1024ELj64ELj32768ELj137ELj32Eli21rocsparse_complex_numIdEEEvT5_PKS3_S5_NS_24const_host_device_scalarIT6_EEPKT4_S5_PKS7_SB_S5_SD_S8_SB_S5_SD_SB_S5_PS7_21rocsparse_index_base_SF_SF_SF_bbb.uses_flat_scratch, 1
	.set _ZN9rocsparseL41csrgemm_numeric_fill_block_per_row_kernelILj1024ELj64ELj32768ELj137ELj32Eli21rocsparse_complex_numIdEEEvT5_PKS3_S5_NS_24const_host_device_scalarIT6_EEPKT4_S5_PKS7_SB_S5_SD_S8_SB_S5_SD_SB_S5_PS7_21rocsparse_index_base_SF_SF_SF_bbb.has_dyn_sized_stack, 0
	.set _ZN9rocsparseL41csrgemm_numeric_fill_block_per_row_kernelILj1024ELj64ELj32768ELj137ELj32Eli21rocsparse_complex_numIdEEEvT5_PKS3_S5_NS_24const_host_device_scalarIT6_EEPKT4_S5_PKS7_SB_S5_SD_S8_SB_S5_SD_SB_S5_PS7_21rocsparse_index_base_SF_SF_SF_bbb.has_recursion, 0
	.set _ZN9rocsparseL41csrgemm_numeric_fill_block_per_row_kernelILj1024ELj64ELj32768ELj137ELj32Eli21rocsparse_complex_numIdEEEvT5_PKS3_S5_NS_24const_host_device_scalarIT6_EEPKT4_S5_PKS7_SB_S5_SD_S8_SB_S5_SD_SB_S5_PS7_21rocsparse_index_base_SF_SF_SF_bbb.has_indirect_call, 0
	.section	.AMDGPU.csdata,"",@progbits
; Kernel info:
; codeLenInByte = 4768
; TotalNumSgprs: 76
; NumVgprs: 33
; ScratchSize: 40
; MemoryBound: 0
; FloatMode: 240
; IeeeMode: 1
; LDSByteSize: 0 bytes/workgroup (compile time only)
; SGPRBlocks: 0
; VGPRBlocks: 2
; NumSGPRsForWavesPerEU: 76
; NumVGPRsForWavesPerEU: 33
; NamedBarCnt: 0
; Occupancy: 16
; WaveLimiterHint : 1
; COMPUTE_PGM_RSRC2:SCRATCH_EN: 1
; COMPUTE_PGM_RSRC2:USER_SGPR: 2
; COMPUTE_PGM_RSRC2:TRAP_HANDLER: 0
; COMPUTE_PGM_RSRC2:TGID_X_EN: 1
; COMPUTE_PGM_RSRC2:TGID_Y_EN: 0
; COMPUTE_PGM_RSRC2:TGID_Z_EN: 0
; COMPUTE_PGM_RSRC2:TIDIG_COMP_CNT: 0
	.section	.text._ZN9rocsparseL41csrgemm_numeric_fill_block_per_row_kernelILj1024ELj64ELj32768ELj137ELj64Eli21rocsparse_complex_numIdEEEvT5_PKS3_S5_NS_24const_host_device_scalarIT6_EEPKT4_S5_PKS7_SB_S5_SD_S8_SB_S5_SD_SB_S5_PS7_21rocsparse_index_base_SF_SF_SF_bbb,"axG",@progbits,_ZN9rocsparseL41csrgemm_numeric_fill_block_per_row_kernelILj1024ELj64ELj32768ELj137ELj64Eli21rocsparse_complex_numIdEEEvT5_PKS3_S5_NS_24const_host_device_scalarIT6_EEPKT4_S5_PKS7_SB_S5_SD_S8_SB_S5_SD_SB_S5_PS7_21rocsparse_index_base_SF_SF_SF_bbb,comdat
	.globl	_ZN9rocsparseL41csrgemm_numeric_fill_block_per_row_kernelILj1024ELj64ELj32768ELj137ELj64Eli21rocsparse_complex_numIdEEEvT5_PKS3_S5_NS_24const_host_device_scalarIT6_EEPKT4_S5_PKS7_SB_S5_SD_S8_SB_S5_SD_SB_S5_PS7_21rocsparse_index_base_SF_SF_SF_bbb ; -- Begin function _ZN9rocsparseL41csrgemm_numeric_fill_block_per_row_kernelILj1024ELj64ELj32768ELj137ELj64Eli21rocsparse_complex_numIdEEEvT5_PKS3_S5_NS_24const_host_device_scalarIT6_EEPKT4_S5_PKS7_SB_S5_SD_S8_SB_S5_SD_SB_S5_PS7_21rocsparse_index_base_SF_SF_SF_bbb
	.p2align	8
	.type	_ZN9rocsparseL41csrgemm_numeric_fill_block_per_row_kernelILj1024ELj64ELj32768ELj137ELj64Eli21rocsparse_complex_numIdEEEvT5_PKS3_S5_NS_24const_host_device_scalarIT6_EEPKT4_S5_PKS7_SB_S5_SD_S8_SB_S5_SD_SB_S5_PS7_21rocsparse_index_base_SF_SF_SF_bbb,@function
_ZN9rocsparseL41csrgemm_numeric_fill_block_per_row_kernelILj1024ELj64ELj32768ELj137ELj64Eli21rocsparse_complex_numIdEEEvT5_PKS3_S5_NS_24const_host_device_scalarIT6_EEPKT4_S5_PKS7_SB_S5_SD_S8_SB_S5_SD_SB_S5_PS7_21rocsparse_index_base_SF_SF_SF_bbb: ; @_ZN9rocsparseL41csrgemm_numeric_fill_block_per_row_kernelILj1024ELj64ELj32768ELj137ELj64Eli21rocsparse_complex_numIdEEEvT5_PKS3_S5_NS_24const_host_device_scalarIT6_EEPKT4_S5_PKS7_SB_S5_SD_S8_SB_S5_SD_SB_S5_PS7_21rocsparse_index_base_SF_SF_SF_bbb
; %bb.0:
	s_clause 0x3
	s_load_b32 s12, s[0:1], 0xa8
	s_load_b128 s[8:11], s[0:1], 0x18
	s_load_b128 s[4:7], s[0:1], 0x58
	;; [unrolled: 1-line block ×3, first 2 shown]
	v_mov_b64_e32 v[6:7], 0
	v_mov_b64_e32 v[12:13], 0
	;; [unrolled: 1-line block ×3, first 2 shown]
	v_mbcnt_lo_u32_b32 v30, -1, 0
	s_wait_kmcnt 0x0
	s_bitcmp1_b32 s12, 0
	v_mov_b64_e32 v[2:3], s[8:9]
	s_cselect_b32 s3, -1, 0
	s_bitcmp1_b32 s12, 16
	v_mov_b64_e32 v[4:5], s[4:5]
	s_cselect_b32 s2, -1, 0
	s_clause 0x1
	scratch_store_b64 off, v[2:3], off offset:16
	scratch_store_b64 off, v[4:5], off offset:24
	s_xor_b32 s13, s2, -1
	s_bitcmp0_b32 s12, 0
	v_cndmask_b32_e64 v1, 0, 1, s13
	s_delay_alu instid0(VALU_DEP_1)
	v_cmp_ne_u32_e32 vcc_lo, 1, v1
	s_cbranch_scc1 .LBB237_3
; %bb.1:
	s_wait_xcnt 0x1
	v_dual_mov_b32 v2, 16 :: v_dual_lshlrev_b32 v3, 20, v30
	v_mov_b64_e32 v[14:15], s[10:11]
	s_and_b32 vcc_lo, exec_lo, vcc_lo
	s_delay_alu instid0(VALU_DEP_2) | instskip(NEXT) | instid1(VALU_DEP_1)
	v_add_nc_u64_e32 v[2:3], src_flat_scratch_base_lo, v[2:3]
	v_cndmask_b32_e64 v3, s9, v3, s2
	s_delay_alu instid0(VALU_DEP_2)
	v_cndmask_b32_e64 v2, s8, v2, s2
	flat_load_b64 v[12:13], v[2:3]
	s_cbranch_vccnz .LBB237_3
; %bb.2:
	v_mov_b32_e32 v1, 0
	flat_load_b64 v[14:15], v1, s[8:9] offset:8
.LBB237_3:
	s_load_b128 s[28:31], s[0:1], 0x8
	v_mov_b64_e32 v[8:9], 0
	s_bitcmp1_b32 s12, 8
	s_cselect_b32 s36, -1, 0
	s_bfe_u32 s8, s12, 0x10008
	s_delay_alu instid0(SALU_CYCLE_1)
	s_cmp_eq_u32 s8, 0
	s_cbranch_scc1 .LBB237_6
; %bb.4:
	v_dual_mov_b32 v2, 24 :: v_dual_lshlrev_b32 v3, 20, v30
	v_mov_b64_e32 v[6:7], s[6:7]
	s_and_not1_b32 vcc_lo, exec_lo, s13
	s_delay_alu instid0(VALU_DEP_2) | instskip(NEXT) | instid1(VALU_DEP_1)
	v_add_nc_u64_e32 v[2:3], src_flat_scratch_base_lo, v[2:3]
	v_cndmask_b32_e64 v3, s5, v3, s2
	s_delay_alu instid0(VALU_DEP_2)
	v_cndmask_b32_e64 v2, s4, v2, s2
	flat_load_b64 v[8:9], v[2:3]
	s_cbranch_vccnz .LBB237_6
; %bb.5:
	v_mov_b32_e32 v1, 0
	flat_load_b64 v[6:7], v1, s[4:5] offset:8
.LBB237_6:
	s_clause 0x4
	s_load_b32 s33, s[0:1], 0x0
	s_load_b64 s[34:35], s[0:1], 0x90
	s_load_b256 s[12:19], s[0:1], 0x68
	s_load_b128 s[24:27], s[0:1], 0x48
	s_load_b256 s[4:11], s[0:1], 0x28
	s_wait_xcnt 0x0
	s_mov_b32 s0, 0
	v_or_b32_e32 v28, 0xfffffc00, v0
	v_lshl_add_u32 v29, v0, 2, 0
	v_lshlrev_b32_e32 v31, 4, v0
	s_mov_b32 s1, s0
	s_mov_b32 s38, s0
	;; [unrolled: 1-line block ×3, first 2 shown]
	v_mov_b64_e32 v[2:3], s[0:1]
	v_mov_b64_e32 v[4:5], s[38:39]
	v_mov_b32_e32 v10, v29
	v_add3_u32 v1, v31, 0, 0x20008
	s_wait_kmcnt 0x0
	v_dual_mov_b32 v16, v28 :: v_dual_mov_b32 v11, s33
.LBB237_7:                              ; =>This Inner Loop Header: Depth=1
	s_delay_alu instid0(VALU_DEP_1)
	v_add_nc_u32_e32 v16, 0x400, v16
	ds_store_b32 v10, v11
	v_add_nc_u32_e32 v17, -8, v1
	v_add_nc_u32_e32 v1, 0x4000, v1
	v_add_nc_u32_e32 v10, 0x1000, v10
	v_cmp_lt_u32_e32 vcc_lo, 0x7bff, v16
	ds_store_2addr_b64 v17, v[2:3], v[4:5] offset1:1
	s_or_b32 s0, vcc_lo, s0
	s_delay_alu instid0(SALU_CYCLE_1)
	s_and_not1_b32 exec_lo, exec_lo, s0
	s_cbranch_execnz .LBB237_7
; %bb.8:
	s_or_b32 exec_lo, exec_lo, s0
	s_wait_storecnt 0x0
	s_wait_loadcnt_dscnt 0x0
	s_barrier_signal -1
	s_barrier_wait -1
	s_load_b32 s0, s[28:29], 0x0
	s_bfe_u32 s1, ttmp6, 0x4000c
	s_and_b32 s2, ttmp6, 15
	s_add_co_i32 s1, s1, 1
	s_wait_xcnt 0x0
	s_getreg_b32 s28, hwreg(HW_REG_IB_STS2, 6, 4)
	s_mul_i32 s1, ttmp9, s1
	v_lshrrev_b32_e32 v10, 6, v0
	s_add_co_i32 s2, s2, s1
	s_cmp_eq_u32 s28, 0
	s_cselect_b32 s1, ttmp9, s2
	s_and_b32 vcc_lo, exec_lo, s3
	s_wait_kmcnt 0x0
	s_add_co_i32 s0, s0, s1
	s_mov_b32 s1, 0
	s_load_b32 s28, s[30:31], s0 offset:0x0 scale_offset
	s_cbranch_vccz .LBB237_26
; %bb.9:
	s_wait_kmcnt 0x0
	s_ashr_i32 s29, s28, 31
	v_mov_b32_e32 v11, 0
	s_lshl_b64 s[2:3], s[28:29], 3
	s_mov_b32 s0, s20
	s_add_nc_u64 s[2:3], s[4:5], s[2:3]
	s_mov_b32 s4, exec_lo
	s_load_b128 s[40:43], s[2:3], 0x0
	v_sub_nc_u64_e64 v[2:3], v[10:11], s[0:1]
	s_wait_kmcnt 0x0
	s_delay_alu instid0(VALU_DEP_1)
	v_add_nc_u64_e32 v[16:17], s[40:41], v[2:3]
	s_sub_nc_u64 s[0:1], s[42:43], s[0:1]
	s_delay_alu instid0(VALU_DEP_1) | instid1(SALU_CYCLE_1)
	v_cmpx_gt_i64_e64 s[0:1], v[16:17]
	s_cbranch_execz .LBB237_25
; %bb.10:
	v_dual_mov_b32 v3, v11 :: v_dual_bitop2_b32 v2, 63, v0 bitop3:0x40
	s_mov_b32 s3, 0
	s_mov_b32 s2, s21
	;; [unrolled: 1-line block ×3, first 2 shown]
	s_delay_alu instid0(VALU_DEP_1)
	v_sub_nc_u64_e64 v[18:19], v[2:3], s[2:3]
	s_branch .LBB237_12
.LBB237_11:                             ;   in Loop: Header=BB237_12 Depth=1
	s_or_b32 exec_lo, exec_lo, s29
	v_add_nc_u64_e32 v[16:17], 16, v[16:17]
	s_delay_alu instid0(VALU_DEP_1) | instskip(SKIP_1) | instid1(SALU_CYCLE_1)
	v_cmp_le_i64_e32 vcc_lo, s[0:1], v[16:17]
	s_or_b32 s5, vcc_lo, s5
	s_and_not1_b32 exec_lo, exec_lo, s5
	s_cbranch_execz .LBB237_25
.LBB237_12:                             ; =>This Loop Header: Depth=1
                                        ;     Child Loop BB237_16 Depth 2
                                        ;       Child Loop BB237_19 Depth 3
	v_lshl_add_u64 v[2:3], v[16:17], 2, s[6:7]
	s_mov_b32 s29, exec_lo
	global_load_b32 v1, v[2:3], off
	s_wait_loadcnt 0x0
	s_wait_xcnt 0x0
	v_subrev_nc_u32_e32 v2, s20, v1
	s_delay_alu instid0(VALU_DEP_1) | instskip(NEXT) | instid1(VALU_DEP_1)
	v_ashrrev_i32_e32 v3, 31, v2
	v_lshl_add_u64 v[2:3], v[2:3], 3, s[10:11]
	global_load_b128 v[2:5], v[2:3], off
	s_wait_loadcnt 0x0
	v_sub_nc_u64_e64 v[20:21], v[4:5], s[2:3]
	v_add_nc_u64_e32 v[22:23], v[2:3], v[18:19]
	s_wait_xcnt 0x0
	s_delay_alu instid0(VALU_DEP_1)
	v_cmpx_lt_i64_e64 v[22:23], v[20:21]
	s_cbranch_execz .LBB237_11
; %bb.13:                               ;   in Loop: Header=BB237_12 Depth=1
	v_lshl_add_u64 v[2:3], v[16:17], 4, s[8:9]
	s_mov_b32 s30, 0
	global_load_b128 v[2:5], v[2:3], off
	s_wait_loadcnt 0x0
	v_mul_f64_e64 v[24:25], v[4:5], -v[14:15]
	v_mul_f64_e32 v[26:27], v[12:13], v[4:5]
	s_delay_alu instid0(VALU_DEP_2) | instskip(NEXT) | instid1(VALU_DEP_2)
	v_fmac_f64_e32 v[24:25], v[12:13], v[2:3]
	v_fmac_f64_e32 v[26:27], v[14:15], v[2:3]
	s_branch .LBB237_16
.LBB237_14:                             ;   in Loop: Header=BB237_16 Depth=2
	s_or_b32 exec_lo, exec_lo, s37
.LBB237_15:                             ;   in Loop: Header=BB237_16 Depth=2
	s_delay_alu instid0(SALU_CYCLE_1) | instskip(SKIP_4) | instid1(VALU_DEP_3)
	s_or_b32 exec_lo, exec_lo, s31
	s_wait_loadcnt 0x0
	v_dual_mul_f64 v[32:33], v[4:5], -v[26:27] :: v_dual_lshlrev_b32 v1, 4, v1
	v_mul_f64_e32 v[4:5], v[24:25], v[4:5]
	v_add_nc_u64_e32 v[22:23], 64, v[22:23]
	v_add3_u32 v1, 0, v1, 0x20000
	s_delay_alu instid0(VALU_DEP_2)
	v_cmp_ge_i64_e32 vcc_lo, v[22:23], v[20:21]
	s_or_b32 s30, vcc_lo, s30
	v_fmac_f64_e32 v[32:33], v[24:25], v[2:3]
	v_fmac_f64_e32 v[4:5], v[26:27], v[2:3]
	ds_add_f64 v1, v[32:33]
	ds_add_f64 v1, v[4:5] offset:8
	s_and_not1_b32 exec_lo, exec_lo, s30
	s_cbranch_execz .LBB237_11
.LBB237_16:                             ;   Parent Loop BB237_12 Depth=1
                                        ; =>  This Loop Header: Depth=2
                                        ;       Child Loop BB237_19 Depth 3
	s_wait_xcnt 0x0
	v_lshl_add_u64 v[2:3], v[22:23], 2, s[24:25]
	s_mov_b32 s31, exec_lo
	global_load_b32 v1, v[2:3], off
	s_wait_xcnt 0x0
	v_lshl_add_u64 v[2:3], v[22:23], 4, s[26:27]
	global_load_b128 v[2:5], v[2:3], off
	s_wait_loadcnt 0x1
	v_subrev_nc_u32_e32 v11, s21, v1
	s_delay_alu instid0(VALU_DEP_1) | instskip(NEXT) | instid1(VALU_DEP_1)
	v_mul_lo_u32 v1, 0x89, v11
	v_and_b32_e32 v1, 0x7fff, v1
	s_delay_alu instid0(VALU_DEP_1)
	v_lshl_add_u32 v32, v1, 2, 0
	ds_load_b32 v33, v32
	s_wait_dscnt 0x0
	s_wait_xcnt 0x0
	v_cmpx_ne_u32_e64 v33, v11
	s_cbranch_execz .LBB237_15
; %bb.17:                               ;   in Loop: Header=BB237_16 Depth=2
	s_mov_b32 s37, 0
	s_branch .LBB237_19
.LBB237_18:                             ;   in Loop: Header=BB237_19 Depth=3
	s_or_b32 exec_lo, exec_lo, s40
	s_delay_alu instid0(SALU_CYCLE_1) | instskip(NEXT) | instid1(SALU_CYCLE_1)
	s_and_b32 s38, exec_lo, s39
	s_or_b32 s37, s38, s37
	s_delay_alu instid0(SALU_CYCLE_1)
	s_and_not1_b32 exec_lo, exec_lo, s37
	s_cbranch_execz .LBB237_14
.LBB237_19:                             ;   Parent Loop BB237_12 Depth=1
                                        ;     Parent Loop BB237_16 Depth=2
                                        ; =>    This Inner Loop Header: Depth=3
	s_mov_b32 s38, 0
	s_mov_b32 s39, exec_lo
	v_cmpx_ne_u32_e64 s33, v33
	s_xor_b32 s39, exec_lo, s39
	s_cbranch_execz .LBB237_21
; %bb.20:                               ;   in Loop: Header=BB237_19 Depth=3
	v_add_nc_u32_e32 v1, 1, v1
	s_mov_b32 s38, exec_lo
                                        ; implicit-def: $vgpr32
	s_delay_alu instid0(VALU_DEP_1)
	v_and_b32_e32 v1, 0x7fff, v1
	s_and_not1_saveexec_b32 s39, s39
	s_cbranch_execz .LBB237_23
	s_branch .LBB237_22
.LBB237_21:                             ;   in Loop: Header=BB237_19 Depth=3
	s_and_not1_saveexec_b32 s39, s39
	s_cbranch_execz .LBB237_23
.LBB237_22:                             ;   in Loop: Header=BB237_19 Depth=3
	v_mov_b32_e32 v33, s33
	s_and_not1_b32 s38, s38, exec_lo
	ds_cmpstore_rtn_b32 v32, v32, v11, v33
	s_wait_dscnt 0x0
	v_cmp_ne_u32_e32 vcc_lo, s33, v32
	s_and_b32 s40, vcc_lo, exec_lo
	s_delay_alu instid0(SALU_CYCLE_1)
	s_or_b32 s38, s38, s40
.LBB237_23:                             ;   in Loop: Header=BB237_19 Depth=3
	s_or_b32 exec_lo, exec_lo, s39
	s_mov_b32 s39, -1
                                        ; implicit-def: $vgpr32
                                        ; implicit-def: $vgpr33
	s_and_saveexec_b32 s40, s38
	s_cbranch_execz .LBB237_18
; %bb.24:                               ;   in Loop: Header=BB237_19 Depth=3
	v_lshl_add_u32 v32, v1, 2, 0
	ds_load_b32 v33, v32
	s_wait_dscnt 0x0
	v_cmp_eq_u32_e32 vcc_lo, v33, v11
	s_or_not1_b32 s39, vcc_lo, exec_lo
	s_branch .LBB237_18
.LBB237_25:
	s_or_b32 exec_lo, exec_lo, s4
.LBB237_26:
	s_delay_alu instid0(SALU_CYCLE_1)
	s_and_not1_b32 vcc_lo, exec_lo, s36
	s_cbranch_vccnz .LBB237_29
; %bb.27:
	s_wait_kmcnt 0x0
	s_ashr_i32 s29, s28, 31
	v_mov_b32_e32 v1, 0
	s_lshl_b64 s[0:1], s[28:29], 3
	s_delay_alu instid0(SALU_CYCLE_1) | instskip(SKIP_4) | instid1(SALU_CYCLE_1)
	s_add_nc_u64 s[0:1], s[12:13], s[0:1]
	s_load_b128 s[4:7], s[0:1], 0x0
	s_wait_xcnt 0x0
	s_mov_b32 s1, 0
	s_mov_b32 s0, s23
	v_sub_nc_u64_e64 v[2:3], v[0:1], s[0:1]
	s_wait_kmcnt 0x0
	s_delay_alu instid0(VALU_DEP_1) | instskip(SKIP_2) | instid1(VALU_DEP_1)
	v_add_nc_u64_e32 v[12:13], s[4:5], v[2:3]
	s_sub_nc_u64 s[2:3], s[6:7], s[0:1]
	s_mov_b32 s0, exec_lo
	v_cmpx_gt_i64_e64 s[2:3], v[12:13]
	s_cbranch_execnz .LBB237_67
.LBB237_28:
	s_or_b32 exec_lo, exec_lo, s0
.LBB237_29:
	v_lshlrev_b32_e32 v3, 2, v10
	s_add_co_i32 s36, 0, 0xa003c
	s_delay_alu instid0(SALU_CYCLE_1)
	v_dual_mov_b32 v5, s36 :: v_dual_bitop2_b32 v1, 31, v30 bitop3:0x14
	s_wait_xcnt 0x0
	v_cmp_lt_u32_e64 s0, 63, v0
	v_cmp_lt_u32_e64 s1, 0x7f, v0
	;; [unrolled: 1-line block ×3, first 2 shown]
	v_lshrrev_b32_e64 v2, v1, -1
	v_mov_b32_e32 v1, 0
	v_add3_u32 v3, 0xa0000, 0, v3
	v_cmp_lt_u32_e64 s3, 0xff, v0
	v_cmp_lt_u32_e64 s4, 0x13f, v0
	v_cmp_lt_u32_e64 s5, 0x17f, v0
	v_cmp_lt_u32_e64 s6, 0x1bf, v0
	v_cmp_lt_u32_e64 s7, 0x1ff, v0
	v_cmp_lt_u32_e64 s8, 0x23f, v0
	v_cmp_lt_u32_e64 s9, 0x27f, v0
	v_cmp_lt_u32_e64 s10, 0x2bf, v0
	v_cmp_lt_u32_e64 s11, 0x2ff, v0
	v_cmp_lt_u32_e64 s12, 0x33f, v0
	v_cmp_lt_u32_e64 s13, 0x37f, v0
	v_cmp_lt_u32_e64 s14, 0x3bf, v0
	v_add3_u32 v4, v31, 0, 0x20000
	s_mov_b32 s16, 0
	s_add_co_i32 s17, 0, 0xa0000
	s_add_co_i32 s20, 0, 0xa0004
	;; [unrolled: 1-line block ×15, first 2 shown]
	s_wait_dscnt 0x0
	s_barrier_signal -1
	s_barrier_wait -1
	v_cmp_eq_u32_e32 vcc_lo, 0x3ff, v0
	s_branch .LBB237_31
.LBB237_30:                             ;   in Loop: Header=BB237_31 Depth=1
	s_or_b32 exec_lo, exec_lo, s15
	s_wait_dscnt 0x0
	s_barrier_signal -1
	s_barrier_wait -1
	ds_load_b32 v6, v5
	v_add_nc_u32_e32 v28, 0x400, v28
	v_add_nc_u32_e32 v4, 0x4000, v4
	;; [unrolled: 1-line block ×3, first 2 shown]
	s_delay_alu instid0(VALU_DEP_3)
	v_cmp_lt_u32_e64 s15, 0x7bff, v28
	s_or_b32 s16, s15, s16
	s_wait_dscnt 0x0
	v_add_nc_u32_e32 v1, v6, v1
	s_and_not1_b32 exec_lo, exec_lo, s16
	s_cbranch_execz .LBB237_76
.LBB237_31:                             ; =>This Inner Loop Header: Depth=1
	ds_load_b32 v6, v29
	ds_load_2addr_b64 v[8:11], v4 offset1:1
	s_wait_dscnt 0x1
	v_cmp_gt_i32_e64 s15, s33, v6
	s_wait_dscnt 0x0
	scratch_store_b128 off, v[8:11], off
	s_wait_storecnt 0x0
	s_barrier_signal -1
	s_barrier_wait -1
	s_bcnt1_i32_b32 s41, s15
	s_wait_xcnt 0x0
	v_dual_mov_b32 v8, s41 :: v_dual_bitop2_b32 v7, s15, v2 bitop3:0x40
	s_delay_alu instid0(VALU_DEP_1)
	v_bcnt_u32_b32 v7, v7, 0
	ds_store_b32 v3, v8
	s_wait_dscnt 0x0
	s_barrier_signal -1
	s_barrier_wait -1
	s_and_saveexec_b32 s41, s0
	s_cbranch_execz .LBB237_48
; %bb.32:                               ;   in Loop: Header=BB237_31 Depth=1
	v_mov_b32_e32 v8, s17
	ds_load_b32 v8, v8
	s_wait_dscnt 0x0
	v_add_nc_u32_e32 v7, v8, v7
	s_or_b32 exec_lo, exec_lo, s41
	s_and_saveexec_b32 s41, s1
	s_cbranch_execnz .LBB237_49
.LBB237_33:                             ;   in Loop: Header=BB237_31 Depth=1
	s_or_b32 exec_lo, exec_lo, s41
	s_and_saveexec_b32 s41, s2
	s_cbranch_execz .LBB237_50
.LBB237_34:                             ;   in Loop: Header=BB237_31 Depth=1
	v_mov_b32_e32 v8, s21
	ds_load_b32 v8, v8
	s_wait_dscnt 0x0
	v_add_nc_u32_e32 v7, v8, v7
	s_or_b32 exec_lo, exec_lo, s41
	s_and_saveexec_b32 s41, s3
	s_cbranch_execnz .LBB237_51
.LBB237_35:                             ;   in Loop: Header=BB237_31 Depth=1
	s_or_b32 exec_lo, exec_lo, s41
	s_and_saveexec_b32 s41, s4
	s_cbranch_execz .LBB237_52
.LBB237_36:                             ;   in Loop: Header=BB237_31 Depth=1
	v_mov_b32_e32 v8, s24
	ds_load_b32 v8, v8
	s_wait_dscnt 0x0
	v_add_nc_u32_e32 v7, v8, v7
	s_or_b32 exec_lo, exec_lo, s41
	s_and_saveexec_b32 s41, s5
	s_cbranch_execnz .LBB237_53
.LBB237_37:                             ;   in Loop: Header=BB237_31 Depth=1
	s_or_b32 exec_lo, exec_lo, s41
	s_and_saveexec_b32 s41, s6
	s_cbranch_execz .LBB237_54
.LBB237_38:                             ;   in Loop: Header=BB237_31 Depth=1
	v_mov_b32_e32 v8, s26
	ds_load_b32 v8, v8
	s_wait_dscnt 0x0
	v_add_nc_u32_e32 v7, v8, v7
	s_or_b32 exec_lo, exec_lo, s41
	s_and_saveexec_b32 s41, s7
	s_cbranch_execnz .LBB237_55
.LBB237_39:                             ;   in Loop: Header=BB237_31 Depth=1
	s_or_b32 exec_lo, exec_lo, s41
	s_and_saveexec_b32 s41, s8
	s_cbranch_execz .LBB237_56
.LBB237_40:                             ;   in Loop: Header=BB237_31 Depth=1
	v_mov_b32_e32 v8, s29
	ds_load_b32 v8, v8
	s_wait_dscnt 0x0
	v_add_nc_u32_e32 v7, v8, v7
	s_or_b32 exec_lo, exec_lo, s41
	s_and_saveexec_b32 s41, s9
	s_cbranch_execnz .LBB237_57
.LBB237_41:                             ;   in Loop: Header=BB237_31 Depth=1
	s_or_b32 exec_lo, exec_lo, s41
	s_and_saveexec_b32 s41, s10
	s_cbranch_execz .LBB237_58
.LBB237_42:                             ;   in Loop: Header=BB237_31 Depth=1
	v_mov_b32_e32 v8, s31
	ds_load_b32 v8, v8
	s_wait_dscnt 0x0
	v_add_nc_u32_e32 v7, v8, v7
	s_or_b32 exec_lo, exec_lo, s41
	s_and_saveexec_b32 s41, s11
	s_cbranch_execnz .LBB237_59
.LBB237_43:                             ;   in Loop: Header=BB237_31 Depth=1
	s_or_b32 exec_lo, exec_lo, s41
	s_and_saveexec_b32 s41, s12
	s_cbranch_execz .LBB237_60
.LBB237_44:                             ;   in Loop: Header=BB237_31 Depth=1
	v_mov_b32_e32 v8, s38
	ds_load_b32 v8, v8
	s_wait_dscnt 0x0
	v_add_nc_u32_e32 v7, v8, v7
	s_or_b32 exec_lo, exec_lo, s41
	s_and_saveexec_b32 s41, s13
	s_cbranch_execnz .LBB237_61
.LBB237_45:                             ;   in Loop: Header=BB237_31 Depth=1
	s_or_b32 exec_lo, exec_lo, s41
	s_and_saveexec_b32 s41, s14
	s_cbranch_execz .LBB237_62
.LBB237_46:                             ;   in Loop: Header=BB237_31 Depth=1
	v_mov_b32_e32 v8, s40
	ds_load_b32 v8, v8
	s_wait_dscnt 0x0
	v_add_nc_u32_e32 v7, v8, v7
	s_or_b32 exec_lo, exec_lo, s41
	s_and_saveexec_b32 s41, s15
	s_cbranch_execnz .LBB237_63
.LBB237_47:                             ;   in Loop: Header=BB237_31 Depth=1
	s_or_b32 exec_lo, exec_lo, s41
	s_and_saveexec_b32 s15, vcc_lo
	s_cbranch_execz .LBB237_30
	s_branch .LBB237_64
.LBB237_48:                             ;   in Loop: Header=BB237_31 Depth=1
	s_or_b32 exec_lo, exec_lo, s41
	s_and_saveexec_b32 s41, s1
	s_cbranch_execz .LBB237_33
.LBB237_49:                             ;   in Loop: Header=BB237_31 Depth=1
	v_mov_b32_e32 v8, s20
	ds_load_b32 v8, v8
	s_wait_dscnt 0x0
	v_add_nc_u32_e32 v7, v8, v7
	s_or_b32 exec_lo, exec_lo, s41
	s_and_saveexec_b32 s41, s2
	s_cbranch_execnz .LBB237_34
.LBB237_50:                             ;   in Loop: Header=BB237_31 Depth=1
	s_or_b32 exec_lo, exec_lo, s41
	s_and_saveexec_b32 s41, s3
	s_cbranch_execz .LBB237_35
.LBB237_51:                             ;   in Loop: Header=BB237_31 Depth=1
	v_mov_b32_e32 v8, s23
	ds_load_b32 v8, v8
	s_wait_dscnt 0x0
	v_add_nc_u32_e32 v7, v8, v7
	s_or_b32 exec_lo, exec_lo, s41
	s_and_saveexec_b32 s41, s4
	s_cbranch_execnz .LBB237_36
.LBB237_52:                             ;   in Loop: Header=BB237_31 Depth=1
	s_or_b32 exec_lo, exec_lo, s41
	s_and_saveexec_b32 s41, s5
	s_cbranch_execz .LBB237_37
.LBB237_53:                             ;   in Loop: Header=BB237_31 Depth=1
	v_mov_b32_e32 v8, s25
	ds_load_b32 v8, v8
	s_wait_dscnt 0x0
	v_add_nc_u32_e32 v7, v8, v7
	s_or_b32 exec_lo, exec_lo, s41
	s_and_saveexec_b32 s41, s6
	s_cbranch_execnz .LBB237_38
.LBB237_54:                             ;   in Loop: Header=BB237_31 Depth=1
	s_or_b32 exec_lo, exec_lo, s41
	s_and_saveexec_b32 s41, s7
	s_cbranch_execz .LBB237_39
.LBB237_55:                             ;   in Loop: Header=BB237_31 Depth=1
	v_mov_b32_e32 v8, s27
	ds_load_b32 v8, v8
	s_wait_dscnt 0x0
	v_add_nc_u32_e32 v7, v8, v7
	s_or_b32 exec_lo, exec_lo, s41
	s_and_saveexec_b32 s41, s8
	s_cbranch_execnz .LBB237_40
.LBB237_56:                             ;   in Loop: Header=BB237_31 Depth=1
	s_or_b32 exec_lo, exec_lo, s41
	s_and_saveexec_b32 s41, s9
	s_cbranch_execz .LBB237_41
.LBB237_57:                             ;   in Loop: Header=BB237_31 Depth=1
	v_mov_b32_e32 v8, s30
	ds_load_b32 v8, v8
	s_wait_dscnt 0x0
	v_add_nc_u32_e32 v7, v8, v7
	s_or_b32 exec_lo, exec_lo, s41
	s_and_saveexec_b32 s41, s10
	s_cbranch_execnz .LBB237_42
.LBB237_58:                             ;   in Loop: Header=BB237_31 Depth=1
	s_or_b32 exec_lo, exec_lo, s41
	s_and_saveexec_b32 s41, s11
	s_cbranch_execz .LBB237_43
.LBB237_59:                             ;   in Loop: Header=BB237_31 Depth=1
	v_mov_b32_e32 v8, s37
	ds_load_b32 v8, v8
	s_wait_dscnt 0x0
	v_add_nc_u32_e32 v7, v8, v7
	s_or_b32 exec_lo, exec_lo, s41
	s_and_saveexec_b32 s41, s12
	s_cbranch_execnz .LBB237_44
.LBB237_60:                             ;   in Loop: Header=BB237_31 Depth=1
	s_or_b32 exec_lo, exec_lo, s41
	s_and_saveexec_b32 s41, s13
	s_cbranch_execz .LBB237_45
.LBB237_61:                             ;   in Loop: Header=BB237_31 Depth=1
	v_mov_b32_e32 v8, s39
	ds_load_b32 v8, v8
	s_wait_dscnt 0x0
	v_add_nc_u32_e32 v7, v8, v7
	s_or_b32 exec_lo, exec_lo, s41
	s_and_saveexec_b32 s41, s14
	s_cbranch_execnz .LBB237_46
.LBB237_62:                             ;   in Loop: Header=BB237_31 Depth=1
	s_or_b32 exec_lo, exec_lo, s41
	s_and_saveexec_b32 s41, s15
	s_cbranch_execz .LBB237_47
.LBB237_63:                             ;   in Loop: Header=BB237_31 Depth=1
	scratch_load_b128 v[8:11], off, off
	v_add3_u32 v12, v1, -1, v7
	s_delay_alu instid0(VALU_DEP_1) | instskip(SKIP_1) | instid1(VALU_DEP_2)
	v_lshlrev_b32_e32 v13, 4, v12
	v_lshl_add_u32 v12, v12, 2, 0
	v_add3_u32 v13, 0, v13, 0x20000
	ds_store_b32 v12, v6
	s_wait_loadcnt 0x0
	ds_store_2addr_b64 v13, v[8:9], v[10:11] offset1:1
	s_or_b32 exec_lo, exec_lo, s41
	s_and_saveexec_b32 s15, vcc_lo
	s_cbranch_execz .LBB237_30
.LBB237_64:                             ;   in Loop: Header=BB237_31 Depth=1
	v_mov_b32_e32 v6, s36
	ds_store_b32 v6, v7
	s_branch .LBB237_30
.LBB237_65:                             ;   in Loop: Header=BB237_67 Depth=1
	s_or_b32 exec_lo, exec_lo, s5
.LBB237_66:                             ;   in Loop: Header=BB237_67 Depth=1
	s_delay_alu instid0(SALU_CYCLE_1) | instskip(SKIP_4) | instid1(VALU_DEP_3)
	s_or_b32 exec_lo, exec_lo, s4
	s_wait_loadcnt 0x0
	v_dual_mul_f64 v[14:15], v[4:5], -v[6:7] :: v_dual_lshlrev_b32 v1, 4, v1
	v_mul_f64_e32 v[4:5], v[8:9], v[4:5]
	v_add_nc_u64_e32 v[12:13], 0x400, v[12:13]
	v_add3_u32 v1, 0, v1, 0x20000
	s_delay_alu instid0(VALU_DEP_2)
	v_cmp_le_i64_e32 vcc_lo, s[2:3], v[12:13]
	s_or_b32 s1, vcc_lo, s1
	v_fmac_f64_e32 v[14:15], v[8:9], v[2:3]
	v_fmac_f64_e32 v[4:5], v[6:7], v[2:3]
	ds_add_f64 v1, v[14:15]
	ds_add_f64 v1, v[4:5] offset:8
	s_and_not1_b32 exec_lo, exec_lo, s1
	s_cbranch_execz .LBB237_28
.LBB237_67:                             ; =>This Loop Header: Depth=1
                                        ;     Child Loop BB237_70 Depth 2
	v_lshl_add_u64 v[2:3], v[12:13], 2, s[14:15]
	s_mov_b32 s4, exec_lo
	global_load_b32 v1, v[2:3], off
	s_wait_xcnt 0x0
	v_lshl_add_u64 v[2:3], v[12:13], 4, s[16:17]
	global_load_b128 v[2:5], v[2:3], off
	s_wait_loadcnt 0x1
	v_subrev_nc_u32_e32 v11, s23, v1
	s_delay_alu instid0(VALU_DEP_1) | instskip(NEXT) | instid1(VALU_DEP_1)
	v_mul_lo_u32 v1, 0x89, v11
	v_and_b32_e32 v1, 0x7fff, v1
	s_delay_alu instid0(VALU_DEP_1)
	v_lshl_add_u32 v14, v1, 2, 0
	ds_load_b32 v15, v14
	s_wait_dscnt 0x0
	s_wait_xcnt 0x0
	v_cmpx_ne_u32_e64 v15, v11
	s_cbranch_execz .LBB237_66
; %bb.68:                               ;   in Loop: Header=BB237_67 Depth=1
	s_mov_b32 s5, 0
	s_branch .LBB237_70
.LBB237_69:                             ;   in Loop: Header=BB237_70 Depth=2
	s_or_b32 exec_lo, exec_lo, s8
	s_delay_alu instid0(SALU_CYCLE_1) | instskip(NEXT) | instid1(SALU_CYCLE_1)
	s_and_b32 s6, exec_lo, s7
	s_or_b32 s5, s6, s5
	s_delay_alu instid0(SALU_CYCLE_1)
	s_and_not1_b32 exec_lo, exec_lo, s5
	s_cbranch_execz .LBB237_65
.LBB237_70:                             ;   Parent Loop BB237_67 Depth=1
                                        ; =>  This Inner Loop Header: Depth=2
	s_mov_b32 s6, 0
	s_mov_b32 s7, exec_lo
	v_cmpx_ne_u32_e64 s33, v15
	s_xor_b32 s7, exec_lo, s7
	s_cbranch_execz .LBB237_72
; %bb.71:                               ;   in Loop: Header=BB237_70 Depth=2
	v_add_nc_u32_e32 v1, 1, v1
	s_mov_b32 s6, exec_lo
                                        ; implicit-def: $vgpr14
	s_delay_alu instid0(VALU_DEP_1)
	v_and_b32_e32 v1, 0x7fff, v1
	s_and_not1_saveexec_b32 s7, s7
	s_cbranch_execz .LBB237_74
	s_branch .LBB237_73
.LBB237_72:                             ;   in Loop: Header=BB237_70 Depth=2
	s_and_not1_saveexec_b32 s7, s7
	s_cbranch_execz .LBB237_74
.LBB237_73:                             ;   in Loop: Header=BB237_70 Depth=2
	v_mov_b32_e32 v15, s33
	s_and_not1_b32 s6, s6, exec_lo
	ds_cmpstore_rtn_b32 v14, v14, v11, v15
	s_wait_dscnt 0x0
	v_cmp_ne_u32_e32 vcc_lo, s33, v14
	s_and_b32 s8, vcc_lo, exec_lo
	s_delay_alu instid0(SALU_CYCLE_1)
	s_or_b32 s6, s6, s8
.LBB237_74:                             ;   in Loop: Header=BB237_70 Depth=2
	s_or_b32 exec_lo, exec_lo, s7
	s_mov_b32 s7, -1
                                        ; implicit-def: $vgpr14
                                        ; implicit-def: $vgpr15
	s_and_saveexec_b32 s8, s6
	s_cbranch_execz .LBB237_69
; %bb.75:                               ;   in Loop: Header=BB237_70 Depth=2
	v_lshl_add_u32 v14, v1, 2, 0
	ds_load_b32 v15, v14
	s_wait_dscnt 0x0
	v_cmp_eq_u32_e32 vcc_lo, v15, v11
	s_or_not1_b32 s7, vcc_lo, exec_lo
	s_branch .LBB237_69
.LBB237_76:
	s_or_b32 exec_lo, exec_lo, s16
	s_wait_kmcnt 0x0
	s_ashr_i32 s29, s28, 31
	s_delay_alu instid0(SALU_CYCLE_1) | instskip(NEXT) | instid1(SALU_CYCLE_1)
	s_lshl_b64 s[0:1], s[28:29], 3
	s_add_nc_u64 s[4:5], s[18:19], s[0:1]
	s_load_b128 s[0:3], s[4:5], 0x0
	s_wait_xcnt 0x0
	s_mov_b32 s4, exec_lo
	s_wait_kmcnt 0x0
	s_sub_co_i32 s3, s2, s0
	s_delay_alu instid0(SALU_CYCLE_1)
	v_cmpx_gt_i32_e64 s3, v0
	s_cbranch_execz .LBB237_86
; %bb.77:
	s_sub_co_i32 s4, s0, s2
	s_and_b32 s2, s3, 7
	s_cmp_lt_u32 s4, -7
	s_mov_b32 s23, 0
	s_cselect_b32 s4, -1, 0
	s_and_b32 s5, s3, -8
	s_cmp_lg_u32 s2, 0
	s_sub_nc_u64 s[0:1], s[0:1], s[22:23]
	s_cselect_b32 s6, -1, 0
	s_mov_b32 s7, 0
	s_branch .LBB237_79
.LBB237_78:                             ;   in Loop: Header=BB237_79 Depth=1
	s_wait_dscnt 0x0
	v_lshlrev_b32_e32 v1, 4, v0
	v_add_nc_u32_e32 v0, 0x400, v0
	s_delay_alu instid0(VALU_DEP_3) | instskip(NEXT) | instid1(VALU_DEP_3)
	v_lshl_add_u64 v[2:3], v[2:3], 4, s[34:35]
	v_add3_u32 v1, 0, v1, 0x20000
	s_delay_alu instid0(VALU_DEP_3)
	v_cmp_le_i32_e32 vcc_lo, s3, v0
	ds_load_2addr_b64 v[4:7], v1 offset1:1
	s_or_b32 s7, vcc_lo, s7
	s_wait_dscnt 0x0
	global_store_b128 v[2:3], v[4:7], off
	s_wait_xcnt 0x0
	s_and_not1_b32 exec_lo, exec_lo, s7
	s_cbranch_execz .LBB237_86
.LBB237_79:                             ; =>This Loop Header: Depth=1
                                        ;     Child Loop BB237_81 Depth 2
                                        ;     Child Loop BB237_85 Depth 2
	v_lshl_add_u32 v1, v0, 2, 0
	v_mov_b64_e32 v[2:3], s[0:1]
	s_and_not1_b32 vcc_lo, exec_lo, s4
	s_mov_b32 s8, 0
	ds_load_b32 v1, v1
	s_cbranch_vccnz .LBB237_83
; %bb.80:                               ;   in Loop: Header=BB237_79 Depth=1
	v_mov_b64_e32 v[2:3], s[0:1]
	s_mov_b32 s9, 0
.LBB237_81:                             ;   Parent Loop BB237_79 Depth=1
                                        ; =>  This Inner Loop Header: Depth=2
	s_delay_alu instid0(SALU_CYCLE_1)
	v_dual_mov_b32 v8, s9 :: v_dual_mov_b32 v9, s23
	v_mov_b32_e32 v15, s23
	s_add_co_i32 s8, s8, 8
	s_add_co_i32 s9, s9, 32
	ds_load_2addr_b32 v[4:5], v8 offset1:1
	ds_load_2addr_b32 v[6:7], v8 offset0:2 offset1:3
	ds_load_2addr_b32 v[10:11], v8 offset0:4 offset1:5
	ds_load_2addr_b32 v[12:13], v8 offset0:6 offset1:7
	s_cmp_eq_u32 s5, s8
	s_wait_dscnt 0x3
	v_cmp_gt_i32_e32 vcc_lo, v1, v4
	v_cndmask_b32_e64 v8, 0, 1, vcc_lo
	v_cmp_gt_i32_e32 vcc_lo, v1, v5
	v_mov_b32_e32 v5, s23
	s_delay_alu instid0(VALU_DEP_3) | instskip(SKIP_4) | instid1(VALU_DEP_3)
	v_add_nc_u64_e32 v[2:3], v[2:3], v[8:9]
	v_cndmask_b32_e64 v14, 0, 1, vcc_lo
	s_wait_dscnt 0x2
	v_cmp_gt_i32_e32 vcc_lo, v1, v6
	v_cndmask_b32_e64 v4, 0, 1, vcc_lo
	v_add_nc_u64_e32 v[2:3], v[2:3], v[14:15]
	v_cmp_gt_i32_e32 vcc_lo, v1, v7
	v_mov_b32_e32 v7, s23
	v_cndmask_b32_e64 v8, 0, 1, vcc_lo
	s_delay_alu instid0(VALU_DEP_4) | instskip(SKIP_3) | instid1(VALU_DEP_3)
	v_add_nc_u64_e32 v[2:3], v[2:3], v[4:5]
	s_wait_dscnt 0x1
	v_cmp_gt_i32_e32 vcc_lo, v1, v10
	v_cndmask_b32_e64 v4, 0, 1, vcc_lo
	v_add_nc_u64_e32 v[2:3], v[2:3], v[8:9]
	v_cmp_gt_i32_e32 vcc_lo, v1, v11
	v_cndmask_b32_e64 v6, 0, 1, vcc_lo
	s_delay_alu instid0(VALU_DEP_3) | instskip(SKIP_3) | instid1(VALU_DEP_3)
	v_add_nc_u64_e32 v[2:3], v[2:3], v[4:5]
	s_wait_dscnt 0x0
	v_cmp_gt_i32_e32 vcc_lo, v1, v12
	v_cndmask_b32_e64 v4, 0, 1, vcc_lo
	v_add_nc_u64_e32 v[2:3], v[2:3], v[6:7]
	v_cmp_gt_i32_e32 vcc_lo, v1, v13
	v_cndmask_b32_e64 v6, 0, 1, vcc_lo
	s_delay_alu instid0(VALU_DEP_3) | instskip(NEXT) | instid1(VALU_DEP_1)
	v_add_nc_u64_e32 v[2:3], v[2:3], v[4:5]
	v_add_nc_u64_e32 v[2:3], v[2:3], v[6:7]
	s_cbranch_scc0 .LBB237_81
; %bb.82:                               ;   in Loop: Header=BB237_79 Depth=1
	s_mov_b32 s8, s5
.LBB237_83:                             ;   in Loop: Header=BB237_79 Depth=1
	s_and_not1_b32 vcc_lo, exec_lo, s6
	s_cbranch_vccnz .LBB237_78
; %bb.84:                               ;   in Loop: Header=BB237_79 Depth=1
	s_lshl_b32 s8, s8, 2
	s_mov_b32 s9, s2
	s_add_co_i32 s8, s8, 0
.LBB237_85:                             ;   Parent Loop BB237_79 Depth=1
                                        ; =>  This Inner Loop Header: Depth=2
	s_delay_alu instid0(SALU_CYCLE_1)
	v_dual_mov_b32 v4, s8 :: v_dual_mov_b32 v5, s23
	s_add_co_i32 s9, s9, -1
	s_add_co_i32 s8, s8, 4
	s_cmp_lg_u32 s9, 0
	ds_load_b32 v4, v4
	s_wait_dscnt 0x0
	v_cmp_gt_i32_e32 vcc_lo, v1, v4
	v_cndmask_b32_e64 v4, 0, 1, vcc_lo
	s_delay_alu instid0(VALU_DEP_1)
	v_add_nc_u64_e32 v[2:3], v[2:3], v[4:5]
	s_cbranch_scc1 .LBB237_85
	s_branch .LBB237_78
.LBB237_86:
	s_endpgm
	.section	.rodata,"a",@progbits
	.p2align	6, 0x0
	.amdhsa_kernel _ZN9rocsparseL41csrgemm_numeric_fill_block_per_row_kernelILj1024ELj64ELj32768ELj137ELj64Eli21rocsparse_complex_numIdEEEvT5_PKS3_S5_NS_24const_host_device_scalarIT6_EEPKT4_S5_PKS7_SB_S5_SD_S8_SB_S5_SD_SB_S5_PS7_21rocsparse_index_base_SF_SF_SF_bbb
		.amdhsa_group_segment_fixed_size 0
		.amdhsa_private_segment_fixed_size 40
		.amdhsa_kernarg_size 172
		.amdhsa_user_sgpr_count 2
		.amdhsa_user_sgpr_dispatch_ptr 0
		.amdhsa_user_sgpr_queue_ptr 0
		.amdhsa_user_sgpr_kernarg_segment_ptr 1
		.amdhsa_user_sgpr_dispatch_id 0
		.amdhsa_user_sgpr_kernarg_preload_length 0
		.amdhsa_user_sgpr_kernarg_preload_offset 0
		.amdhsa_user_sgpr_private_segment_size 0
		.amdhsa_wavefront_size32 1
		.amdhsa_uses_dynamic_stack 0
		.amdhsa_enable_private_segment 1
		.amdhsa_system_sgpr_workgroup_id_x 1
		.amdhsa_system_sgpr_workgroup_id_y 0
		.amdhsa_system_sgpr_workgroup_id_z 0
		.amdhsa_system_sgpr_workgroup_info 0
		.amdhsa_system_vgpr_workitem_id 0
		.amdhsa_next_free_vgpr 34
		.amdhsa_next_free_sgpr 44
		.amdhsa_named_barrier_count 0
		.amdhsa_reserve_vcc 1
		.amdhsa_float_round_mode_32 0
		.amdhsa_float_round_mode_16_64 0
		.amdhsa_float_denorm_mode_32 3
		.amdhsa_float_denorm_mode_16_64 3
		.amdhsa_fp16_overflow 0
		.amdhsa_memory_ordered 1
		.amdhsa_forward_progress 1
		.amdhsa_inst_pref_size 30
		.amdhsa_round_robin_scheduling 0
		.amdhsa_exception_fp_ieee_invalid_op 0
		.amdhsa_exception_fp_denorm_src 0
		.amdhsa_exception_fp_ieee_div_zero 0
		.amdhsa_exception_fp_ieee_overflow 0
		.amdhsa_exception_fp_ieee_underflow 0
		.amdhsa_exception_fp_ieee_inexact 0
		.amdhsa_exception_int_div_zero 0
	.end_amdhsa_kernel
	.section	.text._ZN9rocsparseL41csrgemm_numeric_fill_block_per_row_kernelILj1024ELj64ELj32768ELj137ELj64Eli21rocsparse_complex_numIdEEEvT5_PKS3_S5_NS_24const_host_device_scalarIT6_EEPKT4_S5_PKS7_SB_S5_SD_S8_SB_S5_SD_SB_S5_PS7_21rocsparse_index_base_SF_SF_SF_bbb,"axG",@progbits,_ZN9rocsparseL41csrgemm_numeric_fill_block_per_row_kernelILj1024ELj64ELj32768ELj137ELj64Eli21rocsparse_complex_numIdEEEvT5_PKS3_S5_NS_24const_host_device_scalarIT6_EEPKT4_S5_PKS7_SB_S5_SD_S8_SB_S5_SD_SB_S5_PS7_21rocsparse_index_base_SF_SF_SF_bbb,comdat
.Lfunc_end237:
	.size	_ZN9rocsparseL41csrgemm_numeric_fill_block_per_row_kernelILj1024ELj64ELj32768ELj137ELj64Eli21rocsparse_complex_numIdEEEvT5_PKS3_S5_NS_24const_host_device_scalarIT6_EEPKT4_S5_PKS7_SB_S5_SD_S8_SB_S5_SD_SB_S5_PS7_21rocsparse_index_base_SF_SF_SF_bbb, .Lfunc_end237-_ZN9rocsparseL41csrgemm_numeric_fill_block_per_row_kernelILj1024ELj64ELj32768ELj137ELj64Eli21rocsparse_complex_numIdEEEvT5_PKS3_S5_NS_24const_host_device_scalarIT6_EEPKT4_S5_PKS7_SB_S5_SD_S8_SB_S5_SD_SB_S5_PS7_21rocsparse_index_base_SF_SF_SF_bbb
                                        ; -- End function
	.set _ZN9rocsparseL41csrgemm_numeric_fill_block_per_row_kernelILj1024ELj64ELj32768ELj137ELj64Eli21rocsparse_complex_numIdEEEvT5_PKS3_S5_NS_24const_host_device_scalarIT6_EEPKT4_S5_PKS7_SB_S5_SD_S8_SB_S5_SD_SB_S5_PS7_21rocsparse_index_base_SF_SF_SF_bbb.num_vgpr, 34
	.set _ZN9rocsparseL41csrgemm_numeric_fill_block_per_row_kernelILj1024ELj64ELj32768ELj137ELj64Eli21rocsparse_complex_numIdEEEvT5_PKS3_S5_NS_24const_host_device_scalarIT6_EEPKT4_S5_PKS7_SB_S5_SD_S8_SB_S5_SD_SB_S5_PS7_21rocsparse_index_base_SF_SF_SF_bbb.num_agpr, 0
	.set _ZN9rocsparseL41csrgemm_numeric_fill_block_per_row_kernelILj1024ELj64ELj32768ELj137ELj64Eli21rocsparse_complex_numIdEEEvT5_PKS3_S5_NS_24const_host_device_scalarIT6_EEPKT4_S5_PKS7_SB_S5_SD_S8_SB_S5_SD_SB_S5_PS7_21rocsparse_index_base_SF_SF_SF_bbb.numbered_sgpr, 44
	.set _ZN9rocsparseL41csrgemm_numeric_fill_block_per_row_kernelILj1024ELj64ELj32768ELj137ELj64Eli21rocsparse_complex_numIdEEEvT5_PKS3_S5_NS_24const_host_device_scalarIT6_EEPKT4_S5_PKS7_SB_S5_SD_S8_SB_S5_SD_SB_S5_PS7_21rocsparse_index_base_SF_SF_SF_bbb.num_named_barrier, 0
	.set _ZN9rocsparseL41csrgemm_numeric_fill_block_per_row_kernelILj1024ELj64ELj32768ELj137ELj64Eli21rocsparse_complex_numIdEEEvT5_PKS3_S5_NS_24const_host_device_scalarIT6_EEPKT4_S5_PKS7_SB_S5_SD_S8_SB_S5_SD_SB_S5_PS7_21rocsparse_index_base_SF_SF_SF_bbb.private_seg_size, 40
	.set _ZN9rocsparseL41csrgemm_numeric_fill_block_per_row_kernelILj1024ELj64ELj32768ELj137ELj64Eli21rocsparse_complex_numIdEEEvT5_PKS3_S5_NS_24const_host_device_scalarIT6_EEPKT4_S5_PKS7_SB_S5_SD_S8_SB_S5_SD_SB_S5_PS7_21rocsparse_index_base_SF_SF_SF_bbb.uses_vcc, 1
	.set _ZN9rocsparseL41csrgemm_numeric_fill_block_per_row_kernelILj1024ELj64ELj32768ELj137ELj64Eli21rocsparse_complex_numIdEEEvT5_PKS3_S5_NS_24const_host_device_scalarIT6_EEPKT4_S5_PKS7_SB_S5_SD_S8_SB_S5_SD_SB_S5_PS7_21rocsparse_index_base_SF_SF_SF_bbb.uses_flat_scratch, 1
	.set _ZN9rocsparseL41csrgemm_numeric_fill_block_per_row_kernelILj1024ELj64ELj32768ELj137ELj64Eli21rocsparse_complex_numIdEEEvT5_PKS3_S5_NS_24const_host_device_scalarIT6_EEPKT4_S5_PKS7_SB_S5_SD_S8_SB_S5_SD_SB_S5_PS7_21rocsparse_index_base_SF_SF_SF_bbb.has_dyn_sized_stack, 0
	.set _ZN9rocsparseL41csrgemm_numeric_fill_block_per_row_kernelILj1024ELj64ELj32768ELj137ELj64Eli21rocsparse_complex_numIdEEEvT5_PKS3_S5_NS_24const_host_device_scalarIT6_EEPKT4_S5_PKS7_SB_S5_SD_S8_SB_S5_SD_SB_S5_PS7_21rocsparse_index_base_SF_SF_SF_bbb.has_recursion, 0
	.set _ZN9rocsparseL41csrgemm_numeric_fill_block_per_row_kernelILj1024ELj64ELj32768ELj137ELj64Eli21rocsparse_complex_numIdEEEvT5_PKS3_S5_NS_24const_host_device_scalarIT6_EEPKT4_S5_PKS7_SB_S5_SD_S8_SB_S5_SD_SB_S5_PS7_21rocsparse_index_base_SF_SF_SF_bbb.has_indirect_call, 0
	.section	.AMDGPU.csdata,"",@progbits
; Kernel info:
; codeLenInByte = 3756
; TotalNumSgprs: 46
; NumVgprs: 34
; ScratchSize: 40
; MemoryBound: 0
; FloatMode: 240
; IeeeMode: 1
; LDSByteSize: 0 bytes/workgroup (compile time only)
; SGPRBlocks: 0
; VGPRBlocks: 2
; NumSGPRsForWavesPerEU: 46
; NumVGPRsForWavesPerEU: 34
; NamedBarCnt: 0
; Occupancy: 16
; WaveLimiterHint : 1
; COMPUTE_PGM_RSRC2:SCRATCH_EN: 1
; COMPUTE_PGM_RSRC2:USER_SGPR: 2
; COMPUTE_PGM_RSRC2:TRAP_HANDLER: 0
; COMPUTE_PGM_RSRC2:TGID_X_EN: 1
; COMPUTE_PGM_RSRC2:TGID_Y_EN: 0
; COMPUTE_PGM_RSRC2:TGID_Z_EN: 0
; COMPUTE_PGM_RSRC2:TIDIG_COMP_CNT: 0
	.section	.text._ZN9rocsparseL51csrgemm_numeric_fill_block_per_row_multipass_kernelILj512ELj16ELj2048ELj32Eli21rocsparse_complex_numIdEEEvT4_PKS3_S5_NS_24const_host_device_scalarIT5_EEPKT3_S5_PKS7_SB_S5_SD_S8_SB_S5_SD_SB_S5_PS7_PS9_21rocsparse_index_base_SG_SG_SG_bbb,"axG",@progbits,_ZN9rocsparseL51csrgemm_numeric_fill_block_per_row_multipass_kernelILj512ELj16ELj2048ELj32Eli21rocsparse_complex_numIdEEEvT4_PKS3_S5_NS_24const_host_device_scalarIT5_EEPKT3_S5_PKS7_SB_S5_SD_S8_SB_S5_SD_SB_S5_PS7_PS9_21rocsparse_index_base_SG_SG_SG_bbb,comdat
	.globl	_ZN9rocsparseL51csrgemm_numeric_fill_block_per_row_multipass_kernelILj512ELj16ELj2048ELj32Eli21rocsparse_complex_numIdEEEvT4_PKS3_S5_NS_24const_host_device_scalarIT5_EEPKT3_S5_PKS7_SB_S5_SD_S8_SB_S5_SD_SB_S5_PS7_PS9_21rocsparse_index_base_SG_SG_SG_bbb ; -- Begin function _ZN9rocsparseL51csrgemm_numeric_fill_block_per_row_multipass_kernelILj512ELj16ELj2048ELj32Eli21rocsparse_complex_numIdEEEvT4_PKS3_S5_NS_24const_host_device_scalarIT5_EEPKT3_S5_PKS7_SB_S5_SD_S8_SB_S5_SD_SB_S5_PS7_PS9_21rocsparse_index_base_SG_SG_SG_bbb
	.p2align	8
	.type	_ZN9rocsparseL51csrgemm_numeric_fill_block_per_row_multipass_kernelILj512ELj16ELj2048ELj32Eli21rocsparse_complex_numIdEEEvT4_PKS3_S5_NS_24const_host_device_scalarIT5_EEPKT3_S5_PKS7_SB_S5_SD_S8_SB_S5_SD_SB_S5_PS7_PS9_21rocsparse_index_base_SG_SG_SG_bbb,@function
_ZN9rocsparseL51csrgemm_numeric_fill_block_per_row_multipass_kernelILj512ELj16ELj2048ELj32Eli21rocsparse_complex_numIdEEEvT4_PKS3_S5_NS_24const_host_device_scalarIT5_EEPKT3_S5_PKS7_SB_S5_SD_S8_SB_S5_SD_SB_S5_PS7_PS9_21rocsparse_index_base_SG_SG_SG_bbb: ; @_ZN9rocsparseL51csrgemm_numeric_fill_block_per_row_multipass_kernelILj512ELj16ELj2048ELj32Eli21rocsparse_complex_numIdEEEvT4_PKS3_S5_NS_24const_host_device_scalarIT5_EEPKT3_S5_PKS7_SB_S5_SD_S8_SB_S5_SD_SB_S5_PS7_PS9_21rocsparse_index_base_SG_SG_SG_bbb
; %bb.0:
	s_clause 0x3
	s_load_b32 s5, s[2:3], 0xb0
	s_load_b256 s[8:15], s[2:3], 0x8
	s_load_b128 s[16:19], s[2:3], 0x58
	s_load_b128 s[28:31], s[2:3], 0xa0
	v_mov_b64_e32 v[10:11], 0
	v_mov_b64_e32 v[8:9], 0
	v_mov_b64_e32 v[12:13], 0
	v_mbcnt_lo_u32_b32 v1, -1, 0
	s_wait_kmcnt 0x0
	s_bitcmp1_b32 s5, 0
	v_mov_b64_e32 v[2:3], s[12:13]
	s_cselect_b32 s52, -1, 0
	s_bitcmp1_b32 s5, 16
	v_mov_b64_e32 v[4:5], s[16:17]
	s_cselect_b32 s4, -1, 0
	s_clause 0x1
	scratch_store_b64 off, v[2:3], off
	scratch_store_b64 off, v[4:5], off offset:8
	s_xor_b32 s6, s4, -1
	s_bitcmp0_b32 s5, 0
	s_cbranch_scc1 .LBB238_3
; %bb.1:
	s_wait_xcnt 0x1
	v_dual_mov_b32 v2, 0 :: v_dual_lshlrev_b32 v3, 20, v1
	v_mov_b64_e32 v[12:13], s[14:15]
	s_and_not1_b32 vcc_lo, exec_lo, s6
	s_delay_alu instid0(VALU_DEP_2) | instskip(NEXT) | instid1(VALU_DEP_1)
	v_add_nc_u64_e32 v[2:3], src_flat_scratch_base_lo, v[2:3]
	v_cndmask_b32_e64 v3, s13, v3, s4
	s_delay_alu instid0(VALU_DEP_2)
	v_cndmask_b32_e64 v2, s12, v2, s4
	flat_load_b64 v[8:9], v[2:3]
	s_cbranch_vccnz .LBB238_3
; %bb.2:
	s_wait_xcnt 0x0
	v_mov_b32_e32 v2, 0
	flat_load_b64 v[12:13], v2, s[12:13] offset:8
.LBB238_3:
	v_mov_b64_e32 v[14:15], 0
	s_bitcmp1_b32 s5, 8
	s_cselect_b32 s33, -1, 0
	s_bfe_u32 s5, s5, 0x10008
	s_delay_alu instid0(SALU_CYCLE_1)
	s_cmp_eq_u32 s5, 0
	s_cbranch_scc1 .LBB238_6
; %bb.4:
	s_wait_xcnt 0x0
	v_dual_mov_b32 v2, 8 :: v_dual_lshlrev_b32 v3, 20, v1
	v_mov_b64_e32 v[10:11], s[18:19]
	s_and_not1_b32 vcc_lo, exec_lo, s6
	s_delay_alu instid0(VALU_DEP_2) | instskip(NEXT) | instid1(VALU_DEP_1)
	v_add_nc_u64_e32 v[2:3], src_flat_scratch_base_lo, v[2:3]
	v_cndmask_b32_e64 v3, s17, v3, s4
	s_delay_alu instid0(VALU_DEP_2)
	v_cndmask_b32_e64 v2, s16, v2, s4
	flat_load_b64 v[14:15], v[2:3]
	s_cbranch_vccnz .LBB238_6
; %bb.5:
	s_wait_xcnt 0x0
	v_mov_b32_e32 v2, 0
	flat_load_b64 v[10:11], v2, s[16:17] offset:8
.LBB238_6:
	s_load_b32 s4, s[8:9], 0x0
	s_bfe_u32 s5, ttmp6, 0x4000c
	s_and_b32 s6, ttmp6, 15
	s_add_co_i32 s5, s5, 1
	s_getreg_b32 s7, hwreg(HW_REG_IB_STS2, 6, 4)
	s_mul_i32 s5, ttmp9, s5
	s_mov_b64 s[34:35], 0
	s_add_co_i32 s6, s6, s5
	s_cmp_eq_u32 s7, 0
	s_cselect_b32 s5, ttmp9, s6
	s_and_not1_b32 vcc_lo, exec_lo, s52
	s_wait_kmcnt 0x0
	s_add_co_i32 s4, s4, s5
	s_load_b64 s[8:9], s[2:3], 0x28
	s_load_b32 s6, s[10:11], s4 offset:0x0 scale_offset
	s_wait_xcnt 0x0
	s_mov_b32 s11, 0
	s_mov_b64 s[4:5], 0
	s_cbranch_vccz .LBB238_9
; %bb.7:
	s_and_not1_b32 vcc_lo, exec_lo, s52
	s_cbranch_vccz .LBB238_10
.LBB238_8:
	s_load_b32 s54, s[2:3], 0x0
	s_wait_kmcnt 0x0
	s_cmp_lt_i32 s54, 1
	s_cbranch_scc0 .LBB238_11
	s_branch .LBB238_64
.LBB238_9:
	s_wait_kmcnt 0x0
	s_ashr_i32 s7, s6, 31
	s_mov_b32 s10, s28
	s_lshl_b64 s[4:5], s[6:7], 3
	s_delay_alu instid0(SALU_CYCLE_1)
	s_add_nc_u64 s[4:5], s[8:9], s[4:5]
	s_load_b64 s[4:5], s[4:5], 0x0
	s_wait_kmcnt 0x0
	s_sub_nc_u64 s[4:5], s[4:5], s[10:11]
	s_and_not1_b32 vcc_lo, exec_lo, s52
	s_cbranch_vccnz .LBB238_8
.LBB238_10:
	s_wait_kmcnt 0x0
	s_ashr_i32 s7, s6, 31
	s_delay_alu instid0(SALU_CYCLE_1) | instskip(NEXT) | instid1(SALU_CYCLE_1)
	s_lshl_b64 s[10:11], s[6:7], 3
	s_add_nc_u64 s[8:9], s[8:9], s[10:11]
	s_mov_b32 s11, 0
	s_load_b64 s[8:9], s[8:9], 0x8
	s_mov_b32 s10, s28
	s_wait_kmcnt 0x0
	s_sub_nc_u64 s[34:35], s[8:9], s[10:11]
	s_load_b32 s54, s[2:3], 0x0
	s_wait_kmcnt 0x0
	s_cmp_lt_i32 s54, 1
	s_cbranch_scc1 .LBB238_64
.LBB238_11:
	s_load_b256 s[20:27], s[2:3], 0x68
	s_load_b64 s[8:9], s[0:1], 0x4
	s_clause 0x2
	s_load_b256 s[36:43], s[2:3], 0x30
	s_load_b128 s[44:47], s[2:3], 0x90
	s_load_b64 s[18:19], s[2:3], 0x50
	v_and_b32_e32 v2, 0x3ff, v0
	v_dual_mov_b32 v17, 0 :: v_dual_bitop2_b32 v4, 15, v0 bitop3:0x40
	s_ashr_i32 s7, s6, 31
	v_xor_b32_e32 v7, 8, v1
	s_wait_xcnt 0x0
	s_lshl_b64 s[2:3], s[6:7], 3
	v_bfe_u32 v5, v0, 10, 10
	v_mov_b32_e32 v3, v17
	v_bfe_u32 v16, v0, 4, 6
	v_cmp_gt_i32_e32 vcc_lo, 32, v7
	v_xor_b32_e32 v22, 4, v1
	v_bfe_u32 v6, v0, 20, 10
	v_xor_b32_e32 v24, 2, v1
	s_mov_b32 s49, 0
	v_cndmask_b32_e32 v7, v1, v7, vcc_lo
	s_wait_kmcnt 0x0
	s_add_nc_u64 s[0:1], s[26:27], s[2:3]
	s_lshr_b32 s8, s8, 16
	s_load_b64 s[6:7], s[0:1], 0x0
	s_mul_i32 s8, s8, s9
	v_mul_u32_u24_e32 v5, s9, v5
	v_mul_lo_u32 v20, s8, v2
	s_add_nc_u64 s[26:27], s[20:21], s[2:3]
	v_cmp_gt_i32_e64 s2, 32, v22
	s_mov_b32 s50, s31
	s_mov_b32 s51, s49
	v_dual_lshlrev_b32 v23, 2, v7 :: v_dual_bitop2_b32 v25, 1, v1 bitop3:0x14
	v_add_nc_u64_e32 v[18:19], s[4:5], v[16:17]
	v_mov_b32_e32 v16, v4
	s_wait_xcnt 0x0
	v_cmp_eq_u32_e64 s1, 15, v4
	s_mov_b32 s48, s30
	v_add3_u32 v4, v20, v5, v6
	v_sub_nc_u64_e64 v[20:21], v[2:3], s[50:51]
	v_cndmask_b32_e64 v3, v1, v22, s2
	v_cmp_gt_i32_e64 s2, 32, v24
	v_cmp_gt_i64_e32 vcc_lo, s[34:35], v[18:19]
	v_lshl_add_u32 v42, v4, 4, 0x8808
	s_wait_kmcnt 0x0
	s_sub_nc_u64 s[20:21], s[6:7], s[48:49]
	v_cmp_eq_u32_e64 s0, 0, v2
	v_cndmask_b32_e64 v4, v1, v24, s2
	v_cmp_gt_i32_e64 s2, 32, v25
	v_dual_lshrrev_b32 v0, 3, v0 :: v_dual_lshlrev_b32 v43, 2, v3
	v_cmp_gt_u32_e64 s3, 32, v2
	v_cmp_gt_u32_e64 s4, 64, v2
	s_delay_alu instid0(VALU_DEP_4)
	v_cndmask_b32_e64 v5, v1, v25, s2
	v_xor_b32_e32 v1, 31, v1
	v_mov_b64_e32 v[24:25], s[20:21]
	v_lshlrev_b32_e32 v44, 2, v4
	v_dual_lshlrev_b32 v48, 4, v2 :: v_dual_bitop2_b32 v46, 60, v0 bitop3:0x40
	v_lshlrev_b32_e32 v45, 2, v5
	v_lshrrev_b32_e64 v22, v1, -1
	v_cmp_eq_u32_e64 s2, 0x1ff, v2
	v_cmp_gt_u32_e64 s5, 0x60, v2
	v_cmp_gt_u32_e64 s6, 0x80, v2
	v_cmp_gt_u32_e64 s7, 0xa0, v2
	v_cmp_gt_u32_e64 s8, 0xc0, v2
	v_cmp_gt_u32_e64 s9, 0xe0, v2
	v_cmp_gt_u32_e64 s10, 0x100, v2
	v_cmp_gt_u32_e64 s11, 0x120, v2
	v_cmp_gt_u32_e64 s12, 0x140, v2
	v_cmp_gt_u32_e64 s13, 0x160, v2
	v_cmp_gt_u32_e64 s14, 0x180, v2
	v_cmp_gt_u32_e64 s15, 0x1a0, v2
	v_cmp_gt_u32_e64 s16, 0x1c0, v2
	v_cmp_gt_u32_e64 s17, 0x1e0, v2
	v_or_b32_e32 v47, 0xfffffe00, v2
	v_dual_mov_b32 v50, 0x800 :: v_dual_mov_b32 v1, v17
	v_dual_mov_b32 v0, v17 :: v_dual_mov_b32 v2, v17
	;; [unrolled: 1-line block ×3, first 2 shown]
	v_mov_b32_e32 v51, v17
	s_mov_b32 s48, s29
	s_and_b32 s30, s52, vcc_lo
	s_add_nc_u64 s[52:53], s[18:19], 8
	s_add_nc_u64 s[24:25], s[24:25], 8
	s_branch .LBB238_13
.LBB238_12:                             ;   in Loop: Header=BB238_13 Depth=1
	s_or_b32 exec_lo, exec_lo, s18
	ds_load_b32 v51, v17 offset:34816
	s_wait_dscnt 0x0
	s_barrier_signal -1
	s_barrier_wait -1
	v_cmp_le_i32_e32 vcc_lo, s54, v51
	v_add_nc_u32_e32 v50, 0x800, v51
	s_cbranch_vccnz .LBB238_64
.LBB238_13:                             ; =>This Loop Header: Depth=1
                                        ;     Child Loop BB238_14 Depth 2
                                        ;     Child Loop BB238_20 Depth 2
                                        ;       Child Loop BB238_26 Depth 3
                                        ;     Child Loop BB238_43 Depth 2
                                        ;     Child Loop BB238_55 Depth 2
	;; [unrolled: 1-line block ×3, first 2 shown]
	v_dual_mov_b32 v4, v48 :: v_dual_mov_b32 v5, v47
	s_mov_b32 s18, 0
.LBB238_14:                             ;   Parent Loop BB238_13 Depth=1
                                        ; =>  This Inner Loop Header: Depth=2
	ds_store_b8 v5, v17 offset:33280
	v_add_nc_u32_e32 v5, 0x200, v5
	ds_store_b128 v4, v[0:3]
	v_add_nc_u32_e32 v4, 0x2000, v4
	v_cmp_lt_u32_e32 vcc_lo, 0x5ff, v5
	s_or_b32 s18, vcc_lo, s18
	s_delay_alu instid0(SALU_CYCLE_1)
	s_and_not1_b32 exec_lo, exec_lo, s18
	s_cbranch_execnz .LBB238_14
; %bb.15:                               ;   in Loop: Header=BB238_13 Depth=1
	s_or_b32 exec_lo, exec_lo, s18
	s_and_saveexec_b32 s18, s0
; %bb.16:                               ;   in Loop: Header=BB238_13 Depth=1
	v_mov_b32_e32 v4, s54
	ds_store_b32 v17, v4 offset:34816
; %bb.17:                               ;   in Loop: Header=BB238_13 Depth=1
	s_or_b32 exec_lo, exec_lo, s18
	v_mov_b32_e32 v52, s54
	s_wait_storecnt 0x0
	s_wait_loadcnt_dscnt 0x0
	s_barrier_signal -1
	s_barrier_wait -1
	s_and_saveexec_b32 s21, s30
	s_cbranch_execz .LBB238_39
; %bb.18:                               ;   in Loop: Header=BB238_13 Depth=1
	v_mov_b64_e32 v[26:27], v[18:19]
	v_cmp_ne_u32_e64 s18, 0, v51
	v_mov_b32_e32 v52, s54
	s_mov_b32 s55, 0
	s_branch .LBB238_20
.LBB238_19:                             ;   in Loop: Header=BB238_20 Depth=2
	s_wait_xcnt 0x0
	s_or_b32 exec_lo, exec_lo, s19
	v_add_nc_u64_e32 v[26:27], 32, v[26:27]
	s_delay_alu instid0(VALU_DEP_1) | instskip(SKIP_1) | instid1(SALU_CYCLE_1)
	v_cmp_le_i64_e32 vcc_lo, s[34:35], v[26:27]
	s_or_b32 s55, vcc_lo, s55
	s_and_not1_b32 exec_lo, exec_lo, s55
	s_cbranch_execz .LBB238_38
.LBB238_20:                             ;   Parent Loop BB238_13 Depth=1
                                        ; =>  This Loop Header: Depth=2
                                        ;       Child Loop BB238_26 Depth 3
	v_lshl_add_u64 v[4:5], v[26:27], 2, s[36:37]
	s_and_b32 vcc_lo, exec_lo, s18
	global_load_b32 v28, v[4:5], off
	s_wait_xcnt 0x0
	v_lshl_add_u64 v[4:5], v[26:27], 4, s[38:39]
	s_wait_dscnt 0x0
	global_load_b128 v[4:7], v[4:5], off
	s_wait_loadcnt 0x1
	v_subrev_nc_u32_e32 v30, s28, v28
	v_lshl_add_u64 v[28:29], v[26:27], 3, s[46:47]
	s_delay_alu instid0(VALU_DEP_2)
	v_ashrrev_i32_e32 v31, 31, v30
	s_cbranch_vccz .LBB238_37
; %bb.21:                               ;   in Loop: Header=BB238_20 Depth=2
	global_load_b64 v[34:35], v[28:29], off
	s_cbranch_execnz .LBB238_23
.LBB238_22:                             ;   in Loop: Header=BB238_20 Depth=2
	global_load_b64 v[32:33], v30, s[40:41] scale_offset
	s_wait_loadcnt 0x0
	v_sub_nc_u64_e64 v[34:35], v[32:33], s[48:49]
.LBB238_23:                             ;   in Loop: Header=BB238_20 Depth=2
	s_wait_xcnt 0x0
	v_lshl_add_u64 v[30:31], v[30:31], 3, s[40:41]
	s_mov_b32 s56, exec_lo
	global_load_b64 v[30:31], v[30:31], off offset:8
	s_wait_loadcnt 0x0
	v_sub_nc_u64_e64 v[32:33], v[30:31], s[48:49]
	s_wait_xcnt 0x0
	v_add_nc_u64_e32 v[30:31], v[34:35], v[16:17]
	s_delay_alu instid0(VALU_DEP_1)
	v_cmpx_lt_i64_e64 v[30:31], v[32:33]
	s_cbranch_execz .LBB238_35
; %bb.24:                               ;   in Loop: Header=BB238_20 Depth=2
	v_mul_f64_e64 v[34:35], v[6:7], -v[12:13]
	v_mul_f64_e32 v[6:7], v[8:9], v[6:7]
	v_mov_b64_e32 v[40:41], v[30:31]
	v_lshl_add_u64 v[36:37], v[30:31], 4, s[52:53]
	s_mov_b32 s58, 0
                                        ; implicit-def: $sgpr57
                                        ; implicit-def: $sgpr59
	s_delay_alu instid0(VALU_DEP_4) | instskip(NEXT) | instid1(VALU_DEP_4)
	v_fmac_f64_e32 v[34:35], v[8:9], v[4:5]
	v_fmac_f64_e32 v[6:7], v[12:13], v[4:5]
	v_lshl_add_u64 v[4:5], v[30:31], 2, s[42:43]
	s_branch .LBB238_26
.LBB238_25:                             ;   in Loop: Header=BB238_26 Depth=3
	s_or_b32 exec_lo, exec_lo, s60
	s_delay_alu instid0(SALU_CYCLE_1) | instskip(NEXT) | instid1(SALU_CYCLE_1)
	s_and_b32 s19, exec_lo, s20
	s_or_b32 s58, s19, s58
	s_and_not1_b32 s19, s57, exec_lo
	s_and_b32 s20, s59, exec_lo
	s_delay_alu instid0(SALU_CYCLE_1)
	s_or_b32 s57, s19, s20
	s_and_not1_b32 exec_lo, exec_lo, s58
	s_cbranch_execz .LBB238_32
.LBB238_26:                             ;   Parent Loop BB238_13 Depth=1
                                        ;     Parent Loop BB238_20 Depth=2
                                        ; =>    This Inner Loop Header: Depth=3
	global_load_b32 v38, v[4:5], off
	s_wait_loadcnt 0x0
	v_subrev_nc_u32_e32 v53, s29, v38
	v_mov_b64_e32 v[38:39], v[40:41]
	s_delay_alu instid0(VALU_DEP_2)
	v_cmp_lt_i32_e64 s19, v53, v51
	v_cmp_ge_i32_e64 s20, v53, v50
	v_cmp_lt_i32_e32 vcc_lo, v53, v50
	s_or_b32 s20, s19, s20
	s_mov_b32 s19, 0
	s_wait_xcnt 0x0
	s_and_saveexec_b32 s60, s20
	s_delay_alu instid0(SALU_CYCLE_1)
	s_xor_b32 s20, exec_lo, s60
; %bb.27:                               ;   in Loop: Header=BB238_26 Depth=3
	s_and_b32 s19, vcc_lo, exec_lo
; %bb.28:                               ;   in Loop: Header=BB238_26 Depth=3
	s_and_not1_saveexec_b32 s20, s20
	s_cbranch_execz .LBB238_30
; %bb.29:                               ;   in Loop: Header=BB238_26 Depth=3
	global_load_b128 v[54:57], v[36:37], off offset:-8
	s_or_b32 s19, s19, exec_lo
	s_wait_loadcnt 0x0
	v_mul_f64_e64 v[40:41], v[56:57], -v[6:7]
	v_mul_f64_e32 v[56:57], v[34:35], v[56:57]
	s_delay_alu instid0(VALU_DEP_2) | instskip(NEXT) | instid1(VALU_DEP_2)
	v_fmac_f64_e32 v[40:41], v[34:35], v[54:55]
	v_fmac_f64_e32 v[56:57], v[6:7], v[54:55]
	v_sub_nc_u32_e32 v54, v53, v51
	s_delay_alu instid0(VALU_DEP_1)
	v_lshlrev_b32_e32 v55, 4, v54
	ds_store_b8 v54, v49 offset:32768
	ds_add_f64 v55, v[40:41]
	ds_add_f64 v55, v[56:57] offset:8
.LBB238_30:                             ;   in Loop: Header=BB238_26 Depth=3
	s_wait_xcnt 0x0
	s_or_b32 exec_lo, exec_lo, s20
	s_mov_b32 s20, -1
	s_or_b32 s59, s59, exec_lo
                                        ; implicit-def: $vgpr40_vgpr41
	s_and_saveexec_b32 s60, s19
	s_cbranch_execz .LBB238_25
; %bb.31:                               ;   in Loop: Header=BB238_26 Depth=3
	v_add_nc_u64_e32 v[40:41], 16, v[38:39]
	v_add_nc_u64_e32 v[4:5], 64, v[4:5]
	;; [unrolled: 1-line block ×3, first 2 shown]
	s_and_not1_b32 s59, s59, exec_lo
	s_delay_alu instid0(VALU_DEP_3)
	v_cmp_ge_i64_e32 vcc_lo, v[40:41], v[32:33]
	s_or_not1_b32 s20, vcc_lo, exec_lo
	s_branch .LBB238_25
.LBB238_32:                             ;   in Loop: Header=BB238_20 Depth=2
	s_or_b32 exec_lo, exec_lo, s58
	s_and_saveexec_b32 s19, s57
	s_delay_alu instid0(SALU_CYCLE_1)
	s_xor_b32 s19, exec_lo, s19
; %bb.33:                               ;   in Loop: Header=BB238_20 Depth=2
	v_mov_b64_e32 v[30:31], v[38:39]
	v_min_i32_e32 v52, v53, v52
; %bb.34:                               ;   in Loop: Header=BB238_20 Depth=2
	s_or_b32 exec_lo, exec_lo, s19
.LBB238_35:                             ;   in Loop: Header=BB238_20 Depth=2
	s_delay_alu instid0(SALU_CYCLE_1)
	s_or_b32 exec_lo, exec_lo, s56
	ds_bpermute_b32 v4, v23, v30
	ds_bpermute_b32 v5, v23, v31
	s_wait_dscnt 0x0
	v_min_i64 v[4:5], v[4:5], v[30:31]
	ds_bpermute_b32 v6, v43, v4
	ds_bpermute_b32 v7, v43, v5
	s_wait_dscnt 0x0
	v_min_i64 v[4:5], v[6:7], v[4:5]
	;; [unrolled: 4-line block ×3, first 2 shown]
	ds_bpermute_b32 v6, v45, v4
	ds_bpermute_b32 v7, v45, v5
	s_and_saveexec_b32 s19, s1
	s_cbranch_execz .LBB238_19
; %bb.36:                               ;   in Loop: Header=BB238_20 Depth=2
	s_wait_dscnt 0x0
	v_min_i64 v[4:5], v[6:7], v[4:5]
	global_store_b64 v[28:29], v[4:5], off
	s_branch .LBB238_19
.LBB238_37:                             ;   in Loop: Header=BB238_20 Depth=2
                                        ; implicit-def: $vgpr34_vgpr35
	s_branch .LBB238_22
.LBB238_38:                             ;   in Loop: Header=BB238_13 Depth=1
	s_or_b32 exec_lo, exec_lo, s55
.LBB238_39:                             ;   in Loop: Header=BB238_13 Depth=1
	s_delay_alu instid0(SALU_CYCLE_1) | instskip(NEXT) | instid1(SALU_CYCLE_1)
	s_or_b32 exec_lo, exec_lo, s21
	s_and_not1_b32 vcc_lo, exec_lo, s33
	s_cbranch_vccnz .LBB238_53
; %bb.40:                               ;   in Loop: Header=BB238_13 Depth=1
	s_load_b128 s[56:59], s[26:27], 0x0
	s_mov_b32 s55, exec_lo
	s_wait_kmcnt 0x0
	v_add_nc_u64_e32 v[4:5], s[56:57], v[20:21]
	s_sub_nc_u64 s[20:21], s[58:59], s[50:51]
	s_delay_alu instid0(VALU_DEP_1) | instid1(SALU_CYCLE_1)
	v_cmpx_gt_i64_e64 s[20:21], v[4:5]
	s_cbranch_execz .LBB238_52
; %bb.41:                               ;   in Loop: Header=BB238_13 Depth=1
	s_wait_dscnt 0x0
	v_lshl_add_u64 v[6:7], v[4:5], 2, s[22:23]
	v_lshl_add_u64 v[26:27], v[4:5], 4, s[24:25]
	s_mov_b32 s56, 0
                                        ; implicit-def: $sgpr57
                                        ; implicit-def: $sgpr58
	s_branch .LBB238_43
.LBB238_42:                             ;   in Loop: Header=BB238_43 Depth=2
	s_or_b32 exec_lo, exec_lo, s59
	s_delay_alu instid0(SALU_CYCLE_1) | instskip(NEXT) | instid1(SALU_CYCLE_1)
	s_and_b32 s18, exec_lo, s19
	s_or_b32 s56, s18, s56
	s_and_not1_b32 s18, s57, exec_lo
	s_and_b32 s19, s58, exec_lo
	s_delay_alu instid0(SALU_CYCLE_1)
	s_or_b32 s57, s18, s19
	s_and_not1_b32 exec_lo, exec_lo, s56
	s_cbranch_execz .LBB238_49
.LBB238_43:                             ;   Parent Loop BB238_13 Depth=1
                                        ; =>  This Inner Loop Header: Depth=2
	global_load_b32 v28, v[6:7], off
	s_wait_loadcnt 0x0
	v_subrev_nc_u32_e32 v28, s31, v28
	s_delay_alu instid0(VALU_DEP_1)
	v_cmp_lt_i32_e64 s18, v28, v51
	v_cmp_ge_i32_e64 s19, v28, v50
	v_cmp_lt_i32_e32 vcc_lo, v28, v50
	s_or_b32 s19, s18, s19
	s_mov_b32 s18, 0
	s_wait_xcnt 0x0
	s_and_saveexec_b32 s59, s19
	s_delay_alu instid0(SALU_CYCLE_1)
	s_xor_b32 s19, exec_lo, s59
; %bb.44:                               ;   in Loop: Header=BB238_43 Depth=2
	s_and_b32 s18, vcc_lo, exec_lo
; %bb.45:                               ;   in Loop: Header=BB238_43 Depth=2
	s_and_not1_saveexec_b32 s19, s19
	s_cbranch_execz .LBB238_47
; %bb.46:                               ;   in Loop: Header=BB238_43 Depth=2
	global_load_b128 v[30:33], v[26:27], off offset:-8
	v_sub_nc_u32_e32 v29, v28, v51
	s_or_b32 s18, s18, exec_lo
	ds_store_b8 v29, v49 offset:32768
	s_wait_loadcnt 0x0
	v_mul_f64_e64 v[34:35], v[32:33], -v[10:11]
	v_mul_f64_e32 v[32:33], v[14:15], v[32:33]
	s_delay_alu instid0(VALU_DEP_2) | instskip(NEXT) | instid1(VALU_DEP_2)
	v_fmac_f64_e32 v[34:35], v[14:15], v[30:31]
	v_fmac_f64_e32 v[32:33], v[10:11], v[30:31]
	v_lshlrev_b32_e32 v30, 4, v29
	ds_add_f64 v30, v[34:35]
	ds_add_f64 v30, v[32:33] offset:8
.LBB238_47:                             ;   in Loop: Header=BB238_43 Depth=2
	s_wait_xcnt 0x0
	s_or_b32 exec_lo, exec_lo, s19
	s_mov_b32 s19, -1
	s_or_b32 s58, s58, exec_lo
	s_and_saveexec_b32 s59, s18
	s_cbranch_execz .LBB238_42
; %bb.48:                               ;   in Loop: Header=BB238_43 Depth=2
	v_add_nc_u64_e32 v[4:5], 0x200, v[4:5]
	v_add_nc_u64_e32 v[6:7], 0x800, v[6:7]
	v_add_nc_u64_e32 v[26:27], 0x2000, v[26:27]
	s_and_not1_b32 s58, s58, exec_lo
	s_delay_alu instid0(VALU_DEP_3)
	v_cmp_le_i64_e32 vcc_lo, s[20:21], v[4:5]
	s_or_not1_b32 s19, vcc_lo, exec_lo
	s_branch .LBB238_42
.LBB238_49:                             ;   in Loop: Header=BB238_13 Depth=1
	s_or_b32 exec_lo, exec_lo, s56
	s_and_saveexec_b32 s18, s57
	s_delay_alu instid0(SALU_CYCLE_1)
	s_xor_b32 s18, exec_lo, s18
; %bb.50:                               ;   in Loop: Header=BB238_13 Depth=1
	v_min_i32_e32 v52, v28, v52
; %bb.51:                               ;   in Loop: Header=BB238_13 Depth=1
	s_or_b32 exec_lo, exec_lo, s18
.LBB238_52:                             ;   in Loop: Header=BB238_13 Depth=1
	s_delay_alu instid0(SALU_CYCLE_1)
	s_or_b32 exec_lo, exec_lo, s55
.LBB238_53:                             ;   in Loop: Header=BB238_13 Depth=1
	ds_bpermute_b32 v4, v23, v52
	s_wait_dscnt 0x0
	v_min_i32_e32 v4, v4, v52
	ds_bpermute_b32 v5, v43, v4
	s_wait_dscnt 0x0
	v_min_i32_e32 v4, v5, v4
	;; [unrolled: 3-line block ×3, first 2 shown]
	ds_bpermute_b32 v5, v45, v4
	s_and_saveexec_b32 s18, s1
	s_cbranch_execz .LBB238_58
; %bb.54:                               ;   in Loop: Header=BB238_13 Depth=1
	s_wait_dscnt 0x0
	v_min_i32_e32 v4, v5, v4
	s_mov_b32 s20, exec_lo
	s_brev_b32 s19, -2
.LBB238_55:                             ;   Parent Loop BB238_13 Depth=1
                                        ; =>  This Inner Loop Header: Depth=2
	s_ctz_i32_b32 s21, s20
	s_delay_alu instid0(VALU_DEP_1) | instid1(SALU_CYCLE_1)
	v_readlane_b32 s55, v4, s21
	s_lshl_b32 s21, 1, s21
	s_delay_alu instid0(SALU_CYCLE_1)
	s_and_not1_b32 s20, s20, s21
	s_min_i32 s19, s19, s55
	s_cmp_lg_u32 s20, 0
	s_cbranch_scc1 .LBB238_55
; %bb.56:                               ;   in Loop: Header=BB238_13 Depth=1
	v_mbcnt_lo_u32_b32 v4, exec_lo, 0
	s_mov_b32 s20, exec_lo
	s_delay_alu instid0(VALU_DEP_1)
	v_cmpx_eq_u32_e32 0, v4
	s_xor_b32 s20, exec_lo, s20
; %bb.57:                               ;   in Loop: Header=BB238_13 Depth=1
	v_mov_b32_e32 v4, s19
	ds_min_i32 v17, v4 offset:34816
.LBB238_58:                             ;   in Loop: Header=BB238_13 Depth=1
	s_or_b32 exec_lo, exec_lo, s18
	v_dual_mov_b32 v6, v48 :: v_dual_mov_b32 v7, v47
	s_mov_b32 s18, 0
	s_wait_storecnt_dscnt 0x0
	s_barrier_signal -1
	s_barrier_wait -1
	s_branch .LBB238_60
.LBB238_59:                             ;   in Loop: Header=BB238_60 Depth=2
	s_or_b32 exec_lo, exec_lo, s19
	s_wait_storecnt_dscnt 0x0
	s_barrier_signal -1
	s_barrier_wait -1
	ds_load_b32 v4, v17 offset:60
	v_add_nc_u32_e32 v7, 0x200, v7
	v_add_nc_u32_e32 v6, 0x2000, v6
	s_delay_alu instid0(VALU_DEP_2) | instskip(SKIP_3) | instid1(VALU_DEP_1)
	v_cmp_lt_u32_e32 vcc_lo, 0x5ff, v7
	s_or_b32 s18, vcc_lo, s18
	s_wait_dscnt 0x0
	v_ashrrev_i32_e32 v5, 31, v4
	v_add_nc_u64_e32 v[24:25], v[24:25], v[4:5]
	s_and_not1_b32 exec_lo, exec_lo, s18
	s_cbranch_execz .LBB238_12
.LBB238_60:                             ;   Parent Loop BB238_13 Depth=1
                                        ; =>  This Inner Loop Header: Depth=2
	ds_load_u8 v4, v7 offset:33280
	ds_load_2addr_b64 v[26:29], v6 offset1:1
	s_wait_dscnt 0x1
	v_cmp_ne_u16_e32 vcc_lo, 0, v4
	s_wait_dscnt 0x0
	ds_store_2addr_b64 v42, v[26:27], v[28:29] offset1:1
	s_wait_dscnt 0x0
	s_barrier_signal -1
	s_barrier_wait -1
	s_bcnt1_i32_b32 s19, vcc_lo
	s_delay_alu instid0(SALU_CYCLE_1)
	v_mov_b32_e32 v5, s19
	s_mov_b32 s19, exec_lo
	ds_store_b32 v46, v5
	s_wait_dscnt 0x0
	s_barrier_signal -1
	s_barrier_wait -1
	ds_load_b128 v[26:29], v17
	ds_load_b128 v[30:33], v17 offset:16
	v_and_b32_e32 v5, vcc_lo, v22
	ds_load_b128 v[34:37], v17 offset:32
	s_wait_dscnt 0x2
	v_cndmask_b32_e64 v26, v26, 0, s3
	v_cndmask_b32_e64 v38, v27, 0, s4
	v_cndmask_b32_e64 v39, v28, 0, s5
	v_cndmask_b32_e64 v29, v29, 0, s6
	s_wait_dscnt 0x1
	v_cndmask_b32_e64 v30, v30, 0, s7
	v_bcnt_u32_b32 v5, v5, v26
	ds_load_b96 v[26:28], v17 offset:48
	v_cndmask_b32_e64 v31, v31, 0, s8
	v_cndmask_b32_e64 v32, v32, 0, s9
	v_add3_u32 v5, v5, v38, v39
	s_delay_alu instid0(VALU_DEP_1) | instskip(SKIP_3) | instid1(VALU_DEP_3)
	v_add3_u32 v5, v5, v29, v30
	v_cndmask_b32_e64 v29, v33, 0, s10
	s_wait_dscnt 0x1
	v_cndmask_b32_e64 v30, v34, 0, s11
	v_add3_u32 v5, v5, v31, v32
	v_cndmask_b32_e64 v31, v35, 0, s12
	v_cndmask_b32_e64 v32, v36, 0, s13
	s_delay_alu instid0(VALU_DEP_3)
	v_add3_u32 v5, v5, v29, v30
	v_cndmask_b32_e64 v29, v37, 0, s14
	s_wait_dscnt 0x0
	v_cndmask_b32_e64 v26, v26, 0, s15
	v_cndmask_b32_e64 v27, v27, 0, s16
	v_cndmask_b32_e64 v28, v28, 0, s17
	v_add3_u32 v5, v5, v31, v32
	s_delay_alu instid0(VALU_DEP_1) | instskip(SKIP_1) | instid1(VALU_DEP_2)
	v_add3_u32 v5, v5, v29, v26
	v_and_b32_e32 v26, 1, v4
	v_add3_u32 v4, v5, v27, v28
	s_delay_alu instid0(VALU_DEP_2)
	v_cmpx_eq_u32_e32 1, v26
	s_cbranch_execz .LBB238_62
; %bb.61:                               ;   in Loop: Header=BB238_60 Depth=2
	ds_load_2addr_b64 v[26:29], v42 offset1:1
	v_lshl_add_u64 v[30:31], v[24:25], 4, s[44:45]
	v_ashrrev_i32_e32 v5, 31, v4
	s_delay_alu instid0(VALU_DEP_1)
	v_lshl_add_u64 v[30:31], v[4:5], 4, v[30:31]
	s_wait_dscnt 0x0
	global_store_b128 v[30:31], v[26:29], off offset:-16
.LBB238_62:                             ;   in Loop: Header=BB238_60 Depth=2
	s_wait_xcnt 0x0
	s_or_b32 exec_lo, exec_lo, s19
	s_and_saveexec_b32 s19, s2
	s_cbranch_execz .LBB238_59
; %bb.63:                               ;   in Loop: Header=BB238_60 Depth=2
	ds_store_b32 v17, v4 offset:60
	s_branch .LBB238_59
.LBB238_64:
	s_endpgm
	.section	.rodata,"a",@progbits
	.p2align	6, 0x0
	.amdhsa_kernel _ZN9rocsparseL51csrgemm_numeric_fill_block_per_row_multipass_kernelILj512ELj16ELj2048ELj32Eli21rocsparse_complex_numIdEEEvT4_PKS3_S5_NS_24const_host_device_scalarIT5_EEPKT3_S5_PKS7_SB_S5_SD_S8_SB_S5_SD_SB_S5_PS7_PS9_21rocsparse_index_base_SG_SG_SG_bbb
		.amdhsa_group_segment_fixed_size 43016
		.amdhsa_private_segment_fixed_size 24
		.amdhsa_kernarg_size 180
		.amdhsa_user_sgpr_count 4
		.amdhsa_user_sgpr_dispatch_ptr 1
		.amdhsa_user_sgpr_queue_ptr 0
		.amdhsa_user_sgpr_kernarg_segment_ptr 1
		.amdhsa_user_sgpr_dispatch_id 0
		.amdhsa_user_sgpr_kernarg_preload_length 0
		.amdhsa_user_sgpr_kernarg_preload_offset 0
		.amdhsa_user_sgpr_private_segment_size 0
		.amdhsa_wavefront_size32 1
		.amdhsa_uses_dynamic_stack 0
		.amdhsa_enable_private_segment 1
		.amdhsa_system_sgpr_workgroup_id_x 1
		.amdhsa_system_sgpr_workgroup_id_y 0
		.amdhsa_system_sgpr_workgroup_id_z 0
		.amdhsa_system_sgpr_workgroup_info 0
		.amdhsa_system_vgpr_workitem_id 2
		.amdhsa_next_free_vgpr 58
		.amdhsa_next_free_sgpr 61
		.amdhsa_named_barrier_count 0
		.amdhsa_reserve_vcc 1
		.amdhsa_float_round_mode_32 0
		.amdhsa_float_round_mode_16_64 0
		.amdhsa_float_denorm_mode_32 3
		.amdhsa_float_denorm_mode_16_64 3
		.amdhsa_fp16_overflow 0
		.amdhsa_memory_ordered 1
		.amdhsa_forward_progress 1
		.amdhsa_inst_pref_size 25
		.amdhsa_round_robin_scheduling 0
		.amdhsa_exception_fp_ieee_invalid_op 0
		.amdhsa_exception_fp_denorm_src 0
		.amdhsa_exception_fp_ieee_div_zero 0
		.amdhsa_exception_fp_ieee_overflow 0
		.amdhsa_exception_fp_ieee_underflow 0
		.amdhsa_exception_fp_ieee_inexact 0
		.amdhsa_exception_int_div_zero 0
	.end_amdhsa_kernel
	.section	.text._ZN9rocsparseL51csrgemm_numeric_fill_block_per_row_multipass_kernelILj512ELj16ELj2048ELj32Eli21rocsparse_complex_numIdEEEvT4_PKS3_S5_NS_24const_host_device_scalarIT5_EEPKT3_S5_PKS7_SB_S5_SD_S8_SB_S5_SD_SB_S5_PS7_PS9_21rocsparse_index_base_SG_SG_SG_bbb,"axG",@progbits,_ZN9rocsparseL51csrgemm_numeric_fill_block_per_row_multipass_kernelILj512ELj16ELj2048ELj32Eli21rocsparse_complex_numIdEEEvT4_PKS3_S5_NS_24const_host_device_scalarIT5_EEPKT3_S5_PKS7_SB_S5_SD_S8_SB_S5_SD_SB_S5_PS7_PS9_21rocsparse_index_base_SG_SG_SG_bbb,comdat
.Lfunc_end238:
	.size	_ZN9rocsparseL51csrgemm_numeric_fill_block_per_row_multipass_kernelILj512ELj16ELj2048ELj32Eli21rocsparse_complex_numIdEEEvT4_PKS3_S5_NS_24const_host_device_scalarIT5_EEPKT3_S5_PKS7_SB_S5_SD_S8_SB_S5_SD_SB_S5_PS7_PS9_21rocsparse_index_base_SG_SG_SG_bbb, .Lfunc_end238-_ZN9rocsparseL51csrgemm_numeric_fill_block_per_row_multipass_kernelILj512ELj16ELj2048ELj32Eli21rocsparse_complex_numIdEEEvT4_PKS3_S5_NS_24const_host_device_scalarIT5_EEPKT3_S5_PKS7_SB_S5_SD_S8_SB_S5_SD_SB_S5_PS7_PS9_21rocsparse_index_base_SG_SG_SG_bbb
                                        ; -- End function
	.set _ZN9rocsparseL51csrgemm_numeric_fill_block_per_row_multipass_kernelILj512ELj16ELj2048ELj32Eli21rocsparse_complex_numIdEEEvT4_PKS3_S5_NS_24const_host_device_scalarIT5_EEPKT3_S5_PKS7_SB_S5_SD_S8_SB_S5_SD_SB_S5_PS7_PS9_21rocsparse_index_base_SG_SG_SG_bbb.num_vgpr, 58
	.set _ZN9rocsparseL51csrgemm_numeric_fill_block_per_row_multipass_kernelILj512ELj16ELj2048ELj32Eli21rocsparse_complex_numIdEEEvT4_PKS3_S5_NS_24const_host_device_scalarIT5_EEPKT3_S5_PKS7_SB_S5_SD_S8_SB_S5_SD_SB_S5_PS7_PS9_21rocsparse_index_base_SG_SG_SG_bbb.num_agpr, 0
	.set _ZN9rocsparseL51csrgemm_numeric_fill_block_per_row_multipass_kernelILj512ELj16ELj2048ELj32Eli21rocsparse_complex_numIdEEEvT4_PKS3_S5_NS_24const_host_device_scalarIT5_EEPKT3_S5_PKS7_SB_S5_SD_S8_SB_S5_SD_SB_S5_PS7_PS9_21rocsparse_index_base_SG_SG_SG_bbb.numbered_sgpr, 61
	.set _ZN9rocsparseL51csrgemm_numeric_fill_block_per_row_multipass_kernelILj512ELj16ELj2048ELj32Eli21rocsparse_complex_numIdEEEvT4_PKS3_S5_NS_24const_host_device_scalarIT5_EEPKT3_S5_PKS7_SB_S5_SD_S8_SB_S5_SD_SB_S5_PS7_PS9_21rocsparse_index_base_SG_SG_SG_bbb.num_named_barrier, 0
	.set _ZN9rocsparseL51csrgemm_numeric_fill_block_per_row_multipass_kernelILj512ELj16ELj2048ELj32Eli21rocsparse_complex_numIdEEEvT4_PKS3_S5_NS_24const_host_device_scalarIT5_EEPKT3_S5_PKS7_SB_S5_SD_S8_SB_S5_SD_SB_S5_PS7_PS9_21rocsparse_index_base_SG_SG_SG_bbb.private_seg_size, 24
	.set _ZN9rocsparseL51csrgemm_numeric_fill_block_per_row_multipass_kernelILj512ELj16ELj2048ELj32Eli21rocsparse_complex_numIdEEEvT4_PKS3_S5_NS_24const_host_device_scalarIT5_EEPKT3_S5_PKS7_SB_S5_SD_S8_SB_S5_SD_SB_S5_PS7_PS9_21rocsparse_index_base_SG_SG_SG_bbb.uses_vcc, 1
	.set _ZN9rocsparseL51csrgemm_numeric_fill_block_per_row_multipass_kernelILj512ELj16ELj2048ELj32Eli21rocsparse_complex_numIdEEEvT4_PKS3_S5_NS_24const_host_device_scalarIT5_EEPKT3_S5_PKS7_SB_S5_SD_S8_SB_S5_SD_SB_S5_PS7_PS9_21rocsparse_index_base_SG_SG_SG_bbb.uses_flat_scratch, 1
	.set _ZN9rocsparseL51csrgemm_numeric_fill_block_per_row_multipass_kernelILj512ELj16ELj2048ELj32Eli21rocsparse_complex_numIdEEEvT4_PKS3_S5_NS_24const_host_device_scalarIT5_EEPKT3_S5_PKS7_SB_S5_SD_S8_SB_S5_SD_SB_S5_PS7_PS9_21rocsparse_index_base_SG_SG_SG_bbb.has_dyn_sized_stack, 0
	.set _ZN9rocsparseL51csrgemm_numeric_fill_block_per_row_multipass_kernelILj512ELj16ELj2048ELj32Eli21rocsparse_complex_numIdEEEvT4_PKS3_S5_NS_24const_host_device_scalarIT5_EEPKT3_S5_PKS7_SB_S5_SD_S8_SB_S5_SD_SB_S5_PS7_PS9_21rocsparse_index_base_SG_SG_SG_bbb.has_recursion, 0
	.set _ZN9rocsparseL51csrgemm_numeric_fill_block_per_row_multipass_kernelILj512ELj16ELj2048ELj32Eli21rocsparse_complex_numIdEEEvT4_PKS3_S5_NS_24const_host_device_scalarIT5_EEPKT3_S5_PKS7_SB_S5_SD_S8_SB_S5_SD_SB_S5_PS7_PS9_21rocsparse_index_base_SG_SG_SG_bbb.has_indirect_call, 0
	.section	.AMDGPU.csdata,"",@progbits
; Kernel info:
; codeLenInByte = 3140
; TotalNumSgprs: 63
; NumVgprs: 58
; ScratchSize: 24
; MemoryBound: 0
; FloatMode: 240
; IeeeMode: 1
; LDSByteSize: 43016 bytes/workgroup (compile time only)
; SGPRBlocks: 0
; VGPRBlocks: 3
; NumSGPRsForWavesPerEU: 63
; NumVGPRsForWavesPerEU: 58
; NamedBarCnt: 0
; Occupancy: 16
; WaveLimiterHint : 1
; COMPUTE_PGM_RSRC2:SCRATCH_EN: 1
; COMPUTE_PGM_RSRC2:USER_SGPR: 4
; COMPUTE_PGM_RSRC2:TRAP_HANDLER: 0
; COMPUTE_PGM_RSRC2:TGID_X_EN: 1
; COMPUTE_PGM_RSRC2:TGID_Y_EN: 0
; COMPUTE_PGM_RSRC2:TGID_Z_EN: 0
; COMPUTE_PGM_RSRC2:TIDIG_COMP_CNT: 2
	.section	.text._ZN9rocsparseL51csrgemm_numeric_fill_block_per_row_multipass_kernelILj512ELj16ELj2048ELj64Eli21rocsparse_complex_numIdEEEvT4_PKS3_S5_NS_24const_host_device_scalarIT5_EEPKT3_S5_PKS7_SB_S5_SD_S8_SB_S5_SD_SB_S5_PS7_PS9_21rocsparse_index_base_SG_SG_SG_bbb,"axG",@progbits,_ZN9rocsparseL51csrgemm_numeric_fill_block_per_row_multipass_kernelILj512ELj16ELj2048ELj64Eli21rocsparse_complex_numIdEEEvT4_PKS3_S5_NS_24const_host_device_scalarIT5_EEPKT3_S5_PKS7_SB_S5_SD_S8_SB_S5_SD_SB_S5_PS7_PS9_21rocsparse_index_base_SG_SG_SG_bbb,comdat
	.globl	_ZN9rocsparseL51csrgemm_numeric_fill_block_per_row_multipass_kernelILj512ELj16ELj2048ELj64Eli21rocsparse_complex_numIdEEEvT4_PKS3_S5_NS_24const_host_device_scalarIT5_EEPKT3_S5_PKS7_SB_S5_SD_S8_SB_S5_SD_SB_S5_PS7_PS9_21rocsparse_index_base_SG_SG_SG_bbb ; -- Begin function _ZN9rocsparseL51csrgemm_numeric_fill_block_per_row_multipass_kernelILj512ELj16ELj2048ELj64Eli21rocsparse_complex_numIdEEEvT4_PKS3_S5_NS_24const_host_device_scalarIT5_EEPKT3_S5_PKS7_SB_S5_SD_S8_SB_S5_SD_SB_S5_PS7_PS9_21rocsparse_index_base_SG_SG_SG_bbb
	.p2align	8
	.type	_ZN9rocsparseL51csrgemm_numeric_fill_block_per_row_multipass_kernelILj512ELj16ELj2048ELj64Eli21rocsparse_complex_numIdEEEvT4_PKS3_S5_NS_24const_host_device_scalarIT5_EEPKT3_S5_PKS7_SB_S5_SD_S8_SB_S5_SD_SB_S5_PS7_PS9_21rocsparse_index_base_SG_SG_SG_bbb,@function
_ZN9rocsparseL51csrgemm_numeric_fill_block_per_row_multipass_kernelILj512ELj16ELj2048ELj64Eli21rocsparse_complex_numIdEEEvT4_PKS3_S5_NS_24const_host_device_scalarIT5_EEPKT3_S5_PKS7_SB_S5_SD_S8_SB_S5_SD_SB_S5_PS7_PS9_21rocsparse_index_base_SG_SG_SG_bbb: ; @_ZN9rocsparseL51csrgemm_numeric_fill_block_per_row_multipass_kernelILj512ELj16ELj2048ELj64Eli21rocsparse_complex_numIdEEEvT4_PKS3_S5_NS_24const_host_device_scalarIT5_EEPKT3_S5_PKS7_SB_S5_SD_S8_SB_S5_SD_SB_S5_PS7_PS9_21rocsparse_index_base_SG_SG_SG_bbb
; %bb.0:
	s_clause 0x3
	s_load_b32 s5, s[2:3], 0xb0
	s_load_b256 s[8:15], s[2:3], 0x8
	s_load_b128 s[16:19], s[2:3], 0x58
	s_load_b128 s[28:31], s[2:3], 0xa0
	v_mov_b64_e32 v[10:11], 0
	v_mov_b64_e32 v[8:9], 0
	;; [unrolled: 1-line block ×3, first 2 shown]
	v_mbcnt_lo_u32_b32 v1, -1, 0
	s_wait_kmcnt 0x0
	s_bitcmp1_b32 s5, 0
	v_mov_b64_e32 v[2:3], s[12:13]
	s_cselect_b32 s44, -1, 0
	s_bitcmp1_b32 s5, 16
	v_mov_b64_e32 v[4:5], s[16:17]
	s_cselect_b32 s4, -1, 0
	s_clause 0x1
	scratch_store_b64 off, v[2:3], off
	scratch_store_b64 off, v[4:5], off offset:8
	s_xor_b32 s6, s4, -1
	s_bitcmp0_b32 s5, 0
	s_cbranch_scc1 .LBB239_3
; %bb.1:
	s_wait_xcnt 0x1
	v_dual_mov_b32 v2, 0 :: v_dual_lshlrev_b32 v3, 20, v1
	v_mov_b64_e32 v[12:13], s[14:15]
	s_and_not1_b32 vcc_lo, exec_lo, s6
	s_delay_alu instid0(VALU_DEP_2) | instskip(NEXT) | instid1(VALU_DEP_1)
	v_add_nc_u64_e32 v[2:3], src_flat_scratch_base_lo, v[2:3]
	v_cndmask_b32_e64 v3, s13, v3, s4
	s_delay_alu instid0(VALU_DEP_2)
	v_cndmask_b32_e64 v2, s12, v2, s4
	flat_load_b64 v[8:9], v[2:3]
	s_cbranch_vccnz .LBB239_3
; %bb.2:
	s_wait_xcnt 0x0
	v_mov_b32_e32 v2, 0
	flat_load_b64 v[12:13], v2, s[12:13] offset:8
.LBB239_3:
	v_mov_b64_e32 v[14:15], 0
	s_bitcmp1_b32 s5, 8
	s_cselect_b32 s33, -1, 0
	s_bfe_u32 s5, s5, 0x10008
	s_delay_alu instid0(SALU_CYCLE_1)
	s_cmp_eq_u32 s5, 0
	s_cbranch_scc1 .LBB239_6
; %bb.4:
	s_wait_xcnt 0x0
	v_dual_mov_b32 v2, 8 :: v_dual_lshlrev_b32 v3, 20, v1
	v_mov_b64_e32 v[10:11], s[18:19]
	s_and_not1_b32 vcc_lo, exec_lo, s6
	s_delay_alu instid0(VALU_DEP_2) | instskip(NEXT) | instid1(VALU_DEP_1)
	v_add_nc_u64_e32 v[2:3], src_flat_scratch_base_lo, v[2:3]
	v_cndmask_b32_e64 v3, s17, v3, s4
	s_delay_alu instid0(VALU_DEP_2)
	v_cndmask_b32_e64 v2, s16, v2, s4
	flat_load_b64 v[14:15], v[2:3]
	s_cbranch_vccnz .LBB239_6
; %bb.5:
	s_wait_xcnt 0x0
	v_mov_b32_e32 v2, 0
	flat_load_b64 v[10:11], v2, s[16:17] offset:8
.LBB239_6:
	s_load_b32 s4, s[8:9], 0x0
	s_bfe_u32 s5, ttmp6, 0x4000c
	s_and_b32 s6, ttmp6, 15
	s_add_co_i32 s5, s5, 1
	s_getreg_b32 s7, hwreg(HW_REG_IB_STS2, 6, 4)
	s_mul_i32 s5, ttmp9, s5
	s_mov_b64 s[34:35], 0
	s_add_co_i32 s6, s6, s5
	s_cmp_eq_u32 s7, 0
	s_cselect_b32 s5, ttmp9, s6
	s_and_not1_b32 vcc_lo, exec_lo, s44
	s_wait_kmcnt 0x0
	s_add_co_i32 s4, s4, s5
	s_load_b64 s[8:9], s[2:3], 0x28
	s_load_b32 s6, s[10:11], s4 offset:0x0 scale_offset
	s_wait_xcnt 0x0
	s_mov_b32 s11, 0
	s_mov_b64 s[4:5], 0
	s_cbranch_vccz .LBB239_9
; %bb.7:
	s_and_not1_b32 vcc_lo, exec_lo, s44
	s_cbranch_vccz .LBB239_10
.LBB239_8:
	s_load_b32 s46, s[2:3], 0x0
	s_wait_kmcnt 0x0
	s_cmp_lt_i32 s46, 1
	s_cbranch_scc0 .LBB239_11
	s_branch .LBB239_64
.LBB239_9:
	s_wait_kmcnt 0x0
	s_ashr_i32 s7, s6, 31
	s_mov_b32 s10, s28
	s_lshl_b64 s[4:5], s[6:7], 3
	s_delay_alu instid0(SALU_CYCLE_1)
	s_add_nc_u64 s[4:5], s[8:9], s[4:5]
	s_load_b64 s[4:5], s[4:5], 0x0
	s_wait_kmcnt 0x0
	s_sub_nc_u64 s[4:5], s[4:5], s[10:11]
	s_and_not1_b32 vcc_lo, exec_lo, s44
	s_cbranch_vccnz .LBB239_8
.LBB239_10:
	s_wait_kmcnt 0x0
	s_ashr_i32 s7, s6, 31
	s_delay_alu instid0(SALU_CYCLE_1) | instskip(NEXT) | instid1(SALU_CYCLE_1)
	s_lshl_b64 s[10:11], s[6:7], 3
	s_add_nc_u64 s[8:9], s[8:9], s[10:11]
	s_mov_b32 s11, 0
	s_load_b64 s[8:9], s[8:9], 0x8
	s_mov_b32 s10, s28
	s_wait_kmcnt 0x0
	s_sub_nc_u64 s[34:35], s[8:9], s[10:11]
	s_load_b32 s46, s[2:3], 0x0
	s_wait_kmcnt 0x0
	s_cmp_lt_i32 s46, 1
	s_cbranch_scc1 .LBB239_64
.LBB239_11:
	s_load_b64 s[8:9], s[0:1], 0x4
	s_clause 0x3
	s_load_b256 s[12:19], s[2:3], 0x68
	s_load_b256 s[20:27], s[2:3], 0x30
	s_load_b128 s[36:39], s[2:3], 0x90
	s_load_b64 s[10:11], s[2:3], 0x50
	s_ashr_i32 s7, s6, 31
	v_and_b32_e32 v4, 0x3ff, v0
	s_wait_xcnt 0x0
	s_lshl_b64 s[2:3], s[6:7], 3
	v_dual_mov_b32 v17, 0 :: v_dual_bitop2_b32 v16, 15, v0 bitop3:0x40
	v_bfe_u32 v5, v0, 10, 10
	v_xor_b32_e32 v6, 8, v1
	v_bfe_u32 v2, v0, 4, 6
	v_bfe_u32 v0, v0, 20, 10
	v_dual_mov_b32 v3, v17 :: v_dual_bitop2_b32 v7, 4, v1 bitop3:0x14
	s_delay_alu instid0(VALU_DEP_4)
	v_cmp_gt_i32_e32 vcc_lo, 32, v6
	v_xor_b32_e32 v22, 2, v1
	s_mov_b32 s41, 0
	s_mov_b32 s42, s31
	s_wait_kmcnt 0x0
	s_lshr_b32 s6, s8, 16
	s_add_nc_u64 s[0:1], s[18:19], s[2:3]
	s_mul_i32 s8, s6, s9
	s_load_b64 s[6:7], s[0:1], 0x0
	v_mul_lo_u32 v20, s8, v4
	v_mul_u32_u24_e32 v21, s9, v5
	v_mov_b32_e32 v5, v17
	v_add_nc_u64_e32 v[18:19], s[4:5], v[2:3]
	v_cndmask_b32_e32 v3, v1, v6, vcc_lo
	v_cmp_gt_i32_e32 vcc_lo, 32, v7
	v_xor_b32_e32 v24, 1, v1
	s_add_nc_u64 s[18:19], s[12:13], s[2:3]
	v_cmp_gt_i32_e64 s2, 32, v22
	s_mov_b32 s43, s41
	v_cndmask_b32_e32 v6, v1, v7, vcc_lo
	v_add3_u32 v0, v20, v21, v0
	s_mov_b32 s40, s30
	v_sub_nc_u64_e64 v[20:21], v[4:5], s[42:43]
	v_cmp_gt_i64_e32 vcc_lo, s[34:35], v[18:19]
	s_wait_xcnt 0x0
	v_cmp_eq_u32_e64 s0, 0, v4
	v_lshl_add_u32 v23, v0, 4, 0x8808
	v_cndmask_b32_e64 v0, v1, v22, s2
	v_cmp_gt_i32_e64 s2, 32, v24
	s_wait_kmcnt 0x0
	s_sub_nc_u64 s[12:13], s[6:7], s[40:41]
	v_cmp_eq_u32_e64 s1, 15, v16
	v_lshlrev_b32_e32 v42, 2, v3
	v_cmp_gt_u32_e64 s3, 64, v4
	v_dual_cndmask_b32 v5, v1, v24, s2 :: v_dual_bitop2_b32 v1, 31, v1 bitop3:0x14
	v_mov_b64_e32 v[24:25], s[12:13]
	v_dual_lshlrev_b32 v43, 2, v6 :: v_dual_lshlrev_b32 v44, 2, v0
	s_delay_alu instid0(VALU_DEP_3) | instskip(NEXT) | instid1(VALU_DEP_4)
	v_dual_lshlrev_b32 v45, 2, v5 :: v_dual_bitop2_b32 v46, 28, v2 bitop3:0x40
	v_lshrrev_b32_e64 v22, v1, -1
	v_cmp_eq_u32_e64 s2, 0x1ff, v4
	v_cmp_gt_u32_e64 s4, 0x80, v4
	v_cmp_gt_u32_e64 s5, 0xc0, v4
	;; [unrolled: 1-line block ×6, first 2 shown]
	v_or_b32_e32 v47, 0xfffffe00, v4
	v_dual_lshlrev_b32 v48, 4, v4 :: v_dual_mov_b32 v0, v17
	v_dual_mov_b32 v50, 0x800 :: v_dual_mov_b32 v1, v17
	v_dual_mov_b32 v2, v17 :: v_dual_mov_b32 v3, v17
	;; [unrolled: 1-line block ×3, first 2 shown]
	s_mov_b32 s40, s29
	s_and_b32 s30, s44, vcc_lo
	s_add_nc_u64 s[44:45], s[10:11], 8
	s_add_nc_u64 s[16:17], s[16:17], 8
	s_branch .LBB239_13
.LBB239_12:                             ;   in Loop: Header=BB239_13 Depth=1
	s_or_b32 exec_lo, exec_lo, s10
	ds_load_b32 v51, v17 offset:34816
	s_wait_dscnt 0x0
	s_barrier_signal -1
	s_barrier_wait -1
	v_cmp_le_i32_e32 vcc_lo, s46, v51
	v_add_nc_u32_e32 v50, 0x800, v51
	s_cbranch_vccnz .LBB239_64
.LBB239_13:                             ; =>This Loop Header: Depth=1
                                        ;     Child Loop BB239_14 Depth 2
                                        ;     Child Loop BB239_20 Depth 2
                                        ;       Child Loop BB239_26 Depth 3
                                        ;     Child Loop BB239_43 Depth 2
                                        ;     Child Loop BB239_55 Depth 2
	;; [unrolled: 1-line block ×3, first 2 shown]
	v_dual_mov_b32 v4, v48 :: v_dual_mov_b32 v5, v47
	s_mov_b32 s10, 0
.LBB239_14:                             ;   Parent Loop BB239_13 Depth=1
                                        ; =>  This Inner Loop Header: Depth=2
	ds_store_b8 v5, v17 offset:33280
	v_add_nc_u32_e32 v5, 0x200, v5
	ds_store_b128 v4, v[0:3]
	v_add_nc_u32_e32 v4, 0x2000, v4
	v_cmp_lt_u32_e32 vcc_lo, 0x5ff, v5
	s_or_b32 s10, vcc_lo, s10
	s_delay_alu instid0(SALU_CYCLE_1)
	s_and_not1_b32 exec_lo, exec_lo, s10
	s_cbranch_execnz .LBB239_14
; %bb.15:                               ;   in Loop: Header=BB239_13 Depth=1
	s_or_b32 exec_lo, exec_lo, s10
	s_and_saveexec_b32 s10, s0
; %bb.16:                               ;   in Loop: Header=BB239_13 Depth=1
	v_mov_b32_e32 v4, s46
	ds_store_b32 v17, v4 offset:34816
; %bb.17:                               ;   in Loop: Header=BB239_13 Depth=1
	s_or_b32 exec_lo, exec_lo, s10
	v_mov_b32_e32 v52, s46
	s_wait_storecnt 0x0
	s_wait_loadcnt_dscnt 0x0
	s_barrier_signal -1
	s_barrier_wait -1
	s_and_saveexec_b32 s13, s30
	s_cbranch_execz .LBB239_39
; %bb.18:                               ;   in Loop: Header=BB239_13 Depth=1
	v_mov_b64_e32 v[26:27], v[18:19]
	v_cmp_ne_u32_e64 s10, 0, v51
	v_mov_b32_e32 v52, s46
	s_mov_b32 s47, 0
	s_branch .LBB239_20
.LBB239_19:                             ;   in Loop: Header=BB239_20 Depth=2
	s_wait_xcnt 0x0
	s_or_b32 exec_lo, exec_lo, s11
	v_add_nc_u64_e32 v[26:27], 32, v[26:27]
	s_delay_alu instid0(VALU_DEP_1) | instskip(SKIP_1) | instid1(SALU_CYCLE_1)
	v_cmp_le_i64_e32 vcc_lo, s[34:35], v[26:27]
	s_or_b32 s47, vcc_lo, s47
	s_and_not1_b32 exec_lo, exec_lo, s47
	s_cbranch_execz .LBB239_38
.LBB239_20:                             ;   Parent Loop BB239_13 Depth=1
                                        ; =>  This Loop Header: Depth=2
                                        ;       Child Loop BB239_26 Depth 3
	v_lshl_add_u64 v[4:5], v[26:27], 2, s[20:21]
	s_and_b32 vcc_lo, exec_lo, s10
	global_load_b32 v28, v[4:5], off
	s_wait_xcnt 0x0
	v_lshl_add_u64 v[4:5], v[26:27], 4, s[22:23]
	s_wait_dscnt 0x0
	global_load_b128 v[4:7], v[4:5], off
	s_wait_loadcnt 0x1
	v_subrev_nc_u32_e32 v30, s28, v28
	v_lshl_add_u64 v[28:29], v[26:27], 3, s[38:39]
	s_delay_alu instid0(VALU_DEP_2)
	v_ashrrev_i32_e32 v31, 31, v30
	s_cbranch_vccz .LBB239_37
; %bb.21:                               ;   in Loop: Header=BB239_20 Depth=2
	global_load_b64 v[34:35], v[28:29], off
	s_cbranch_execnz .LBB239_23
.LBB239_22:                             ;   in Loop: Header=BB239_20 Depth=2
	global_load_b64 v[32:33], v30, s[24:25] scale_offset
	s_wait_loadcnt 0x0
	v_sub_nc_u64_e64 v[34:35], v[32:33], s[40:41]
.LBB239_23:                             ;   in Loop: Header=BB239_20 Depth=2
	s_wait_xcnt 0x0
	v_lshl_add_u64 v[30:31], v[30:31], 3, s[24:25]
	s_mov_b32 s48, exec_lo
	global_load_b64 v[30:31], v[30:31], off offset:8
	s_wait_loadcnt 0x0
	v_sub_nc_u64_e64 v[32:33], v[30:31], s[40:41]
	s_wait_xcnt 0x0
	v_add_nc_u64_e32 v[30:31], v[34:35], v[16:17]
	s_delay_alu instid0(VALU_DEP_1)
	v_cmpx_lt_i64_e64 v[30:31], v[32:33]
	s_cbranch_execz .LBB239_35
; %bb.24:                               ;   in Loop: Header=BB239_20 Depth=2
	v_mul_f64_e64 v[34:35], v[6:7], -v[12:13]
	v_mul_f64_e32 v[6:7], v[8:9], v[6:7]
	v_mov_b64_e32 v[40:41], v[30:31]
	v_lshl_add_u64 v[36:37], v[30:31], 4, s[44:45]
	s_mov_b32 s50, 0
                                        ; implicit-def: $sgpr49
                                        ; implicit-def: $sgpr51
	s_delay_alu instid0(VALU_DEP_4) | instskip(NEXT) | instid1(VALU_DEP_4)
	v_fmac_f64_e32 v[34:35], v[8:9], v[4:5]
	v_fmac_f64_e32 v[6:7], v[12:13], v[4:5]
	v_lshl_add_u64 v[4:5], v[30:31], 2, s[26:27]
	s_branch .LBB239_26
.LBB239_25:                             ;   in Loop: Header=BB239_26 Depth=3
	s_or_b32 exec_lo, exec_lo, s52
	s_delay_alu instid0(SALU_CYCLE_1) | instskip(NEXT) | instid1(SALU_CYCLE_1)
	s_and_b32 s11, exec_lo, s12
	s_or_b32 s50, s11, s50
	s_and_not1_b32 s11, s49, exec_lo
	s_and_b32 s12, s51, exec_lo
	s_delay_alu instid0(SALU_CYCLE_1)
	s_or_b32 s49, s11, s12
	s_and_not1_b32 exec_lo, exec_lo, s50
	s_cbranch_execz .LBB239_32
.LBB239_26:                             ;   Parent Loop BB239_13 Depth=1
                                        ;     Parent Loop BB239_20 Depth=2
                                        ; =>    This Inner Loop Header: Depth=3
	global_load_b32 v38, v[4:5], off
	s_wait_loadcnt 0x0
	v_subrev_nc_u32_e32 v53, s29, v38
	v_mov_b64_e32 v[38:39], v[40:41]
	s_delay_alu instid0(VALU_DEP_2)
	v_cmp_lt_i32_e64 s11, v53, v51
	v_cmp_ge_i32_e64 s12, v53, v50
	v_cmp_lt_i32_e32 vcc_lo, v53, v50
	s_or_b32 s12, s11, s12
	s_mov_b32 s11, 0
	s_wait_xcnt 0x0
	s_and_saveexec_b32 s52, s12
	s_delay_alu instid0(SALU_CYCLE_1)
	s_xor_b32 s12, exec_lo, s52
; %bb.27:                               ;   in Loop: Header=BB239_26 Depth=3
	s_and_b32 s11, vcc_lo, exec_lo
; %bb.28:                               ;   in Loop: Header=BB239_26 Depth=3
	s_and_not1_saveexec_b32 s12, s12
	s_cbranch_execz .LBB239_30
; %bb.29:                               ;   in Loop: Header=BB239_26 Depth=3
	global_load_b128 v[54:57], v[36:37], off offset:-8
	s_or_b32 s11, s11, exec_lo
	s_wait_loadcnt 0x0
	v_mul_f64_e64 v[40:41], v[56:57], -v[6:7]
	v_mul_f64_e32 v[56:57], v[34:35], v[56:57]
	s_delay_alu instid0(VALU_DEP_2) | instskip(NEXT) | instid1(VALU_DEP_2)
	v_fmac_f64_e32 v[40:41], v[34:35], v[54:55]
	v_fmac_f64_e32 v[56:57], v[6:7], v[54:55]
	v_sub_nc_u32_e32 v54, v53, v51
	s_delay_alu instid0(VALU_DEP_1)
	v_lshlrev_b32_e32 v55, 4, v54
	ds_store_b8 v54, v49 offset:32768
	ds_add_f64 v55, v[40:41]
	ds_add_f64 v55, v[56:57] offset:8
.LBB239_30:                             ;   in Loop: Header=BB239_26 Depth=3
	s_wait_xcnt 0x0
	s_or_b32 exec_lo, exec_lo, s12
	s_mov_b32 s12, -1
	s_or_b32 s51, s51, exec_lo
                                        ; implicit-def: $vgpr40_vgpr41
	s_and_saveexec_b32 s52, s11
	s_cbranch_execz .LBB239_25
; %bb.31:                               ;   in Loop: Header=BB239_26 Depth=3
	v_add_nc_u64_e32 v[40:41], 16, v[38:39]
	v_add_nc_u64_e32 v[4:5], 64, v[4:5]
	;; [unrolled: 1-line block ×3, first 2 shown]
	s_and_not1_b32 s51, s51, exec_lo
	s_delay_alu instid0(VALU_DEP_3)
	v_cmp_ge_i64_e32 vcc_lo, v[40:41], v[32:33]
	s_or_not1_b32 s12, vcc_lo, exec_lo
	s_branch .LBB239_25
.LBB239_32:                             ;   in Loop: Header=BB239_20 Depth=2
	s_or_b32 exec_lo, exec_lo, s50
	s_and_saveexec_b32 s11, s49
	s_delay_alu instid0(SALU_CYCLE_1)
	s_xor_b32 s11, exec_lo, s11
; %bb.33:                               ;   in Loop: Header=BB239_20 Depth=2
	v_mov_b64_e32 v[30:31], v[38:39]
	v_min_i32_e32 v52, v53, v52
; %bb.34:                               ;   in Loop: Header=BB239_20 Depth=2
	s_or_b32 exec_lo, exec_lo, s11
.LBB239_35:                             ;   in Loop: Header=BB239_20 Depth=2
	s_delay_alu instid0(SALU_CYCLE_1)
	s_or_b32 exec_lo, exec_lo, s48
	ds_bpermute_b32 v4, v42, v30
	ds_bpermute_b32 v5, v42, v31
	s_wait_dscnt 0x0
	v_min_i64 v[4:5], v[4:5], v[30:31]
	ds_bpermute_b32 v6, v43, v4
	ds_bpermute_b32 v7, v43, v5
	s_wait_dscnt 0x0
	v_min_i64 v[4:5], v[6:7], v[4:5]
	;; [unrolled: 4-line block ×3, first 2 shown]
	ds_bpermute_b32 v6, v45, v4
	ds_bpermute_b32 v7, v45, v5
	s_and_saveexec_b32 s11, s1
	s_cbranch_execz .LBB239_19
; %bb.36:                               ;   in Loop: Header=BB239_20 Depth=2
	s_wait_dscnt 0x0
	v_min_i64 v[4:5], v[6:7], v[4:5]
	global_store_b64 v[28:29], v[4:5], off
	s_branch .LBB239_19
.LBB239_37:                             ;   in Loop: Header=BB239_20 Depth=2
                                        ; implicit-def: $vgpr34_vgpr35
	s_branch .LBB239_22
.LBB239_38:                             ;   in Loop: Header=BB239_13 Depth=1
	s_or_b32 exec_lo, exec_lo, s47
.LBB239_39:                             ;   in Loop: Header=BB239_13 Depth=1
	s_delay_alu instid0(SALU_CYCLE_1) | instskip(NEXT) | instid1(SALU_CYCLE_1)
	s_or_b32 exec_lo, exec_lo, s13
	s_and_not1_b32 vcc_lo, exec_lo, s33
	s_cbranch_vccnz .LBB239_53
; %bb.40:                               ;   in Loop: Header=BB239_13 Depth=1
	s_load_b128 s[48:51], s[18:19], 0x0
	s_mov_b32 s47, exec_lo
	s_wait_kmcnt 0x0
	v_add_nc_u64_e32 v[4:5], s[48:49], v[20:21]
	s_sub_nc_u64 s[12:13], s[50:51], s[42:43]
	s_delay_alu instid0(VALU_DEP_1) | instid1(SALU_CYCLE_1)
	v_cmpx_gt_i64_e64 s[12:13], v[4:5]
	s_cbranch_execz .LBB239_52
; %bb.41:                               ;   in Loop: Header=BB239_13 Depth=1
	s_wait_dscnt 0x0
	v_lshl_add_u64 v[6:7], v[4:5], 2, s[14:15]
	v_lshl_add_u64 v[26:27], v[4:5], 4, s[16:17]
	s_mov_b32 s48, 0
                                        ; implicit-def: $sgpr49
                                        ; implicit-def: $sgpr50
	s_branch .LBB239_43
.LBB239_42:                             ;   in Loop: Header=BB239_43 Depth=2
	s_or_b32 exec_lo, exec_lo, s51
	s_delay_alu instid0(SALU_CYCLE_1) | instskip(NEXT) | instid1(SALU_CYCLE_1)
	s_and_b32 s10, exec_lo, s11
	s_or_b32 s48, s10, s48
	s_and_not1_b32 s10, s49, exec_lo
	s_and_b32 s11, s50, exec_lo
	s_delay_alu instid0(SALU_CYCLE_1)
	s_or_b32 s49, s10, s11
	s_and_not1_b32 exec_lo, exec_lo, s48
	s_cbranch_execz .LBB239_49
.LBB239_43:                             ;   Parent Loop BB239_13 Depth=1
                                        ; =>  This Inner Loop Header: Depth=2
	global_load_b32 v28, v[6:7], off
	s_wait_loadcnt 0x0
	v_subrev_nc_u32_e32 v28, s31, v28
	s_delay_alu instid0(VALU_DEP_1)
	v_cmp_lt_i32_e64 s10, v28, v51
	v_cmp_ge_i32_e64 s11, v28, v50
	v_cmp_lt_i32_e32 vcc_lo, v28, v50
	s_or_b32 s11, s10, s11
	s_mov_b32 s10, 0
	s_wait_xcnt 0x0
	s_and_saveexec_b32 s51, s11
	s_delay_alu instid0(SALU_CYCLE_1)
	s_xor_b32 s11, exec_lo, s51
; %bb.44:                               ;   in Loop: Header=BB239_43 Depth=2
	s_and_b32 s10, vcc_lo, exec_lo
; %bb.45:                               ;   in Loop: Header=BB239_43 Depth=2
	s_and_not1_saveexec_b32 s11, s11
	s_cbranch_execz .LBB239_47
; %bb.46:                               ;   in Loop: Header=BB239_43 Depth=2
	global_load_b128 v[30:33], v[26:27], off offset:-8
	v_sub_nc_u32_e32 v29, v28, v51
	s_or_b32 s10, s10, exec_lo
	ds_store_b8 v29, v49 offset:32768
	s_wait_loadcnt 0x0
	v_mul_f64_e64 v[34:35], v[32:33], -v[10:11]
	v_mul_f64_e32 v[32:33], v[14:15], v[32:33]
	s_delay_alu instid0(VALU_DEP_2) | instskip(NEXT) | instid1(VALU_DEP_2)
	v_fmac_f64_e32 v[34:35], v[14:15], v[30:31]
	v_fmac_f64_e32 v[32:33], v[10:11], v[30:31]
	v_lshlrev_b32_e32 v30, 4, v29
	ds_add_f64 v30, v[34:35]
	ds_add_f64 v30, v[32:33] offset:8
.LBB239_47:                             ;   in Loop: Header=BB239_43 Depth=2
	s_wait_xcnt 0x0
	s_or_b32 exec_lo, exec_lo, s11
	s_mov_b32 s11, -1
	s_or_b32 s50, s50, exec_lo
	s_and_saveexec_b32 s51, s10
	s_cbranch_execz .LBB239_42
; %bb.48:                               ;   in Loop: Header=BB239_43 Depth=2
	v_add_nc_u64_e32 v[4:5], 0x200, v[4:5]
	v_add_nc_u64_e32 v[6:7], 0x800, v[6:7]
	v_add_nc_u64_e32 v[26:27], 0x2000, v[26:27]
	s_and_not1_b32 s50, s50, exec_lo
	s_delay_alu instid0(VALU_DEP_3)
	v_cmp_le_i64_e32 vcc_lo, s[12:13], v[4:5]
	s_or_not1_b32 s11, vcc_lo, exec_lo
	s_branch .LBB239_42
.LBB239_49:                             ;   in Loop: Header=BB239_13 Depth=1
	s_or_b32 exec_lo, exec_lo, s48
	s_and_saveexec_b32 s10, s49
	s_delay_alu instid0(SALU_CYCLE_1)
	s_xor_b32 s10, exec_lo, s10
; %bb.50:                               ;   in Loop: Header=BB239_13 Depth=1
	v_min_i32_e32 v52, v28, v52
; %bb.51:                               ;   in Loop: Header=BB239_13 Depth=1
	s_or_b32 exec_lo, exec_lo, s10
.LBB239_52:                             ;   in Loop: Header=BB239_13 Depth=1
	s_delay_alu instid0(SALU_CYCLE_1)
	s_or_b32 exec_lo, exec_lo, s47
.LBB239_53:                             ;   in Loop: Header=BB239_13 Depth=1
	ds_bpermute_b32 v4, v42, v52
	s_wait_dscnt 0x0
	v_min_i32_e32 v4, v4, v52
	ds_bpermute_b32 v5, v43, v4
	s_wait_dscnt 0x0
	v_min_i32_e32 v4, v5, v4
	;; [unrolled: 3-line block ×3, first 2 shown]
	ds_bpermute_b32 v5, v45, v4
	s_and_saveexec_b32 s10, s1
	s_cbranch_execz .LBB239_58
; %bb.54:                               ;   in Loop: Header=BB239_13 Depth=1
	s_wait_dscnt 0x0
	v_min_i32_e32 v4, v5, v4
	s_mov_b32 s12, exec_lo
	s_brev_b32 s11, -2
.LBB239_55:                             ;   Parent Loop BB239_13 Depth=1
                                        ; =>  This Inner Loop Header: Depth=2
	s_ctz_i32_b32 s13, s12
	s_delay_alu instid0(VALU_DEP_1) | instid1(SALU_CYCLE_1)
	v_readlane_b32 s47, v4, s13
	s_lshl_b32 s13, 1, s13
	s_delay_alu instid0(SALU_CYCLE_1)
	s_and_not1_b32 s12, s12, s13
	s_min_i32 s11, s11, s47
	s_cmp_lg_u32 s12, 0
	s_cbranch_scc1 .LBB239_55
; %bb.56:                               ;   in Loop: Header=BB239_13 Depth=1
	v_mbcnt_lo_u32_b32 v4, exec_lo, 0
	s_mov_b32 s12, exec_lo
	s_delay_alu instid0(VALU_DEP_1)
	v_cmpx_eq_u32_e32 0, v4
	s_xor_b32 s12, exec_lo, s12
; %bb.57:                               ;   in Loop: Header=BB239_13 Depth=1
	v_mov_b32_e32 v4, s11
	ds_min_i32 v17, v4 offset:34816
.LBB239_58:                             ;   in Loop: Header=BB239_13 Depth=1
	s_or_b32 exec_lo, exec_lo, s10
	v_dual_mov_b32 v6, v48 :: v_dual_mov_b32 v7, v47
	s_mov_b32 s10, 0
	s_wait_storecnt_dscnt 0x0
	s_barrier_signal -1
	s_barrier_wait -1
	s_branch .LBB239_60
.LBB239_59:                             ;   in Loop: Header=BB239_60 Depth=2
	s_or_b32 exec_lo, exec_lo, s11
	s_wait_storecnt_dscnt 0x0
	s_barrier_signal -1
	s_barrier_wait -1
	ds_load_b32 v4, v17 offset:28
	v_add_nc_u32_e32 v7, 0x200, v7
	v_add_nc_u32_e32 v6, 0x2000, v6
	s_delay_alu instid0(VALU_DEP_2) | instskip(SKIP_3) | instid1(VALU_DEP_1)
	v_cmp_lt_u32_e32 vcc_lo, 0x5ff, v7
	s_or_b32 s10, vcc_lo, s10
	s_wait_dscnt 0x0
	v_ashrrev_i32_e32 v5, 31, v4
	v_add_nc_u64_e32 v[24:25], v[24:25], v[4:5]
	s_and_not1_b32 exec_lo, exec_lo, s10
	s_cbranch_execz .LBB239_12
.LBB239_60:                             ;   Parent Loop BB239_13 Depth=1
                                        ; =>  This Inner Loop Header: Depth=2
	ds_load_u8 v4, v7 offset:33280
	ds_load_2addr_b64 v[26:29], v6 offset1:1
	s_wait_dscnt 0x1
	v_cmp_ne_u16_e32 vcc_lo, 0, v4
	s_wait_dscnt 0x0
	ds_store_2addr_b64 v23, v[26:27], v[28:29] offset1:1
	s_wait_dscnt 0x0
	s_barrier_signal -1
	s_barrier_wait -1
	s_bcnt1_i32_b32 s11, vcc_lo
	s_delay_alu instid0(SALU_CYCLE_1)
	v_mov_b32_e32 v5, s11
	s_mov_b32 s11, exec_lo
	ds_store_b32 v46, v5
	s_wait_dscnt 0x0
	s_barrier_signal -1
	s_barrier_wait -1
	ds_load_b128 v[26:29], v17
	ds_load_b96 v[30:32], v17 offset:16
	v_and_b32_e32 v5, vcc_lo, v22
	s_wait_dscnt 0x1
	v_cndmask_b32_e64 v26, v26, 0, s3
	v_cndmask_b32_e64 v27, v27, 0, s4
	;; [unrolled: 1-line block ×3, first 2 shown]
	s_delay_alu instid0(VALU_DEP_3) | instskip(SKIP_3) | instid1(VALU_DEP_3)
	v_bcnt_u32_b32 v5, v5, v26
	v_cndmask_b32_e64 v26, v29, 0, s6
	s_wait_dscnt 0x0
	v_cndmask_b32_e64 v29, v30, 0, s7
	v_add3_u32 v5, v5, v27, v28
	v_cndmask_b32_e64 v27, v31, 0, s8
	v_cndmask_b32_e64 v28, v32, 0, s9
	s_delay_alu instid0(VALU_DEP_3) | instskip(SKIP_1) | instid1(VALU_DEP_2)
	v_add3_u32 v5, v5, v26, v29
	v_and_b32_e32 v26, 1, v4
	v_add3_u32 v4, v5, v27, v28
	s_delay_alu instid0(VALU_DEP_2)
	v_cmpx_eq_u32_e32 1, v26
	s_cbranch_execz .LBB239_62
; %bb.61:                               ;   in Loop: Header=BB239_60 Depth=2
	ds_load_2addr_b64 v[26:29], v23 offset1:1
	v_lshl_add_u64 v[30:31], v[24:25], 4, s[36:37]
	v_ashrrev_i32_e32 v5, 31, v4
	s_delay_alu instid0(VALU_DEP_1)
	v_lshl_add_u64 v[30:31], v[4:5], 4, v[30:31]
	s_wait_dscnt 0x0
	global_store_b128 v[30:31], v[26:29], off offset:-16
.LBB239_62:                             ;   in Loop: Header=BB239_60 Depth=2
	s_wait_xcnt 0x0
	s_or_b32 exec_lo, exec_lo, s11
	s_and_saveexec_b32 s11, s2
	s_cbranch_execz .LBB239_59
; %bb.63:                               ;   in Loop: Header=BB239_60 Depth=2
	ds_store_b32 v17, v4 offset:28
	s_branch .LBB239_59
.LBB239_64:
	s_endpgm
	.section	.rodata,"a",@progbits
	.p2align	6, 0x0
	.amdhsa_kernel _ZN9rocsparseL51csrgemm_numeric_fill_block_per_row_multipass_kernelILj512ELj16ELj2048ELj64Eli21rocsparse_complex_numIdEEEvT4_PKS3_S5_NS_24const_host_device_scalarIT5_EEPKT3_S5_PKS7_SB_S5_SD_S8_SB_S5_SD_SB_S5_PS7_PS9_21rocsparse_index_base_SG_SG_SG_bbb
		.amdhsa_group_segment_fixed_size 43016
		.amdhsa_private_segment_fixed_size 24
		.amdhsa_kernarg_size 180
		.amdhsa_user_sgpr_count 4
		.amdhsa_user_sgpr_dispatch_ptr 1
		.amdhsa_user_sgpr_queue_ptr 0
		.amdhsa_user_sgpr_kernarg_segment_ptr 1
		.amdhsa_user_sgpr_dispatch_id 0
		.amdhsa_user_sgpr_kernarg_preload_length 0
		.amdhsa_user_sgpr_kernarg_preload_offset 0
		.amdhsa_user_sgpr_private_segment_size 0
		.amdhsa_wavefront_size32 1
		.amdhsa_uses_dynamic_stack 0
		.amdhsa_enable_private_segment 1
		.amdhsa_system_sgpr_workgroup_id_x 1
		.amdhsa_system_sgpr_workgroup_id_y 0
		.amdhsa_system_sgpr_workgroup_id_z 0
		.amdhsa_system_sgpr_workgroup_info 0
		.amdhsa_system_vgpr_workitem_id 2
		.amdhsa_next_free_vgpr 58
		.amdhsa_next_free_sgpr 53
		.amdhsa_named_barrier_count 0
		.amdhsa_reserve_vcc 1
		.amdhsa_float_round_mode_32 0
		.amdhsa_float_round_mode_16_64 0
		.amdhsa_float_denorm_mode_32 3
		.amdhsa_float_denorm_mode_16_64 3
		.amdhsa_fp16_overflow 0
		.amdhsa_memory_ordered 1
		.amdhsa_forward_progress 1
		.amdhsa_inst_pref_size 23
		.amdhsa_round_robin_scheduling 0
		.amdhsa_exception_fp_ieee_invalid_op 0
		.amdhsa_exception_fp_denorm_src 0
		.amdhsa_exception_fp_ieee_div_zero 0
		.amdhsa_exception_fp_ieee_overflow 0
		.amdhsa_exception_fp_ieee_underflow 0
		.amdhsa_exception_fp_ieee_inexact 0
		.amdhsa_exception_int_div_zero 0
	.end_amdhsa_kernel
	.section	.text._ZN9rocsparseL51csrgemm_numeric_fill_block_per_row_multipass_kernelILj512ELj16ELj2048ELj64Eli21rocsparse_complex_numIdEEEvT4_PKS3_S5_NS_24const_host_device_scalarIT5_EEPKT3_S5_PKS7_SB_S5_SD_S8_SB_S5_SD_SB_S5_PS7_PS9_21rocsparse_index_base_SG_SG_SG_bbb,"axG",@progbits,_ZN9rocsparseL51csrgemm_numeric_fill_block_per_row_multipass_kernelILj512ELj16ELj2048ELj64Eli21rocsparse_complex_numIdEEEvT4_PKS3_S5_NS_24const_host_device_scalarIT5_EEPKT3_S5_PKS7_SB_S5_SD_S8_SB_S5_SD_SB_S5_PS7_PS9_21rocsparse_index_base_SG_SG_SG_bbb,comdat
.Lfunc_end239:
	.size	_ZN9rocsparseL51csrgemm_numeric_fill_block_per_row_multipass_kernelILj512ELj16ELj2048ELj64Eli21rocsparse_complex_numIdEEEvT4_PKS3_S5_NS_24const_host_device_scalarIT5_EEPKT3_S5_PKS7_SB_S5_SD_S8_SB_S5_SD_SB_S5_PS7_PS9_21rocsparse_index_base_SG_SG_SG_bbb, .Lfunc_end239-_ZN9rocsparseL51csrgemm_numeric_fill_block_per_row_multipass_kernelILj512ELj16ELj2048ELj64Eli21rocsparse_complex_numIdEEEvT4_PKS3_S5_NS_24const_host_device_scalarIT5_EEPKT3_S5_PKS7_SB_S5_SD_S8_SB_S5_SD_SB_S5_PS7_PS9_21rocsparse_index_base_SG_SG_SG_bbb
                                        ; -- End function
	.set _ZN9rocsparseL51csrgemm_numeric_fill_block_per_row_multipass_kernelILj512ELj16ELj2048ELj64Eli21rocsparse_complex_numIdEEEvT4_PKS3_S5_NS_24const_host_device_scalarIT5_EEPKT3_S5_PKS7_SB_S5_SD_S8_SB_S5_SD_SB_S5_PS7_PS9_21rocsparse_index_base_SG_SG_SG_bbb.num_vgpr, 58
	.set _ZN9rocsparseL51csrgemm_numeric_fill_block_per_row_multipass_kernelILj512ELj16ELj2048ELj64Eli21rocsparse_complex_numIdEEEvT4_PKS3_S5_NS_24const_host_device_scalarIT5_EEPKT3_S5_PKS7_SB_S5_SD_S8_SB_S5_SD_SB_S5_PS7_PS9_21rocsparse_index_base_SG_SG_SG_bbb.num_agpr, 0
	.set _ZN9rocsparseL51csrgemm_numeric_fill_block_per_row_multipass_kernelILj512ELj16ELj2048ELj64Eli21rocsparse_complex_numIdEEEvT4_PKS3_S5_NS_24const_host_device_scalarIT5_EEPKT3_S5_PKS7_SB_S5_SD_S8_SB_S5_SD_SB_S5_PS7_PS9_21rocsparse_index_base_SG_SG_SG_bbb.numbered_sgpr, 53
	.set _ZN9rocsparseL51csrgemm_numeric_fill_block_per_row_multipass_kernelILj512ELj16ELj2048ELj64Eli21rocsparse_complex_numIdEEEvT4_PKS3_S5_NS_24const_host_device_scalarIT5_EEPKT3_S5_PKS7_SB_S5_SD_S8_SB_S5_SD_SB_S5_PS7_PS9_21rocsparse_index_base_SG_SG_SG_bbb.num_named_barrier, 0
	.set _ZN9rocsparseL51csrgemm_numeric_fill_block_per_row_multipass_kernelILj512ELj16ELj2048ELj64Eli21rocsparse_complex_numIdEEEvT4_PKS3_S5_NS_24const_host_device_scalarIT5_EEPKT3_S5_PKS7_SB_S5_SD_S8_SB_S5_SD_SB_S5_PS7_PS9_21rocsparse_index_base_SG_SG_SG_bbb.private_seg_size, 24
	.set _ZN9rocsparseL51csrgemm_numeric_fill_block_per_row_multipass_kernelILj512ELj16ELj2048ELj64Eli21rocsparse_complex_numIdEEEvT4_PKS3_S5_NS_24const_host_device_scalarIT5_EEPKT3_S5_PKS7_SB_S5_SD_S8_SB_S5_SD_SB_S5_PS7_PS9_21rocsparse_index_base_SG_SG_SG_bbb.uses_vcc, 1
	.set _ZN9rocsparseL51csrgemm_numeric_fill_block_per_row_multipass_kernelILj512ELj16ELj2048ELj64Eli21rocsparse_complex_numIdEEEvT4_PKS3_S5_NS_24const_host_device_scalarIT5_EEPKT3_S5_PKS7_SB_S5_SD_S8_SB_S5_SD_SB_S5_PS7_PS9_21rocsparse_index_base_SG_SG_SG_bbb.uses_flat_scratch, 1
	.set _ZN9rocsparseL51csrgemm_numeric_fill_block_per_row_multipass_kernelILj512ELj16ELj2048ELj64Eli21rocsparse_complex_numIdEEEvT4_PKS3_S5_NS_24const_host_device_scalarIT5_EEPKT3_S5_PKS7_SB_S5_SD_S8_SB_S5_SD_SB_S5_PS7_PS9_21rocsparse_index_base_SG_SG_SG_bbb.has_dyn_sized_stack, 0
	.set _ZN9rocsparseL51csrgemm_numeric_fill_block_per_row_multipass_kernelILj512ELj16ELj2048ELj64Eli21rocsparse_complex_numIdEEEvT4_PKS3_S5_NS_24const_host_device_scalarIT5_EEPKT3_S5_PKS7_SB_S5_SD_S8_SB_S5_SD_SB_S5_PS7_PS9_21rocsparse_index_base_SG_SG_SG_bbb.has_recursion, 0
	.set _ZN9rocsparseL51csrgemm_numeric_fill_block_per_row_multipass_kernelILj512ELj16ELj2048ELj64Eli21rocsparse_complex_numIdEEEvT4_PKS3_S5_NS_24const_host_device_scalarIT5_EEPKT3_S5_PKS7_SB_S5_SD_S8_SB_S5_SD_SB_S5_PS7_PS9_21rocsparse_index_base_SG_SG_SG_bbb.has_indirect_call, 0
	.section	.AMDGPU.csdata,"",@progbits
; Kernel info:
; codeLenInByte = 2916
; TotalNumSgprs: 55
; NumVgprs: 58
; ScratchSize: 24
; MemoryBound: 0
; FloatMode: 240
; IeeeMode: 1
; LDSByteSize: 43016 bytes/workgroup (compile time only)
; SGPRBlocks: 0
; VGPRBlocks: 3
; NumSGPRsForWavesPerEU: 55
; NumVGPRsForWavesPerEU: 58
; NamedBarCnt: 0
; Occupancy: 16
; WaveLimiterHint : 1
; COMPUTE_PGM_RSRC2:SCRATCH_EN: 1
; COMPUTE_PGM_RSRC2:USER_SGPR: 4
; COMPUTE_PGM_RSRC2:TRAP_HANDLER: 0
; COMPUTE_PGM_RSRC2:TGID_X_EN: 1
; COMPUTE_PGM_RSRC2:TGID_Y_EN: 0
; COMPUTE_PGM_RSRC2:TGID_Z_EN: 0
; COMPUTE_PGM_RSRC2:TIDIG_COMP_CNT: 2
	.section	.AMDGPU.gpr_maximums,"",@progbits
	.set amdgpu.max_num_vgpr, 0
	.set amdgpu.max_num_agpr, 0
	.set amdgpu.max_num_sgpr, 0
	.section	.AMDGPU.csdata,"",@progbits
	.type	__hip_cuid_fddf571d32f2a3a1,@object ; @__hip_cuid_fddf571d32f2a3a1
	.section	.bss,"aw",@nobits
	.globl	__hip_cuid_fddf571d32f2a3a1
__hip_cuid_fddf571d32f2a3a1:
	.byte	0                               ; 0x0
	.size	__hip_cuid_fddf571d32f2a3a1, 1

	.ident	"AMD clang version 22.0.0git (https://github.com/RadeonOpenCompute/llvm-project roc-7.2.4 26084 f58b06dce1f9c15707c5f808fd002e18c2accf7e)"
	.section	".note.GNU-stack","",@progbits
	.addrsig
	.addrsig_sym _ZN9rocsparse13shared_memoryE
	.addrsig_sym __hip_cuid_fddf571d32f2a3a1
	.amdgpu_metadata
---
amdhsa.kernels:
  - .args:
      - .offset:         0
        .size:           4
        .value_kind:     by_value
      - .offset:         4
        .size:           4
        .value_kind:     by_value
      - .actual_access:  read_only
        .address_space:  global
        .offset:         8
        .size:           8
        .value_kind:     global_buffer
      - .actual_access:  read_only
        .address_space:  global
        .offset:         16
        .size:           8
        .value_kind:     global_buffer
      - .offset:         24
        .size:           8
        .value_kind:     by_value
      - .actual_access:  read_only
        .address_space:  global
        .offset:         32
        .size:           8
        .value_kind:     global_buffer
      - .actual_access:  read_only
        .address_space:  global
        .offset:         40
        .size:           8
        .value_kind:     global_buffer
      - .actual_access:  read_only
        .address_space:  global
        .offset:         48
        .size:           8
        .value_kind:     global_buffer
      - .actual_access:  read_only
        .address_space:  global
        .offset:         56
        .size:           8
        .value_kind:     global_buffer
      - .actual_access:  read_only
        .address_space:  global
        .offset:         64
        .size:           8
        .value_kind:     global_buffer
      - .actual_access:  read_only
        .address_space:  global
        .offset:         72
        .size:           8
        .value_kind:     global_buffer
      - .offset:         80
        .size:           8
        .value_kind:     by_value
      - .actual_access:  read_only
        .address_space:  global
        .offset:         88
        .size:           8
        .value_kind:     global_buffer
      - .actual_access:  read_only
        .address_space:  global
        .offset:         96
        .size:           8
        .value_kind:     global_buffer
      - .actual_access:  read_only
        .address_space:  global
        .offset:         104
        .size:           8
        .value_kind:     global_buffer
      - .actual_access:  read_only
        .address_space:  global
        .offset:         112
        .size:           8
        .value_kind:     global_buffer
      - .actual_access:  read_only
        .address_space:  global
        .offset:         120
        .size:           8
        .value_kind:     global_buffer
      - .actual_access:  write_only
        .address_space:  global
        .offset:         128
        .size:           8
        .value_kind:     global_buffer
      - .offset:         136
        .size:           4
        .value_kind:     by_value
      - .offset:         140
        .size:           4
        .value_kind:     by_value
      - .offset:         144
        .size:           4
        .value_kind:     by_value
      - .offset:         148
        .size:           4
        .value_kind:     by_value
      - .offset:         152
        .size:           1
        .value_kind:     by_value
      - .offset:         153
        .size:           1
        .value_kind:     by_value
      - .offset:         154
        .size:           1
        .value_kind:     by_value
    .group_segment_fixed_size: 4096
    .kernarg_segment_align: 8
    .kernarg_segment_size: 156
    .language:       OpenCL C
    .language_version:
      - 2
      - 0
    .max_flat_workgroup_size: 256
    .name:           _ZN9rocsparseL38csrgemm_numeric_fill_wf_per_row_kernelILj256ELj8ELj16ELj137EiifEEvT4_S1_PKS1_S3_NS_24const_host_device_scalarIT5_EEPKT3_S3_PKS5_S9_S3_SB_S6_S9_S3_SB_S9_S3_PS5_21rocsparse_index_base_SD_SD_SD_bbb
    .private_segment_fixed_size: 0
    .sgpr_count:     42
    .sgpr_spill_count: 0
    .symbol:         _ZN9rocsparseL38csrgemm_numeric_fill_wf_per_row_kernelILj256ELj8ELj16ELj137EiifEEvT4_S1_PKS1_S3_NS_24const_host_device_scalarIT5_EEPKT3_S3_PKS5_S9_S3_SB_S6_S9_S3_SB_S9_S3_PS5_21rocsparse_index_base_SD_SD_SD_bbb.kd
    .uniform_work_group_size: 1
    .uses_dynamic_stack: false
    .vgpr_count:     22
    .vgpr_spill_count: 0
    .wavefront_size: 32
  - .args:
      - .offset:         0
        .size:           4
        .value_kind:     by_value
      - .offset:         4
        .size:           4
        .value_kind:     by_value
      - .actual_access:  read_only
        .address_space:  global
        .offset:         8
        .size:           8
        .value_kind:     global_buffer
      - .actual_access:  read_only
        .address_space:  global
        .offset:         16
        .size:           8
        .value_kind:     global_buffer
      - .offset:         24
        .size:           8
        .value_kind:     by_value
      - .actual_access:  read_only
        .address_space:  global
        .offset:         32
        .size:           8
        .value_kind:     global_buffer
      - .actual_access:  read_only
        .address_space:  global
        .offset:         40
        .size:           8
        .value_kind:     global_buffer
      - .actual_access:  read_only
        .address_space:  global
        .offset:         48
        .size:           8
        .value_kind:     global_buffer
      - .actual_access:  read_only
        .address_space:  global
        .offset:         56
        .size:           8
        .value_kind:     global_buffer
      - .actual_access:  read_only
        .address_space:  global
        .offset:         64
        .size:           8
        .value_kind:     global_buffer
      - .actual_access:  read_only
        .address_space:  global
        .offset:         72
        .size:           8
        .value_kind:     global_buffer
      - .offset:         80
        .size:           8
        .value_kind:     by_value
      - .actual_access:  read_only
        .address_space:  global
        .offset:         88
        .size:           8
        .value_kind:     global_buffer
      - .actual_access:  read_only
        .address_space:  global
        .offset:         96
        .size:           8
        .value_kind:     global_buffer
      - .actual_access:  read_only
        .address_space:  global
        .offset:         104
        .size:           8
        .value_kind:     global_buffer
      - .actual_access:  read_only
        .address_space:  global
        .offset:         112
        .size:           8
        .value_kind:     global_buffer
      - .actual_access:  read_only
        .address_space:  global
        .offset:         120
        .size:           8
        .value_kind:     global_buffer
      - .actual_access:  write_only
        .address_space:  global
        .offset:         128
        .size:           8
        .value_kind:     global_buffer
      - .offset:         136
        .size:           4
        .value_kind:     by_value
      - .offset:         140
        .size:           4
        .value_kind:     by_value
      - .offset:         144
        .size:           4
        .value_kind:     by_value
      - .offset:         148
        .size:           4
        .value_kind:     by_value
      - .offset:         152
        .size:           1
        .value_kind:     by_value
      - .offset:         153
        .size:           1
        .value_kind:     by_value
      - .offset:         154
        .size:           1
        .value_kind:     by_value
    .group_segment_fixed_size: 4096
    .kernarg_segment_align: 8
    .kernarg_segment_size: 156
    .language:       OpenCL C
    .language_version:
      - 2
      - 0
    .max_flat_workgroup_size: 256
    .name:           _ZN9rocsparseL38csrgemm_numeric_fill_wf_per_row_kernelILj256ELj16ELj32ELj137EiifEEvT4_S1_PKS1_S3_NS_24const_host_device_scalarIT5_EEPKT3_S3_PKS5_S9_S3_SB_S6_S9_S3_SB_S9_S3_PS5_21rocsparse_index_base_SD_SD_SD_bbb
    .private_segment_fixed_size: 0
    .sgpr_count:     42
    .sgpr_spill_count: 0
    .symbol:         _ZN9rocsparseL38csrgemm_numeric_fill_wf_per_row_kernelILj256ELj16ELj32ELj137EiifEEvT4_S1_PKS1_S3_NS_24const_host_device_scalarIT5_EEPKT3_S3_PKS5_S9_S3_SB_S6_S9_S3_SB_S9_S3_PS5_21rocsparse_index_base_SD_SD_SD_bbb.kd
    .uniform_work_group_size: 1
    .uses_dynamic_stack: false
    .vgpr_count:     38
    .vgpr_spill_count: 0
    .wavefront_size: 32
  - .args:
      - .offset:         0
        .size:           4
        .value_kind:     by_value
      - .actual_access:  read_only
        .address_space:  global
        .offset:         8
        .size:           8
        .value_kind:     global_buffer
      - .actual_access:  read_only
        .address_space:  global
        .offset:         16
        .size:           8
        .value_kind:     global_buffer
      - .offset:         24
        .size:           8
        .value_kind:     by_value
      - .actual_access:  read_only
        .address_space:  global
        .offset:         32
        .size:           8
        .value_kind:     global_buffer
      - .actual_access:  read_only
        .address_space:  global
        .offset:         40
        .size:           8
        .value_kind:     global_buffer
      - .actual_access:  read_only
        .address_space:  global
        .offset:         48
        .size:           8
        .value_kind:     global_buffer
      - .actual_access:  read_only
        .address_space:  global
        .offset:         56
        .size:           8
        .value_kind:     global_buffer
      - .actual_access:  read_only
        .address_space:  global
        .offset:         64
        .size:           8
        .value_kind:     global_buffer
      - .actual_access:  read_only
        .address_space:  global
        .offset:         72
        .size:           8
        .value_kind:     global_buffer
      - .offset:         80
        .size:           8
        .value_kind:     by_value
      - .actual_access:  read_only
        .address_space:  global
        .offset:         88
        .size:           8
        .value_kind:     global_buffer
      - .actual_access:  read_only
        .address_space:  global
        .offset:         96
        .size:           8
        .value_kind:     global_buffer
      - .actual_access:  read_only
        .address_space:  global
        .offset:         104
        .size:           8
        .value_kind:     global_buffer
      - .actual_access:  read_only
        .address_space:  global
        .offset:         112
        .size:           8
        .value_kind:     global_buffer
      - .actual_access:  read_only
        .address_space:  global
        .offset:         120
        .size:           8
        .value_kind:     global_buffer
      - .actual_access:  write_only
        .address_space:  global
        .offset:         128
        .size:           8
        .value_kind:     global_buffer
      - .offset:         136
        .size:           4
        .value_kind:     by_value
      - .offset:         140
        .size:           4
        .value_kind:     by_value
      - .offset:         144
        .size:           4
        .value_kind:     by_value
      - .offset:         148
        .size:           4
        .value_kind:     by_value
      - .offset:         152
        .size:           1
        .value_kind:     by_value
      - .offset:         153
        .size:           1
        .value_kind:     by_value
      - .offset:         154
        .size:           1
        .value_kind:     by_value
    .group_segment_fixed_size: 0
    .kernarg_segment_align: 8
    .kernarg_segment_size: 156
    .language:       OpenCL C
    .language_version:
      - 2
      - 0
    .max_flat_workgroup_size: 128
    .name:           _ZN9rocsparseL41csrgemm_numeric_fill_block_per_row_kernelILj128ELj16ELj256ELj137ELj32EiifEEvT5_PKS1_S3_NS_24const_host_device_scalarIT6_EEPKT4_S3_PKS5_S9_S3_SB_S6_S9_S3_SB_S9_S3_PS5_21rocsparse_index_base_SD_SD_SD_bbb
    .private_segment_fixed_size: 0
    .sgpr_count:     43
    .sgpr_spill_count: 0
    .symbol:         _ZN9rocsparseL41csrgemm_numeric_fill_block_per_row_kernelILj128ELj16ELj256ELj137ELj32EiifEEvT5_PKS1_S3_NS_24const_host_device_scalarIT6_EEPKT4_S3_PKS5_S9_S3_SB_S6_S9_S3_SB_S9_S3_PS5_21rocsparse_index_base_SD_SD_SD_bbb.kd
    .uniform_work_group_size: 1
    .uses_dynamic_stack: false
    .vgpr_count:     22
    .vgpr_spill_count: 0
    .wavefront_size: 32
  - .args:
      - .offset:         0
        .size:           4
        .value_kind:     by_value
      - .actual_access:  read_only
        .address_space:  global
        .offset:         8
        .size:           8
        .value_kind:     global_buffer
      - .actual_access:  read_only
        .address_space:  global
        .offset:         16
        .size:           8
        .value_kind:     global_buffer
      - .offset:         24
        .size:           8
        .value_kind:     by_value
      - .actual_access:  read_only
        .address_space:  global
        .offset:         32
        .size:           8
        .value_kind:     global_buffer
      - .actual_access:  read_only
        .address_space:  global
        .offset:         40
        .size:           8
        .value_kind:     global_buffer
      - .actual_access:  read_only
        .address_space:  global
        .offset:         48
        .size:           8
        .value_kind:     global_buffer
      - .actual_access:  read_only
        .address_space:  global
        .offset:         56
        .size:           8
        .value_kind:     global_buffer
      - .actual_access:  read_only
        .address_space:  global
        .offset:         64
        .size:           8
        .value_kind:     global_buffer
      - .actual_access:  read_only
        .address_space:  global
        .offset:         72
        .size:           8
        .value_kind:     global_buffer
      - .offset:         80
        .size:           8
        .value_kind:     by_value
      - .actual_access:  read_only
        .address_space:  global
        .offset:         88
        .size:           8
        .value_kind:     global_buffer
      - .actual_access:  read_only
        .address_space:  global
        .offset:         96
        .size:           8
        .value_kind:     global_buffer
      - .actual_access:  read_only
        .address_space:  global
        .offset:         104
        .size:           8
        .value_kind:     global_buffer
      - .actual_access:  read_only
        .address_space:  global
        .offset:         112
        .size:           8
        .value_kind:     global_buffer
      - .actual_access:  read_only
        .address_space:  global
        .offset:         120
        .size:           8
        .value_kind:     global_buffer
      - .actual_access:  write_only
        .address_space:  global
        .offset:         128
        .size:           8
        .value_kind:     global_buffer
      - .offset:         136
        .size:           4
        .value_kind:     by_value
      - .offset:         140
        .size:           4
        .value_kind:     by_value
      - .offset:         144
        .size:           4
        .value_kind:     by_value
      - .offset:         148
        .size:           4
        .value_kind:     by_value
      - .offset:         152
        .size:           1
        .value_kind:     by_value
      - .offset:         153
        .size:           1
        .value_kind:     by_value
      - .offset:         154
        .size:           1
        .value_kind:     by_value
    .group_segment_fixed_size: 0
    .kernarg_segment_align: 8
    .kernarg_segment_size: 156
    .language:       OpenCL C
    .language_version:
      - 2
      - 0
    .max_flat_workgroup_size: 128
    .name:           _ZN9rocsparseL41csrgemm_numeric_fill_block_per_row_kernelILj128ELj16ELj256ELj137ELj64EiifEEvT5_PKS1_S3_NS_24const_host_device_scalarIT6_EEPKT4_S3_PKS5_S9_S3_SB_S6_S9_S3_SB_S9_S3_PS5_21rocsparse_index_base_SD_SD_SD_bbb
    .private_segment_fixed_size: 0
    .sgpr_count:     43
    .sgpr_spill_count: 0
    .symbol:         _ZN9rocsparseL41csrgemm_numeric_fill_block_per_row_kernelILj128ELj16ELj256ELj137ELj64EiifEEvT5_PKS1_S3_NS_24const_host_device_scalarIT6_EEPKT4_S3_PKS5_S9_S3_SB_S6_S9_S3_SB_S9_S3_PS5_21rocsparse_index_base_SD_SD_SD_bbb.kd
    .uniform_work_group_size: 1
    .uses_dynamic_stack: false
    .vgpr_count:     22
    .vgpr_spill_count: 0
    .wavefront_size: 32
  - .args:
      - .offset:         0
        .size:           4
        .value_kind:     by_value
      - .actual_access:  read_only
        .address_space:  global
        .offset:         8
        .size:           8
        .value_kind:     global_buffer
      - .actual_access:  read_only
        .address_space:  global
        .offset:         16
        .size:           8
        .value_kind:     global_buffer
      - .offset:         24
        .size:           8
        .value_kind:     by_value
      - .actual_access:  read_only
        .address_space:  global
        .offset:         32
        .size:           8
        .value_kind:     global_buffer
      - .actual_access:  read_only
        .address_space:  global
        .offset:         40
        .size:           8
        .value_kind:     global_buffer
      - .actual_access:  read_only
        .address_space:  global
        .offset:         48
        .size:           8
        .value_kind:     global_buffer
      - .actual_access:  read_only
        .address_space:  global
        .offset:         56
        .size:           8
        .value_kind:     global_buffer
      - .actual_access:  read_only
        .address_space:  global
        .offset:         64
        .size:           8
        .value_kind:     global_buffer
      - .actual_access:  read_only
        .address_space:  global
        .offset:         72
        .size:           8
        .value_kind:     global_buffer
      - .offset:         80
        .size:           8
        .value_kind:     by_value
      - .actual_access:  read_only
        .address_space:  global
        .offset:         88
        .size:           8
        .value_kind:     global_buffer
      - .actual_access:  read_only
        .address_space:  global
        .offset:         96
        .size:           8
        .value_kind:     global_buffer
      - .actual_access:  read_only
        .address_space:  global
        .offset:         104
        .size:           8
        .value_kind:     global_buffer
      - .actual_access:  read_only
        .address_space:  global
        .offset:         112
        .size:           8
        .value_kind:     global_buffer
      - .actual_access:  read_only
        .address_space:  global
        .offset:         120
        .size:           8
        .value_kind:     global_buffer
      - .actual_access:  write_only
        .address_space:  global
        .offset:         128
        .size:           8
        .value_kind:     global_buffer
      - .offset:         136
        .size:           4
        .value_kind:     by_value
      - .offset:         140
        .size:           4
        .value_kind:     by_value
      - .offset:         144
        .size:           4
        .value_kind:     by_value
      - .offset:         148
        .size:           4
        .value_kind:     by_value
      - .offset:         152
        .size:           1
        .value_kind:     by_value
      - .offset:         153
        .size:           1
        .value_kind:     by_value
      - .offset:         154
        .size:           1
        .value_kind:     by_value
    .group_segment_fixed_size: 0
    .kernarg_segment_align: 8
    .kernarg_segment_size: 156
    .language:       OpenCL C
    .language_version:
      - 2
      - 0
    .max_flat_workgroup_size: 256
    .name:           _ZN9rocsparseL41csrgemm_numeric_fill_block_per_row_kernelILj256ELj32ELj512ELj137ELj32EiifEEvT5_PKS1_S3_NS_24const_host_device_scalarIT6_EEPKT4_S3_PKS5_S9_S3_SB_S6_S9_S3_SB_S9_S3_PS5_21rocsparse_index_base_SD_SD_SD_bbb
    .private_segment_fixed_size: 0
    .sgpr_count:     43
    .sgpr_spill_count: 0
    .symbol:         _ZN9rocsparseL41csrgemm_numeric_fill_block_per_row_kernelILj256ELj32ELj512ELj137ELj32EiifEEvT5_PKS1_S3_NS_24const_host_device_scalarIT6_EEPKT4_S3_PKS5_S9_S3_SB_S6_S9_S3_SB_S9_S3_PS5_21rocsparse_index_base_SD_SD_SD_bbb.kd
    .uniform_work_group_size: 1
    .uses_dynamic_stack: false
    .vgpr_count:     22
    .vgpr_spill_count: 0
    .wavefront_size: 32
  - .args:
      - .offset:         0
        .size:           4
        .value_kind:     by_value
      - .actual_access:  read_only
        .address_space:  global
        .offset:         8
        .size:           8
        .value_kind:     global_buffer
      - .actual_access:  read_only
        .address_space:  global
        .offset:         16
        .size:           8
        .value_kind:     global_buffer
      - .offset:         24
        .size:           8
        .value_kind:     by_value
      - .actual_access:  read_only
        .address_space:  global
        .offset:         32
        .size:           8
        .value_kind:     global_buffer
      - .actual_access:  read_only
        .address_space:  global
        .offset:         40
        .size:           8
        .value_kind:     global_buffer
      - .actual_access:  read_only
        .address_space:  global
        .offset:         48
        .size:           8
        .value_kind:     global_buffer
      - .actual_access:  read_only
        .address_space:  global
        .offset:         56
        .size:           8
        .value_kind:     global_buffer
      - .actual_access:  read_only
        .address_space:  global
        .offset:         64
        .size:           8
        .value_kind:     global_buffer
      - .actual_access:  read_only
        .address_space:  global
        .offset:         72
        .size:           8
        .value_kind:     global_buffer
      - .offset:         80
        .size:           8
        .value_kind:     by_value
      - .actual_access:  read_only
        .address_space:  global
        .offset:         88
        .size:           8
        .value_kind:     global_buffer
      - .actual_access:  read_only
        .address_space:  global
        .offset:         96
        .size:           8
        .value_kind:     global_buffer
      - .actual_access:  read_only
        .address_space:  global
        .offset:         104
        .size:           8
        .value_kind:     global_buffer
      - .actual_access:  read_only
        .address_space:  global
        .offset:         112
        .size:           8
        .value_kind:     global_buffer
      - .actual_access:  read_only
        .address_space:  global
        .offset:         120
        .size:           8
        .value_kind:     global_buffer
      - .actual_access:  write_only
        .address_space:  global
        .offset:         128
        .size:           8
        .value_kind:     global_buffer
      - .offset:         136
        .size:           4
        .value_kind:     by_value
      - .offset:         140
        .size:           4
        .value_kind:     by_value
      - .offset:         144
        .size:           4
        .value_kind:     by_value
      - .offset:         148
        .size:           4
        .value_kind:     by_value
      - .offset:         152
        .size:           1
        .value_kind:     by_value
      - .offset:         153
        .size:           1
        .value_kind:     by_value
      - .offset:         154
        .size:           1
        .value_kind:     by_value
    .group_segment_fixed_size: 0
    .kernarg_segment_align: 8
    .kernarg_segment_size: 156
    .language:       OpenCL C
    .language_version:
      - 2
      - 0
    .max_flat_workgroup_size: 256
    .name:           _ZN9rocsparseL41csrgemm_numeric_fill_block_per_row_kernelILj256ELj32ELj512ELj137ELj64EiifEEvT5_PKS1_S3_NS_24const_host_device_scalarIT6_EEPKT4_S3_PKS5_S9_S3_SB_S6_S9_S3_SB_S9_S3_PS5_21rocsparse_index_base_SD_SD_SD_bbb
    .private_segment_fixed_size: 0
    .sgpr_count:     43
    .sgpr_spill_count: 0
    .symbol:         _ZN9rocsparseL41csrgemm_numeric_fill_block_per_row_kernelILj256ELj32ELj512ELj137ELj64EiifEEvT5_PKS1_S3_NS_24const_host_device_scalarIT6_EEPKT4_S3_PKS5_S9_S3_SB_S6_S9_S3_SB_S9_S3_PS5_21rocsparse_index_base_SD_SD_SD_bbb.kd
    .uniform_work_group_size: 1
    .uses_dynamic_stack: false
    .vgpr_count:     22
    .vgpr_spill_count: 0
    .wavefront_size: 32
  - .args:
      - .offset:         0
        .size:           4
        .value_kind:     by_value
      - .actual_access:  read_only
        .address_space:  global
        .offset:         8
        .size:           8
        .value_kind:     global_buffer
      - .actual_access:  read_only
        .address_space:  global
        .offset:         16
        .size:           8
        .value_kind:     global_buffer
      - .offset:         24
        .size:           8
        .value_kind:     by_value
      - .actual_access:  read_only
        .address_space:  global
        .offset:         32
        .size:           8
        .value_kind:     global_buffer
      - .actual_access:  read_only
        .address_space:  global
        .offset:         40
        .size:           8
        .value_kind:     global_buffer
      - .actual_access:  read_only
        .address_space:  global
        .offset:         48
        .size:           8
        .value_kind:     global_buffer
      - .actual_access:  read_only
        .address_space:  global
        .offset:         56
        .size:           8
        .value_kind:     global_buffer
      - .actual_access:  read_only
        .address_space:  global
        .offset:         64
        .size:           8
        .value_kind:     global_buffer
      - .actual_access:  read_only
        .address_space:  global
        .offset:         72
        .size:           8
        .value_kind:     global_buffer
      - .offset:         80
        .size:           8
        .value_kind:     by_value
      - .actual_access:  read_only
        .address_space:  global
        .offset:         88
        .size:           8
        .value_kind:     global_buffer
      - .actual_access:  read_only
        .address_space:  global
        .offset:         96
        .size:           8
        .value_kind:     global_buffer
      - .actual_access:  read_only
        .address_space:  global
        .offset:         104
        .size:           8
        .value_kind:     global_buffer
      - .actual_access:  read_only
        .address_space:  global
        .offset:         112
        .size:           8
        .value_kind:     global_buffer
      - .actual_access:  read_only
        .address_space:  global
        .offset:         120
        .size:           8
        .value_kind:     global_buffer
      - .actual_access:  write_only
        .address_space:  global
        .offset:         128
        .size:           8
        .value_kind:     global_buffer
      - .offset:         136
        .size:           4
        .value_kind:     by_value
      - .offset:         140
        .size:           4
        .value_kind:     by_value
      - .offset:         144
        .size:           4
        .value_kind:     by_value
      - .offset:         148
        .size:           4
        .value_kind:     by_value
      - .offset:         152
        .size:           1
        .value_kind:     by_value
      - .offset:         153
        .size:           1
        .value_kind:     by_value
      - .offset:         154
        .size:           1
        .value_kind:     by_value
    .group_segment_fixed_size: 0
    .kernarg_segment_align: 8
    .kernarg_segment_size: 156
    .language:       OpenCL C
    .language_version:
      - 2
      - 0
    .max_flat_workgroup_size: 512
    .name:           _ZN9rocsparseL41csrgemm_numeric_fill_block_per_row_kernelILj512ELj32ELj1024ELj137ELj32EiifEEvT5_PKS1_S3_NS_24const_host_device_scalarIT6_EEPKT4_S3_PKS5_S9_S3_SB_S6_S9_S3_SB_S9_S3_PS5_21rocsparse_index_base_SD_SD_SD_bbb
    .private_segment_fixed_size: 0
    .sgpr_count:     42
    .sgpr_spill_count: 0
    .symbol:         _ZN9rocsparseL41csrgemm_numeric_fill_block_per_row_kernelILj512ELj32ELj1024ELj137ELj32EiifEEvT5_PKS1_S3_NS_24const_host_device_scalarIT6_EEPKT4_S3_PKS5_S9_S3_SB_S6_S9_S3_SB_S9_S3_PS5_21rocsparse_index_base_SD_SD_SD_bbb.kd
    .uniform_work_group_size: 1
    .uses_dynamic_stack: false
    .vgpr_count:     22
    .vgpr_spill_count: 0
    .wavefront_size: 32
  - .args:
      - .offset:         0
        .size:           4
        .value_kind:     by_value
      - .actual_access:  read_only
        .address_space:  global
        .offset:         8
        .size:           8
        .value_kind:     global_buffer
      - .actual_access:  read_only
        .address_space:  global
        .offset:         16
        .size:           8
        .value_kind:     global_buffer
      - .offset:         24
        .size:           8
        .value_kind:     by_value
      - .actual_access:  read_only
        .address_space:  global
        .offset:         32
        .size:           8
        .value_kind:     global_buffer
      - .actual_access:  read_only
        .address_space:  global
        .offset:         40
        .size:           8
        .value_kind:     global_buffer
      - .actual_access:  read_only
        .address_space:  global
        .offset:         48
        .size:           8
        .value_kind:     global_buffer
      - .actual_access:  read_only
        .address_space:  global
        .offset:         56
        .size:           8
        .value_kind:     global_buffer
      - .actual_access:  read_only
        .address_space:  global
        .offset:         64
        .size:           8
        .value_kind:     global_buffer
      - .actual_access:  read_only
        .address_space:  global
        .offset:         72
        .size:           8
        .value_kind:     global_buffer
      - .offset:         80
        .size:           8
        .value_kind:     by_value
      - .actual_access:  read_only
        .address_space:  global
        .offset:         88
        .size:           8
        .value_kind:     global_buffer
      - .actual_access:  read_only
        .address_space:  global
        .offset:         96
        .size:           8
        .value_kind:     global_buffer
      - .actual_access:  read_only
        .address_space:  global
        .offset:         104
        .size:           8
        .value_kind:     global_buffer
      - .actual_access:  read_only
        .address_space:  global
        .offset:         112
        .size:           8
        .value_kind:     global_buffer
      - .actual_access:  read_only
        .address_space:  global
        .offset:         120
        .size:           8
        .value_kind:     global_buffer
      - .actual_access:  write_only
        .address_space:  global
        .offset:         128
        .size:           8
        .value_kind:     global_buffer
      - .offset:         136
        .size:           4
        .value_kind:     by_value
      - .offset:         140
        .size:           4
        .value_kind:     by_value
      - .offset:         144
        .size:           4
        .value_kind:     by_value
      - .offset:         148
        .size:           4
        .value_kind:     by_value
      - .offset:         152
        .size:           1
        .value_kind:     by_value
      - .offset:         153
        .size:           1
        .value_kind:     by_value
      - .offset:         154
        .size:           1
        .value_kind:     by_value
    .group_segment_fixed_size: 0
    .kernarg_segment_align: 8
    .kernarg_segment_size: 156
    .language:       OpenCL C
    .language_version:
      - 2
      - 0
    .max_flat_workgroup_size: 512
    .name:           _ZN9rocsparseL41csrgemm_numeric_fill_block_per_row_kernelILj512ELj32ELj1024ELj137ELj64EiifEEvT5_PKS1_S3_NS_24const_host_device_scalarIT6_EEPKT4_S3_PKS5_S9_S3_SB_S6_S9_S3_SB_S9_S3_PS5_21rocsparse_index_base_SD_SD_SD_bbb
    .private_segment_fixed_size: 0
    .sgpr_count:     42
    .sgpr_spill_count: 0
    .symbol:         _ZN9rocsparseL41csrgemm_numeric_fill_block_per_row_kernelILj512ELj32ELj1024ELj137ELj64EiifEEvT5_PKS1_S3_NS_24const_host_device_scalarIT6_EEPKT4_S3_PKS5_S9_S3_SB_S6_S9_S3_SB_S9_S3_PS5_21rocsparse_index_base_SD_SD_SD_bbb.kd
    .uniform_work_group_size: 1
    .uses_dynamic_stack: false
    .vgpr_count:     22
    .vgpr_spill_count: 0
    .wavefront_size: 32
  - .args:
      - .offset:         0
        .size:           4
        .value_kind:     by_value
      - .actual_access:  read_only
        .address_space:  global
        .offset:         8
        .size:           8
        .value_kind:     global_buffer
      - .actual_access:  read_only
        .address_space:  global
        .offset:         16
        .size:           8
        .value_kind:     global_buffer
      - .offset:         24
        .size:           8
        .value_kind:     by_value
      - .actual_access:  read_only
        .address_space:  global
        .offset:         32
        .size:           8
        .value_kind:     global_buffer
      - .actual_access:  read_only
        .address_space:  global
        .offset:         40
        .size:           8
        .value_kind:     global_buffer
      - .actual_access:  read_only
        .address_space:  global
        .offset:         48
        .size:           8
        .value_kind:     global_buffer
      - .actual_access:  read_only
        .address_space:  global
        .offset:         56
        .size:           8
        .value_kind:     global_buffer
      - .actual_access:  read_only
        .address_space:  global
        .offset:         64
        .size:           8
        .value_kind:     global_buffer
      - .actual_access:  read_only
        .address_space:  global
        .offset:         72
        .size:           8
        .value_kind:     global_buffer
      - .offset:         80
        .size:           8
        .value_kind:     by_value
      - .actual_access:  read_only
        .address_space:  global
        .offset:         88
        .size:           8
        .value_kind:     global_buffer
      - .actual_access:  read_only
        .address_space:  global
        .offset:         96
        .size:           8
        .value_kind:     global_buffer
      - .actual_access:  read_only
        .address_space:  global
        .offset:         104
        .size:           8
        .value_kind:     global_buffer
      - .actual_access:  read_only
        .address_space:  global
        .offset:         112
        .size:           8
        .value_kind:     global_buffer
      - .actual_access:  read_only
        .address_space:  global
        .offset:         120
        .size:           8
        .value_kind:     global_buffer
      - .actual_access:  write_only
        .address_space:  global
        .offset:         128
        .size:           8
        .value_kind:     global_buffer
      - .offset:         136
        .size:           4
        .value_kind:     by_value
      - .offset:         140
        .size:           4
        .value_kind:     by_value
      - .offset:         144
        .size:           4
        .value_kind:     by_value
      - .offset:         148
        .size:           4
        .value_kind:     by_value
      - .offset:         152
        .size:           1
        .value_kind:     by_value
      - .offset:         153
        .size:           1
        .value_kind:     by_value
      - .offset:         154
        .size:           1
        .value_kind:     by_value
    .group_segment_fixed_size: 0
    .kernarg_segment_align: 8
    .kernarg_segment_size: 156
    .language:       OpenCL C
    .language_version:
      - 2
      - 0
    .max_flat_workgroup_size: 1024
    .name:           _ZN9rocsparseL41csrgemm_numeric_fill_block_per_row_kernelILj1024ELj32ELj2048ELj137ELj32EiifEEvT5_PKS1_S3_NS_24const_host_device_scalarIT6_EEPKT4_S3_PKS5_S9_S3_SB_S6_S9_S3_SB_S9_S3_PS5_21rocsparse_index_base_SD_SD_SD_bbb
    .private_segment_fixed_size: 0
    .sgpr_count:     46
    .sgpr_spill_count: 0
    .symbol:         _ZN9rocsparseL41csrgemm_numeric_fill_block_per_row_kernelILj1024ELj32ELj2048ELj137ELj32EiifEEvT5_PKS1_S3_NS_24const_host_device_scalarIT6_EEPKT4_S3_PKS5_S9_S3_SB_S6_S9_S3_SB_S9_S3_PS5_21rocsparse_index_base_SD_SD_SD_bbb.kd
    .uniform_work_group_size: 1
    .uses_dynamic_stack: false
    .vgpr_count:     22
    .vgpr_spill_count: 0
    .wavefront_size: 32
  - .args:
      - .offset:         0
        .size:           4
        .value_kind:     by_value
      - .actual_access:  read_only
        .address_space:  global
        .offset:         8
        .size:           8
        .value_kind:     global_buffer
      - .actual_access:  read_only
        .address_space:  global
        .offset:         16
        .size:           8
        .value_kind:     global_buffer
      - .offset:         24
        .size:           8
        .value_kind:     by_value
      - .actual_access:  read_only
        .address_space:  global
        .offset:         32
        .size:           8
        .value_kind:     global_buffer
      - .actual_access:  read_only
        .address_space:  global
        .offset:         40
        .size:           8
        .value_kind:     global_buffer
      - .actual_access:  read_only
        .address_space:  global
        .offset:         48
        .size:           8
        .value_kind:     global_buffer
      - .actual_access:  read_only
        .address_space:  global
        .offset:         56
        .size:           8
        .value_kind:     global_buffer
      - .actual_access:  read_only
        .address_space:  global
        .offset:         64
        .size:           8
        .value_kind:     global_buffer
      - .actual_access:  read_only
        .address_space:  global
        .offset:         72
        .size:           8
        .value_kind:     global_buffer
      - .offset:         80
        .size:           8
        .value_kind:     by_value
      - .actual_access:  read_only
        .address_space:  global
        .offset:         88
        .size:           8
        .value_kind:     global_buffer
      - .actual_access:  read_only
        .address_space:  global
        .offset:         96
        .size:           8
        .value_kind:     global_buffer
      - .actual_access:  read_only
        .address_space:  global
        .offset:         104
        .size:           8
        .value_kind:     global_buffer
      - .actual_access:  read_only
        .address_space:  global
        .offset:         112
        .size:           8
        .value_kind:     global_buffer
      - .actual_access:  read_only
        .address_space:  global
        .offset:         120
        .size:           8
        .value_kind:     global_buffer
      - .actual_access:  write_only
        .address_space:  global
        .offset:         128
        .size:           8
        .value_kind:     global_buffer
      - .offset:         136
        .size:           4
        .value_kind:     by_value
      - .offset:         140
        .size:           4
        .value_kind:     by_value
      - .offset:         144
        .size:           4
        .value_kind:     by_value
      - .offset:         148
        .size:           4
        .value_kind:     by_value
      - .offset:         152
        .size:           1
        .value_kind:     by_value
      - .offset:         153
        .size:           1
        .value_kind:     by_value
      - .offset:         154
        .size:           1
        .value_kind:     by_value
    .group_segment_fixed_size: 0
    .kernarg_segment_align: 8
    .kernarg_segment_size: 156
    .language:       OpenCL C
    .language_version:
      - 2
      - 0
    .max_flat_workgroup_size: 1024
    .name:           _ZN9rocsparseL41csrgemm_numeric_fill_block_per_row_kernelILj1024ELj32ELj2048ELj137ELj64EiifEEvT5_PKS1_S3_NS_24const_host_device_scalarIT6_EEPKT4_S3_PKS5_S9_S3_SB_S6_S9_S3_SB_S9_S3_PS5_21rocsparse_index_base_SD_SD_SD_bbb
    .private_segment_fixed_size: 0
    .sgpr_count:     42
    .sgpr_spill_count: 0
    .symbol:         _ZN9rocsparseL41csrgemm_numeric_fill_block_per_row_kernelILj1024ELj32ELj2048ELj137ELj64EiifEEvT5_PKS1_S3_NS_24const_host_device_scalarIT6_EEPKT4_S3_PKS5_S9_S3_SB_S6_S9_S3_SB_S9_S3_PS5_21rocsparse_index_base_SD_SD_SD_bbb.kd
    .uniform_work_group_size: 1
    .uses_dynamic_stack: false
    .vgpr_count:     22
    .vgpr_spill_count: 0
    .wavefront_size: 32
  - .args:
      - .offset:         0
        .size:           4
        .value_kind:     by_value
      - .actual_access:  read_only
        .address_space:  global
        .offset:         8
        .size:           8
        .value_kind:     global_buffer
      - .actual_access:  read_only
        .address_space:  global
        .offset:         16
        .size:           8
        .value_kind:     global_buffer
      - .offset:         24
        .size:           8
        .value_kind:     by_value
      - .actual_access:  read_only
        .address_space:  global
        .offset:         32
        .size:           8
        .value_kind:     global_buffer
      - .actual_access:  read_only
        .address_space:  global
        .offset:         40
        .size:           8
        .value_kind:     global_buffer
      - .actual_access:  read_only
        .address_space:  global
        .offset:         48
        .size:           8
        .value_kind:     global_buffer
      - .actual_access:  read_only
        .address_space:  global
        .offset:         56
        .size:           8
        .value_kind:     global_buffer
      - .actual_access:  read_only
        .address_space:  global
        .offset:         64
        .size:           8
        .value_kind:     global_buffer
      - .actual_access:  read_only
        .address_space:  global
        .offset:         72
        .size:           8
        .value_kind:     global_buffer
      - .offset:         80
        .size:           8
        .value_kind:     by_value
      - .actual_access:  read_only
        .address_space:  global
        .offset:         88
        .size:           8
        .value_kind:     global_buffer
      - .actual_access:  read_only
        .address_space:  global
        .offset:         96
        .size:           8
        .value_kind:     global_buffer
      - .actual_access:  read_only
        .address_space:  global
        .offset:         104
        .size:           8
        .value_kind:     global_buffer
      - .actual_access:  read_only
        .address_space:  global
        .offset:         112
        .size:           8
        .value_kind:     global_buffer
      - .actual_access:  read_only
        .address_space:  global
        .offset:         120
        .size:           8
        .value_kind:     global_buffer
      - .actual_access:  write_only
        .address_space:  global
        .offset:         128
        .size:           8
        .value_kind:     global_buffer
      - .offset:         136
        .size:           4
        .value_kind:     by_value
      - .offset:         140
        .size:           4
        .value_kind:     by_value
      - .offset:         144
        .size:           4
        .value_kind:     by_value
      - .offset:         148
        .size:           4
        .value_kind:     by_value
      - .offset:         152
        .size:           1
        .value_kind:     by_value
      - .offset:         153
        .size:           1
        .value_kind:     by_value
      - .offset:         154
        .size:           1
        .value_kind:     by_value
    .group_segment_fixed_size: 0
    .kernarg_segment_align: 8
    .kernarg_segment_size: 156
    .language:       OpenCL C
    .language_version:
      - 2
      - 0
    .max_flat_workgroup_size: 1024
    .name:           _ZN9rocsparseL41csrgemm_numeric_fill_block_per_row_kernelILj1024ELj64ELj4096ELj137ELj32EiifEEvT5_PKS1_S3_NS_24const_host_device_scalarIT6_EEPKT4_S3_PKS5_S9_S3_SB_S6_S9_S3_SB_S9_S3_PS5_21rocsparse_index_base_SD_SD_SD_bbb
    .private_segment_fixed_size: 0
    .sgpr_count:     46
    .sgpr_spill_count: 0
    .symbol:         _ZN9rocsparseL41csrgemm_numeric_fill_block_per_row_kernelILj1024ELj64ELj4096ELj137ELj32EiifEEvT5_PKS1_S3_NS_24const_host_device_scalarIT6_EEPKT4_S3_PKS5_S9_S3_SB_S6_S9_S3_SB_S9_S3_PS5_21rocsparse_index_base_SD_SD_SD_bbb.kd
    .uniform_work_group_size: 1
    .uses_dynamic_stack: false
    .vgpr_count:     22
    .vgpr_spill_count: 0
    .wavefront_size: 32
  - .args:
      - .offset:         0
        .size:           4
        .value_kind:     by_value
      - .actual_access:  read_only
        .address_space:  global
        .offset:         8
        .size:           8
        .value_kind:     global_buffer
      - .actual_access:  read_only
        .address_space:  global
        .offset:         16
        .size:           8
        .value_kind:     global_buffer
      - .offset:         24
        .size:           8
        .value_kind:     by_value
      - .actual_access:  read_only
        .address_space:  global
        .offset:         32
        .size:           8
        .value_kind:     global_buffer
      - .actual_access:  read_only
        .address_space:  global
        .offset:         40
        .size:           8
        .value_kind:     global_buffer
      - .actual_access:  read_only
        .address_space:  global
        .offset:         48
        .size:           8
        .value_kind:     global_buffer
      - .actual_access:  read_only
        .address_space:  global
        .offset:         56
        .size:           8
        .value_kind:     global_buffer
      - .actual_access:  read_only
        .address_space:  global
        .offset:         64
        .size:           8
        .value_kind:     global_buffer
      - .actual_access:  read_only
        .address_space:  global
        .offset:         72
        .size:           8
        .value_kind:     global_buffer
      - .offset:         80
        .size:           8
        .value_kind:     by_value
      - .actual_access:  read_only
        .address_space:  global
        .offset:         88
        .size:           8
        .value_kind:     global_buffer
      - .actual_access:  read_only
        .address_space:  global
        .offset:         96
        .size:           8
        .value_kind:     global_buffer
      - .actual_access:  read_only
        .address_space:  global
        .offset:         104
        .size:           8
        .value_kind:     global_buffer
      - .actual_access:  read_only
        .address_space:  global
        .offset:         112
        .size:           8
        .value_kind:     global_buffer
      - .actual_access:  read_only
        .address_space:  global
        .offset:         120
        .size:           8
        .value_kind:     global_buffer
      - .actual_access:  write_only
        .address_space:  global
        .offset:         128
        .size:           8
        .value_kind:     global_buffer
      - .offset:         136
        .size:           4
        .value_kind:     by_value
      - .offset:         140
        .size:           4
        .value_kind:     by_value
      - .offset:         144
        .size:           4
        .value_kind:     by_value
      - .offset:         148
        .size:           4
        .value_kind:     by_value
      - .offset:         152
        .size:           1
        .value_kind:     by_value
      - .offset:         153
        .size:           1
        .value_kind:     by_value
      - .offset:         154
        .size:           1
        .value_kind:     by_value
    .group_segment_fixed_size: 0
    .kernarg_segment_align: 8
    .kernarg_segment_size: 156
    .language:       OpenCL C
    .language_version:
      - 2
      - 0
    .max_flat_workgroup_size: 1024
    .name:           _ZN9rocsparseL41csrgemm_numeric_fill_block_per_row_kernelILj1024ELj64ELj4096ELj137ELj64EiifEEvT5_PKS1_S3_NS_24const_host_device_scalarIT6_EEPKT4_S3_PKS5_S9_S3_SB_S6_S9_S3_SB_S9_S3_PS5_21rocsparse_index_base_SD_SD_SD_bbb
    .private_segment_fixed_size: 0
    .sgpr_count:     42
    .sgpr_spill_count: 0
    .symbol:         _ZN9rocsparseL41csrgemm_numeric_fill_block_per_row_kernelILj1024ELj64ELj4096ELj137ELj64EiifEEvT5_PKS1_S3_NS_24const_host_device_scalarIT6_EEPKT4_S3_PKS5_S9_S3_SB_S6_S9_S3_SB_S9_S3_PS5_21rocsparse_index_base_SD_SD_SD_bbb.kd
    .uniform_work_group_size: 1
    .uses_dynamic_stack: false
    .vgpr_count:     22
    .vgpr_spill_count: 0
    .wavefront_size: 32
  - .args:
      - .offset:         0
        .size:           4
        .value_kind:     by_value
      - .actual_access:  read_only
        .address_space:  global
        .offset:         8
        .size:           8
        .value_kind:     global_buffer
      - .actual_access:  read_only
        .address_space:  global
        .offset:         16
        .size:           8
        .value_kind:     global_buffer
      - .offset:         24
        .size:           8
        .value_kind:     by_value
      - .actual_access:  read_only
        .address_space:  global
        .offset:         32
        .size:           8
        .value_kind:     global_buffer
      - .actual_access:  read_only
        .address_space:  global
        .offset:         40
        .size:           8
        .value_kind:     global_buffer
      - .actual_access:  read_only
        .address_space:  global
        .offset:         48
        .size:           8
        .value_kind:     global_buffer
      - .actual_access:  read_only
        .address_space:  global
        .offset:         56
        .size:           8
        .value_kind:     global_buffer
      - .actual_access:  read_only
        .address_space:  global
        .offset:         64
        .size:           8
        .value_kind:     global_buffer
      - .actual_access:  read_only
        .address_space:  global
        .offset:         72
        .size:           8
        .value_kind:     global_buffer
      - .offset:         80
        .size:           8
        .value_kind:     by_value
      - .actual_access:  read_only
        .address_space:  global
        .offset:         88
        .size:           8
        .value_kind:     global_buffer
      - .actual_access:  read_only
        .address_space:  global
        .offset:         96
        .size:           8
        .value_kind:     global_buffer
      - .actual_access:  read_only
        .address_space:  global
        .offset:         104
        .size:           8
        .value_kind:     global_buffer
      - .actual_access:  read_only
        .address_space:  global
        .offset:         112
        .size:           8
        .value_kind:     global_buffer
      - .actual_access:  read_only
        .address_space:  global
        .offset:         120
        .size:           8
        .value_kind:     global_buffer
      - .actual_access:  write_only
        .address_space:  global
        .offset:         128
        .size:           8
        .value_kind:     global_buffer
      - .offset:         136
        .size:           4
        .value_kind:     by_value
      - .offset:         140
        .size:           4
        .value_kind:     by_value
      - .offset:         144
        .size:           4
        .value_kind:     by_value
      - .offset:         148
        .size:           4
        .value_kind:     by_value
      - .offset:         152
        .size:           1
        .value_kind:     by_value
      - .offset:         153
        .size:           1
        .value_kind:     by_value
      - .offset:         154
        .size:           1
        .value_kind:     by_value
    .group_segment_fixed_size: 0
    .kernarg_segment_align: 8
    .kernarg_segment_size: 156
    .language:       OpenCL C
    .language_version:
      - 2
      - 0
    .max_flat_workgroup_size: 1024
    .name:           _ZN9rocsparseL41csrgemm_numeric_fill_block_per_row_kernelILj1024ELj64ELj8192ELj137ELj32EiifEEvT5_PKS1_S3_NS_24const_host_device_scalarIT6_EEPKT4_S3_PKS5_S9_S3_SB_S6_S9_S3_SB_S9_S3_PS5_21rocsparse_index_base_SD_SD_SD_bbb
    .private_segment_fixed_size: 0
    .sgpr_count:     76
    .sgpr_spill_count: 0
    .symbol:         _ZN9rocsparseL41csrgemm_numeric_fill_block_per_row_kernelILj1024ELj64ELj8192ELj137ELj32EiifEEvT5_PKS1_S3_NS_24const_host_device_scalarIT6_EEPKT4_S3_PKS5_S9_S3_SB_S6_S9_S3_SB_S9_S3_PS5_21rocsparse_index_base_SD_SD_SD_bbb.kd
    .uniform_work_group_size: 1
    .uses_dynamic_stack: false
    .vgpr_count:     22
    .vgpr_spill_count: 0
    .wavefront_size: 32
  - .args:
      - .offset:         0
        .size:           4
        .value_kind:     by_value
      - .actual_access:  read_only
        .address_space:  global
        .offset:         8
        .size:           8
        .value_kind:     global_buffer
      - .actual_access:  read_only
        .address_space:  global
        .offset:         16
        .size:           8
        .value_kind:     global_buffer
      - .offset:         24
        .size:           8
        .value_kind:     by_value
      - .actual_access:  read_only
        .address_space:  global
        .offset:         32
        .size:           8
        .value_kind:     global_buffer
      - .actual_access:  read_only
        .address_space:  global
        .offset:         40
        .size:           8
        .value_kind:     global_buffer
      - .actual_access:  read_only
        .address_space:  global
        .offset:         48
        .size:           8
        .value_kind:     global_buffer
      - .actual_access:  read_only
        .address_space:  global
        .offset:         56
        .size:           8
        .value_kind:     global_buffer
      - .actual_access:  read_only
        .address_space:  global
        .offset:         64
        .size:           8
        .value_kind:     global_buffer
      - .actual_access:  read_only
        .address_space:  global
        .offset:         72
        .size:           8
        .value_kind:     global_buffer
      - .offset:         80
        .size:           8
        .value_kind:     by_value
      - .actual_access:  read_only
        .address_space:  global
        .offset:         88
        .size:           8
        .value_kind:     global_buffer
      - .actual_access:  read_only
        .address_space:  global
        .offset:         96
        .size:           8
        .value_kind:     global_buffer
      - .actual_access:  read_only
        .address_space:  global
        .offset:         104
        .size:           8
        .value_kind:     global_buffer
      - .actual_access:  read_only
        .address_space:  global
        .offset:         112
        .size:           8
        .value_kind:     global_buffer
      - .actual_access:  read_only
        .address_space:  global
        .offset:         120
        .size:           8
        .value_kind:     global_buffer
      - .actual_access:  write_only
        .address_space:  global
        .offset:         128
        .size:           8
        .value_kind:     global_buffer
      - .offset:         136
        .size:           4
        .value_kind:     by_value
      - .offset:         140
        .size:           4
        .value_kind:     by_value
      - .offset:         144
        .size:           4
        .value_kind:     by_value
      - .offset:         148
        .size:           4
        .value_kind:     by_value
      - .offset:         152
        .size:           1
        .value_kind:     by_value
      - .offset:         153
        .size:           1
        .value_kind:     by_value
      - .offset:         154
        .size:           1
        .value_kind:     by_value
    .group_segment_fixed_size: 0
    .kernarg_segment_align: 8
    .kernarg_segment_size: 156
    .language:       OpenCL C
    .language_version:
      - 2
      - 0
    .max_flat_workgroup_size: 1024
    .name:           _ZN9rocsparseL41csrgemm_numeric_fill_block_per_row_kernelILj1024ELj64ELj8192ELj137ELj64EiifEEvT5_PKS1_S3_NS_24const_host_device_scalarIT6_EEPKT4_S3_PKS5_S9_S3_SB_S6_S9_S3_SB_S9_S3_PS5_21rocsparse_index_base_SD_SD_SD_bbb
    .private_segment_fixed_size: 0
    .sgpr_count:     44
    .sgpr_spill_count: 0
    .symbol:         _ZN9rocsparseL41csrgemm_numeric_fill_block_per_row_kernelILj1024ELj64ELj8192ELj137ELj64EiifEEvT5_PKS1_S3_NS_24const_host_device_scalarIT6_EEPKT4_S3_PKS5_S9_S3_SB_S6_S9_S3_SB_S9_S3_PS5_21rocsparse_index_base_SD_SD_SD_bbb.kd
    .uniform_work_group_size: 1
    .uses_dynamic_stack: false
    .vgpr_count:     22
    .vgpr_spill_count: 0
    .wavefront_size: 32
  - .args:
      - .offset:         0
        .size:           4
        .value_kind:     by_value
      - .actual_access:  read_only
        .address_space:  global
        .offset:         8
        .size:           8
        .value_kind:     global_buffer
      - .actual_access:  read_only
        .address_space:  global
        .offset:         16
        .size:           8
        .value_kind:     global_buffer
      - .offset:         24
        .size:           8
        .value_kind:     by_value
      - .actual_access:  read_only
        .address_space:  global
        .offset:         32
        .size:           8
        .value_kind:     global_buffer
      - .actual_access:  read_only
        .address_space:  global
        .offset:         40
        .size:           8
        .value_kind:     global_buffer
      - .actual_access:  read_only
        .address_space:  global
        .offset:         48
        .size:           8
        .value_kind:     global_buffer
      - .actual_access:  read_only
        .address_space:  global
        .offset:         56
        .size:           8
        .value_kind:     global_buffer
      - .actual_access:  read_only
        .address_space:  global
        .offset:         64
        .size:           8
        .value_kind:     global_buffer
      - .actual_access:  read_only
        .address_space:  global
        .offset:         72
        .size:           8
        .value_kind:     global_buffer
      - .offset:         80
        .size:           8
        .value_kind:     by_value
      - .actual_access:  read_only
        .address_space:  global
        .offset:         88
        .size:           8
        .value_kind:     global_buffer
      - .actual_access:  read_only
        .address_space:  global
        .offset:         96
        .size:           8
        .value_kind:     global_buffer
      - .actual_access:  read_only
        .address_space:  global
        .offset:         104
        .size:           8
        .value_kind:     global_buffer
      - .actual_access:  read_only
        .address_space:  global
        .offset:         112
        .size:           8
        .value_kind:     global_buffer
      - .actual_access:  read_only
        .address_space:  global
        .offset:         120
        .size:           8
        .value_kind:     global_buffer
      - .actual_access:  write_only
        .address_space:  global
        .offset:         128
        .size:           8
        .value_kind:     global_buffer
      - .offset:         136
        .size:           4
        .value_kind:     by_value
      - .offset:         140
        .size:           4
        .value_kind:     by_value
      - .offset:         144
        .size:           4
        .value_kind:     by_value
      - .offset:         148
        .size:           4
        .value_kind:     by_value
      - .offset:         152
        .size:           1
        .value_kind:     by_value
      - .offset:         153
        .size:           1
        .value_kind:     by_value
      - .offset:         154
        .size:           1
        .value_kind:     by_value
    .group_segment_fixed_size: 0
    .kernarg_segment_align: 8
    .kernarg_segment_size: 156
    .language:       OpenCL C
    .language_version:
      - 2
      - 0
    .max_flat_workgroup_size: 1024
    .name:           _ZN9rocsparseL41csrgemm_numeric_fill_block_per_row_kernelILj1024ELj64ELj16384ELj137ELj32EiifEEvT5_PKS1_S3_NS_24const_host_device_scalarIT6_EEPKT4_S3_PKS5_S9_S3_SB_S6_S9_S3_SB_S9_S3_PS5_21rocsparse_index_base_SD_SD_SD_bbb
    .private_segment_fixed_size: 0
    .sgpr_count:     76
    .sgpr_spill_count: 0
    .symbol:         _ZN9rocsparseL41csrgemm_numeric_fill_block_per_row_kernelILj1024ELj64ELj16384ELj137ELj32EiifEEvT5_PKS1_S3_NS_24const_host_device_scalarIT6_EEPKT4_S3_PKS5_S9_S3_SB_S6_S9_S3_SB_S9_S3_PS5_21rocsparse_index_base_SD_SD_SD_bbb.kd
    .uniform_work_group_size: 1
    .uses_dynamic_stack: false
    .vgpr_count:     22
    .vgpr_spill_count: 0
    .wavefront_size: 32
  - .args:
      - .offset:         0
        .size:           4
        .value_kind:     by_value
      - .actual_access:  read_only
        .address_space:  global
        .offset:         8
        .size:           8
        .value_kind:     global_buffer
      - .actual_access:  read_only
        .address_space:  global
        .offset:         16
        .size:           8
        .value_kind:     global_buffer
      - .offset:         24
        .size:           8
        .value_kind:     by_value
      - .actual_access:  read_only
        .address_space:  global
        .offset:         32
        .size:           8
        .value_kind:     global_buffer
      - .actual_access:  read_only
        .address_space:  global
        .offset:         40
        .size:           8
        .value_kind:     global_buffer
      - .actual_access:  read_only
        .address_space:  global
        .offset:         48
        .size:           8
        .value_kind:     global_buffer
      - .actual_access:  read_only
        .address_space:  global
        .offset:         56
        .size:           8
        .value_kind:     global_buffer
      - .actual_access:  read_only
        .address_space:  global
        .offset:         64
        .size:           8
        .value_kind:     global_buffer
      - .actual_access:  read_only
        .address_space:  global
        .offset:         72
        .size:           8
        .value_kind:     global_buffer
      - .offset:         80
        .size:           8
        .value_kind:     by_value
      - .actual_access:  read_only
        .address_space:  global
        .offset:         88
        .size:           8
        .value_kind:     global_buffer
      - .actual_access:  read_only
        .address_space:  global
        .offset:         96
        .size:           8
        .value_kind:     global_buffer
      - .actual_access:  read_only
        .address_space:  global
        .offset:         104
        .size:           8
        .value_kind:     global_buffer
      - .actual_access:  read_only
        .address_space:  global
        .offset:         112
        .size:           8
        .value_kind:     global_buffer
      - .actual_access:  read_only
        .address_space:  global
        .offset:         120
        .size:           8
        .value_kind:     global_buffer
      - .actual_access:  write_only
        .address_space:  global
        .offset:         128
        .size:           8
        .value_kind:     global_buffer
      - .offset:         136
        .size:           4
        .value_kind:     by_value
      - .offset:         140
        .size:           4
        .value_kind:     by_value
      - .offset:         144
        .size:           4
        .value_kind:     by_value
      - .offset:         148
        .size:           4
        .value_kind:     by_value
      - .offset:         152
        .size:           1
        .value_kind:     by_value
      - .offset:         153
        .size:           1
        .value_kind:     by_value
      - .offset:         154
        .size:           1
        .value_kind:     by_value
    .group_segment_fixed_size: 0
    .kernarg_segment_align: 8
    .kernarg_segment_size: 156
    .language:       OpenCL C
    .language_version:
      - 2
      - 0
    .max_flat_workgroup_size: 1024
    .name:           _ZN9rocsparseL41csrgemm_numeric_fill_block_per_row_kernelILj1024ELj64ELj16384ELj137ELj64EiifEEvT5_PKS1_S3_NS_24const_host_device_scalarIT6_EEPKT4_S3_PKS5_S9_S3_SB_S6_S9_S3_SB_S9_S3_PS5_21rocsparse_index_base_SD_SD_SD_bbb
    .private_segment_fixed_size: 0
    .sgpr_count:     44
    .sgpr_spill_count: 0
    .symbol:         _ZN9rocsparseL41csrgemm_numeric_fill_block_per_row_kernelILj1024ELj64ELj16384ELj137ELj64EiifEEvT5_PKS1_S3_NS_24const_host_device_scalarIT6_EEPKT4_S3_PKS5_S9_S3_SB_S6_S9_S3_SB_S9_S3_PS5_21rocsparse_index_base_SD_SD_SD_bbb.kd
    .uniform_work_group_size: 1
    .uses_dynamic_stack: false
    .vgpr_count:     22
    .vgpr_spill_count: 0
    .wavefront_size: 32
  - .args:
      - .offset:         0
        .size:           4
        .value_kind:     by_value
      - .actual_access:  read_only
        .address_space:  global
        .offset:         8
        .size:           8
        .value_kind:     global_buffer
      - .actual_access:  read_only
        .address_space:  global
        .offset:         16
        .size:           8
        .value_kind:     global_buffer
      - .offset:         24
        .size:           8
        .value_kind:     by_value
      - .actual_access:  read_only
        .address_space:  global
        .offset:         32
        .size:           8
        .value_kind:     global_buffer
      - .actual_access:  read_only
        .address_space:  global
        .offset:         40
        .size:           8
        .value_kind:     global_buffer
      - .actual_access:  read_only
        .address_space:  global
        .offset:         48
        .size:           8
        .value_kind:     global_buffer
      - .actual_access:  read_only
        .address_space:  global
        .offset:         56
        .size:           8
        .value_kind:     global_buffer
      - .actual_access:  read_only
        .address_space:  global
        .offset:         64
        .size:           8
        .value_kind:     global_buffer
      - .actual_access:  read_only
        .address_space:  global
        .offset:         72
        .size:           8
        .value_kind:     global_buffer
      - .offset:         80
        .size:           8
        .value_kind:     by_value
      - .actual_access:  read_only
        .address_space:  global
        .offset:         88
        .size:           8
        .value_kind:     global_buffer
      - .actual_access:  read_only
        .address_space:  global
        .offset:         96
        .size:           8
        .value_kind:     global_buffer
      - .actual_access:  read_only
        .address_space:  global
        .offset:         104
        .size:           8
        .value_kind:     global_buffer
      - .actual_access:  read_only
        .address_space:  global
        .offset:         112
        .size:           8
        .value_kind:     global_buffer
      - .actual_access:  read_only
        .address_space:  global
        .offset:         120
        .size:           8
        .value_kind:     global_buffer
      - .actual_access:  write_only
        .address_space:  global
        .offset:         128
        .size:           8
        .value_kind:     global_buffer
      - .offset:         136
        .size:           4
        .value_kind:     by_value
      - .offset:         140
        .size:           4
        .value_kind:     by_value
      - .offset:         144
        .size:           4
        .value_kind:     by_value
      - .offset:         148
        .size:           4
        .value_kind:     by_value
      - .offset:         152
        .size:           1
        .value_kind:     by_value
      - .offset:         153
        .size:           1
        .value_kind:     by_value
      - .offset:         154
        .size:           1
        .value_kind:     by_value
    .group_segment_fixed_size: 0
    .kernarg_segment_align: 8
    .kernarg_segment_size: 156
    .language:       OpenCL C
    .language_version:
      - 2
      - 0
    .max_flat_workgroup_size: 1024
    .name:           _ZN9rocsparseL41csrgemm_numeric_fill_block_per_row_kernelILj1024ELj64ELj32768ELj137ELj32EiifEEvT5_PKS1_S3_NS_24const_host_device_scalarIT6_EEPKT4_S3_PKS5_S9_S3_SB_S6_S9_S3_SB_S9_S3_PS5_21rocsparse_index_base_SD_SD_SD_bbb
    .private_segment_fixed_size: 0
    .sgpr_count:     76
    .sgpr_spill_count: 0
    .symbol:         _ZN9rocsparseL41csrgemm_numeric_fill_block_per_row_kernelILj1024ELj64ELj32768ELj137ELj32EiifEEvT5_PKS1_S3_NS_24const_host_device_scalarIT6_EEPKT4_S3_PKS5_S9_S3_SB_S6_S9_S3_SB_S9_S3_PS5_21rocsparse_index_base_SD_SD_SD_bbb.kd
    .uniform_work_group_size: 1
    .uses_dynamic_stack: false
    .vgpr_count:     22
    .vgpr_spill_count: 0
    .wavefront_size: 32
  - .args:
      - .offset:         0
        .size:           4
        .value_kind:     by_value
      - .actual_access:  read_only
        .address_space:  global
        .offset:         8
        .size:           8
        .value_kind:     global_buffer
      - .actual_access:  read_only
        .address_space:  global
        .offset:         16
        .size:           8
        .value_kind:     global_buffer
      - .offset:         24
        .size:           8
        .value_kind:     by_value
      - .actual_access:  read_only
        .address_space:  global
        .offset:         32
        .size:           8
        .value_kind:     global_buffer
      - .actual_access:  read_only
        .address_space:  global
        .offset:         40
        .size:           8
        .value_kind:     global_buffer
      - .actual_access:  read_only
        .address_space:  global
        .offset:         48
        .size:           8
        .value_kind:     global_buffer
      - .actual_access:  read_only
        .address_space:  global
        .offset:         56
        .size:           8
        .value_kind:     global_buffer
      - .actual_access:  read_only
        .address_space:  global
        .offset:         64
        .size:           8
        .value_kind:     global_buffer
      - .actual_access:  read_only
        .address_space:  global
        .offset:         72
        .size:           8
        .value_kind:     global_buffer
      - .offset:         80
        .size:           8
        .value_kind:     by_value
      - .actual_access:  read_only
        .address_space:  global
        .offset:         88
        .size:           8
        .value_kind:     global_buffer
      - .actual_access:  read_only
        .address_space:  global
        .offset:         96
        .size:           8
        .value_kind:     global_buffer
      - .actual_access:  read_only
        .address_space:  global
        .offset:         104
        .size:           8
        .value_kind:     global_buffer
      - .actual_access:  read_only
        .address_space:  global
        .offset:         112
        .size:           8
        .value_kind:     global_buffer
      - .actual_access:  read_only
        .address_space:  global
        .offset:         120
        .size:           8
        .value_kind:     global_buffer
      - .actual_access:  write_only
        .address_space:  global
        .offset:         128
        .size:           8
        .value_kind:     global_buffer
      - .offset:         136
        .size:           4
        .value_kind:     by_value
      - .offset:         140
        .size:           4
        .value_kind:     by_value
      - .offset:         144
        .size:           4
        .value_kind:     by_value
      - .offset:         148
        .size:           4
        .value_kind:     by_value
      - .offset:         152
        .size:           1
        .value_kind:     by_value
      - .offset:         153
        .size:           1
        .value_kind:     by_value
      - .offset:         154
        .size:           1
        .value_kind:     by_value
    .group_segment_fixed_size: 0
    .kernarg_segment_align: 8
    .kernarg_segment_size: 156
    .language:       OpenCL C
    .language_version:
      - 2
      - 0
    .max_flat_workgroup_size: 1024
    .name:           _ZN9rocsparseL41csrgemm_numeric_fill_block_per_row_kernelILj1024ELj64ELj32768ELj137ELj64EiifEEvT5_PKS1_S3_NS_24const_host_device_scalarIT6_EEPKT4_S3_PKS5_S9_S3_SB_S6_S9_S3_SB_S9_S3_PS5_21rocsparse_index_base_SD_SD_SD_bbb
    .private_segment_fixed_size: 0
    .sgpr_count:     44
    .sgpr_spill_count: 0
    .symbol:         _ZN9rocsparseL41csrgemm_numeric_fill_block_per_row_kernelILj1024ELj64ELj32768ELj137ELj64EiifEEvT5_PKS1_S3_NS_24const_host_device_scalarIT6_EEPKT4_S3_PKS5_S9_S3_SB_S6_S9_S3_SB_S9_S3_PS5_21rocsparse_index_base_SD_SD_SD_bbb.kd
    .uniform_work_group_size: 1
    .uses_dynamic_stack: false
    .vgpr_count:     22
    .vgpr_spill_count: 0
    .wavefront_size: 32
  - .args:
      - .offset:         0
        .size:           4
        .value_kind:     by_value
      - .actual_access:  read_only
        .address_space:  global
        .offset:         8
        .size:           8
        .value_kind:     global_buffer
      - .actual_access:  read_only
        .address_space:  global
        .offset:         16
        .size:           8
        .value_kind:     global_buffer
      - .offset:         24
        .size:           8
        .value_kind:     by_value
      - .actual_access:  read_only
        .address_space:  global
        .offset:         32
        .size:           8
        .value_kind:     global_buffer
      - .actual_access:  read_only
        .address_space:  global
        .offset:         40
        .size:           8
        .value_kind:     global_buffer
      - .actual_access:  read_only
        .address_space:  global
        .offset:         48
        .size:           8
        .value_kind:     global_buffer
      - .actual_access:  read_only
        .address_space:  global
        .offset:         56
        .size:           8
        .value_kind:     global_buffer
      - .actual_access:  read_only
        .address_space:  global
        .offset:         64
        .size:           8
        .value_kind:     global_buffer
      - .actual_access:  read_only
        .address_space:  global
        .offset:         72
        .size:           8
        .value_kind:     global_buffer
      - .offset:         80
        .size:           8
        .value_kind:     by_value
      - .actual_access:  read_only
        .address_space:  global
        .offset:         88
        .size:           8
        .value_kind:     global_buffer
      - .actual_access:  read_only
        .address_space:  global
        .offset:         96
        .size:           8
        .value_kind:     global_buffer
      - .actual_access:  read_only
        .address_space:  global
        .offset:         104
        .size:           8
        .value_kind:     global_buffer
      - .actual_access:  read_only
        .address_space:  global
        .offset:         112
        .size:           8
        .value_kind:     global_buffer
      - .actual_access:  read_only
        .address_space:  global
        .offset:         120
        .size:           8
        .value_kind:     global_buffer
      - .actual_access:  write_only
        .address_space:  global
        .offset:         128
        .size:           8
        .value_kind:     global_buffer
      - .address_space:  global
        .offset:         136
        .size:           8
        .value_kind:     global_buffer
      - .offset:         144
        .size:           4
        .value_kind:     by_value
      - .offset:         148
        .size:           4
        .value_kind:     by_value
      - .offset:         152
        .size:           4
        .value_kind:     by_value
      - .offset:         156
        .size:           4
        .value_kind:     by_value
      - .offset:         160
        .size:           1
        .value_kind:     by_value
      - .offset:         161
        .size:           1
        .value_kind:     by_value
      - .offset:         162
        .size:           1
        .value_kind:     by_value
    .group_segment_fixed_size: 10244
    .kernarg_segment_align: 8
    .kernarg_segment_size: 164
    .language:       OpenCL C
    .language_version:
      - 2
      - 0
    .max_flat_workgroup_size: 512
    .name:           _ZN9rocsparseL51csrgemm_numeric_fill_block_per_row_multipass_kernelILj512ELj16ELj2048ELj32EiifEEvT4_PKS1_S3_NS_24const_host_device_scalarIT5_EEPKT3_S3_PKS5_S9_S3_SB_S6_S9_S3_SB_S9_S3_PS5_PS7_21rocsparse_index_base_SE_SE_SE_bbb
    .private_segment_fixed_size: 0
    .sgpr_count:     60
    .sgpr_spill_count: 0
    .symbol:         _ZN9rocsparseL51csrgemm_numeric_fill_block_per_row_multipass_kernelILj512ELj16ELj2048ELj32EiifEEvT4_PKS1_S3_NS_24const_host_device_scalarIT5_EEPKT3_S3_PKS5_S9_S3_SB_S6_S9_S3_SB_S9_S3_PS5_PS7_21rocsparse_index_base_SE_SE_SE_bbb.kd
    .uniform_work_group_size: 1
    .uses_dynamic_stack: false
    .vgpr_count:     34
    .vgpr_spill_count: 0
    .wavefront_size: 32
  - .args:
      - .offset:         0
        .size:           4
        .value_kind:     by_value
      - .actual_access:  read_only
        .address_space:  global
        .offset:         8
        .size:           8
        .value_kind:     global_buffer
      - .actual_access:  read_only
        .address_space:  global
        .offset:         16
        .size:           8
        .value_kind:     global_buffer
      - .offset:         24
        .size:           8
        .value_kind:     by_value
      - .actual_access:  read_only
        .address_space:  global
        .offset:         32
        .size:           8
        .value_kind:     global_buffer
      - .actual_access:  read_only
        .address_space:  global
        .offset:         40
        .size:           8
        .value_kind:     global_buffer
      - .actual_access:  read_only
        .address_space:  global
        .offset:         48
        .size:           8
        .value_kind:     global_buffer
      - .actual_access:  read_only
        .address_space:  global
        .offset:         56
        .size:           8
        .value_kind:     global_buffer
      - .actual_access:  read_only
        .address_space:  global
        .offset:         64
        .size:           8
        .value_kind:     global_buffer
      - .actual_access:  read_only
        .address_space:  global
        .offset:         72
        .size:           8
        .value_kind:     global_buffer
      - .offset:         80
        .size:           8
        .value_kind:     by_value
      - .actual_access:  read_only
        .address_space:  global
        .offset:         88
        .size:           8
        .value_kind:     global_buffer
      - .actual_access:  read_only
        .address_space:  global
        .offset:         96
        .size:           8
        .value_kind:     global_buffer
      - .actual_access:  read_only
        .address_space:  global
        .offset:         104
        .size:           8
        .value_kind:     global_buffer
      - .actual_access:  read_only
        .address_space:  global
        .offset:         112
        .size:           8
        .value_kind:     global_buffer
      - .actual_access:  read_only
        .address_space:  global
        .offset:         120
        .size:           8
        .value_kind:     global_buffer
      - .actual_access:  write_only
        .address_space:  global
        .offset:         128
        .size:           8
        .value_kind:     global_buffer
      - .address_space:  global
        .offset:         136
        .size:           8
        .value_kind:     global_buffer
      - .offset:         144
        .size:           4
        .value_kind:     by_value
      - .offset:         148
        .size:           4
        .value_kind:     by_value
      - .offset:         152
        .size:           4
        .value_kind:     by_value
      - .offset:         156
        .size:           4
        .value_kind:     by_value
      - .offset:         160
        .size:           1
        .value_kind:     by_value
      - .offset:         161
        .size:           1
        .value_kind:     by_value
      - .offset:         162
        .size:           1
        .value_kind:     by_value
    .group_segment_fixed_size: 10244
    .kernarg_segment_align: 8
    .kernarg_segment_size: 164
    .language:       OpenCL C
    .language_version:
      - 2
      - 0
    .max_flat_workgroup_size: 512
    .name:           _ZN9rocsparseL51csrgemm_numeric_fill_block_per_row_multipass_kernelILj512ELj16ELj2048ELj64EiifEEvT4_PKS1_S3_NS_24const_host_device_scalarIT5_EEPKT3_S3_PKS5_S9_S3_SB_S6_S9_S3_SB_S9_S3_PS5_PS7_21rocsparse_index_base_SE_SE_SE_bbb
    .private_segment_fixed_size: 0
    .sgpr_count:     52
    .sgpr_spill_count: 0
    .symbol:         _ZN9rocsparseL51csrgemm_numeric_fill_block_per_row_multipass_kernelILj512ELj16ELj2048ELj64EiifEEvT4_PKS1_S3_NS_24const_host_device_scalarIT5_EEPKT3_S3_PKS5_S9_S3_SB_S6_S9_S3_SB_S9_S3_PS5_PS7_21rocsparse_index_base_SE_SE_SE_bbb.kd
    .uniform_work_group_size: 1
    .uses_dynamic_stack: false
    .vgpr_count:     28
    .vgpr_spill_count: 0
    .wavefront_size: 32
  - .args:
      - .offset:         0
        .size:           4
        .value_kind:     by_value
      - .offset:         4
        .size:           4
        .value_kind:     by_value
      - .actual_access:  read_only
        .address_space:  global
        .offset:         8
        .size:           8
        .value_kind:     global_buffer
      - .actual_access:  read_only
        .address_space:  global
        .offset:         16
        .size:           8
        .value_kind:     global_buffer
      - .offset:         24
        .size:           8
        .value_kind:     by_value
      - .actual_access:  read_only
        .address_space:  global
        .offset:         32
        .size:           8
        .value_kind:     global_buffer
      - .actual_access:  read_only
        .address_space:  global
        .offset:         40
        .size:           8
        .value_kind:     global_buffer
      - .actual_access:  read_only
        .address_space:  global
        .offset:         48
        .size:           8
        .value_kind:     global_buffer
      - .actual_access:  read_only
        .address_space:  global
        .offset:         56
        .size:           8
        .value_kind:     global_buffer
      - .actual_access:  read_only
        .address_space:  global
        .offset:         64
        .size:           8
        .value_kind:     global_buffer
      - .actual_access:  read_only
        .address_space:  global
        .offset:         72
        .size:           8
        .value_kind:     global_buffer
      - .offset:         80
        .size:           8
        .value_kind:     by_value
      - .actual_access:  read_only
        .address_space:  global
        .offset:         88
        .size:           8
        .value_kind:     global_buffer
      - .actual_access:  read_only
        .address_space:  global
        .offset:         96
        .size:           8
        .value_kind:     global_buffer
      - .actual_access:  read_only
        .address_space:  global
        .offset:         104
        .size:           8
        .value_kind:     global_buffer
      - .actual_access:  read_only
        .address_space:  global
        .offset:         112
        .size:           8
        .value_kind:     global_buffer
      - .actual_access:  read_only
        .address_space:  global
        .offset:         120
        .size:           8
        .value_kind:     global_buffer
      - .actual_access:  write_only
        .address_space:  global
        .offset:         128
        .size:           8
        .value_kind:     global_buffer
      - .offset:         136
        .size:           4
        .value_kind:     by_value
      - .offset:         140
        .size:           4
        .value_kind:     by_value
      - .offset:         144
        .size:           4
        .value_kind:     by_value
      - .offset:         148
        .size:           4
        .value_kind:     by_value
      - .offset:         152
        .size:           1
        .value_kind:     by_value
      - .offset:         153
        .size:           1
        .value_kind:     by_value
      - .offset:         154
        .size:           1
        .value_kind:     by_value
    .group_segment_fixed_size: 6144
    .kernarg_segment_align: 8
    .kernarg_segment_size: 156
    .language:       OpenCL C
    .language_version:
      - 2
      - 0
    .max_flat_workgroup_size: 256
    .name:           _ZN9rocsparseL38csrgemm_numeric_fill_wf_per_row_kernelILj256ELj8ELj16ELj137EiidEEvT4_S1_PKS1_S3_NS_24const_host_device_scalarIT5_EEPKT3_S3_PKS5_S9_S3_SB_S6_S9_S3_SB_S9_S3_PS5_21rocsparse_index_base_SD_SD_SD_bbb
    .private_segment_fixed_size: 0
    .sgpr_count:     40
    .sgpr_spill_count: 0
    .symbol:         _ZN9rocsparseL38csrgemm_numeric_fill_wf_per_row_kernelILj256ELj8ELj16ELj137EiidEEvT4_S1_PKS1_S3_NS_24const_host_device_scalarIT5_EEPKT3_S3_PKS5_S9_S3_SB_S6_S9_S3_SB_S9_S3_PS5_21rocsparse_index_base_SD_SD_SD_bbb.kd
    .uniform_work_group_size: 1
    .uses_dynamic_stack: false
    .vgpr_count:     24
    .vgpr_spill_count: 0
    .wavefront_size: 32
  - .args:
      - .offset:         0
        .size:           4
        .value_kind:     by_value
      - .offset:         4
        .size:           4
        .value_kind:     by_value
      - .actual_access:  read_only
        .address_space:  global
        .offset:         8
        .size:           8
        .value_kind:     global_buffer
      - .actual_access:  read_only
        .address_space:  global
        .offset:         16
        .size:           8
        .value_kind:     global_buffer
      - .offset:         24
        .size:           8
        .value_kind:     by_value
      - .actual_access:  read_only
        .address_space:  global
        .offset:         32
        .size:           8
        .value_kind:     global_buffer
      - .actual_access:  read_only
        .address_space:  global
        .offset:         40
        .size:           8
        .value_kind:     global_buffer
      - .actual_access:  read_only
        .address_space:  global
        .offset:         48
        .size:           8
        .value_kind:     global_buffer
      - .actual_access:  read_only
        .address_space:  global
        .offset:         56
        .size:           8
        .value_kind:     global_buffer
      - .actual_access:  read_only
        .address_space:  global
        .offset:         64
        .size:           8
        .value_kind:     global_buffer
      - .actual_access:  read_only
        .address_space:  global
        .offset:         72
        .size:           8
        .value_kind:     global_buffer
      - .offset:         80
        .size:           8
        .value_kind:     by_value
      - .actual_access:  read_only
        .address_space:  global
        .offset:         88
        .size:           8
        .value_kind:     global_buffer
      - .actual_access:  read_only
        .address_space:  global
        .offset:         96
        .size:           8
        .value_kind:     global_buffer
      - .actual_access:  read_only
        .address_space:  global
        .offset:         104
        .size:           8
        .value_kind:     global_buffer
      - .actual_access:  read_only
        .address_space:  global
        .offset:         112
        .size:           8
        .value_kind:     global_buffer
      - .actual_access:  read_only
        .address_space:  global
        .offset:         120
        .size:           8
        .value_kind:     global_buffer
      - .actual_access:  write_only
        .address_space:  global
        .offset:         128
        .size:           8
        .value_kind:     global_buffer
      - .offset:         136
        .size:           4
        .value_kind:     by_value
      - .offset:         140
        .size:           4
        .value_kind:     by_value
      - .offset:         144
        .size:           4
        .value_kind:     by_value
      - .offset:         148
        .size:           4
        .value_kind:     by_value
      - .offset:         152
        .size:           1
        .value_kind:     by_value
      - .offset:         153
        .size:           1
        .value_kind:     by_value
      - .offset:         154
        .size:           1
        .value_kind:     by_value
    .group_segment_fixed_size: 6144
    .kernarg_segment_align: 8
    .kernarg_segment_size: 156
    .language:       OpenCL C
    .language_version:
      - 2
      - 0
    .max_flat_workgroup_size: 256
    .name:           _ZN9rocsparseL38csrgemm_numeric_fill_wf_per_row_kernelILj256ELj16ELj32ELj137EiidEEvT4_S1_PKS1_S3_NS_24const_host_device_scalarIT5_EEPKT3_S3_PKS5_S9_S3_SB_S6_S9_S3_SB_S9_S3_PS5_21rocsparse_index_base_SD_SD_SD_bbb
    .private_segment_fixed_size: 0
    .sgpr_count:     40
    .sgpr_spill_count: 0
    .symbol:         _ZN9rocsparseL38csrgemm_numeric_fill_wf_per_row_kernelILj256ELj16ELj32ELj137EiidEEvT4_S1_PKS1_S3_NS_24const_host_device_scalarIT5_EEPKT3_S3_PKS5_S9_S3_SB_S6_S9_S3_SB_S9_S3_PS5_21rocsparse_index_base_SD_SD_SD_bbb.kd
    .uniform_work_group_size: 1
    .uses_dynamic_stack: false
    .vgpr_count:     40
    .vgpr_spill_count: 0
    .wavefront_size: 32
  - .args:
      - .offset:         0
        .size:           4
        .value_kind:     by_value
      - .actual_access:  read_only
        .address_space:  global
        .offset:         8
        .size:           8
        .value_kind:     global_buffer
      - .actual_access:  read_only
        .address_space:  global
        .offset:         16
        .size:           8
        .value_kind:     global_buffer
      - .offset:         24
        .size:           8
        .value_kind:     by_value
      - .actual_access:  read_only
        .address_space:  global
        .offset:         32
        .size:           8
        .value_kind:     global_buffer
      - .actual_access:  read_only
        .address_space:  global
        .offset:         40
        .size:           8
        .value_kind:     global_buffer
      - .actual_access:  read_only
        .address_space:  global
        .offset:         48
        .size:           8
        .value_kind:     global_buffer
      - .actual_access:  read_only
        .address_space:  global
        .offset:         56
        .size:           8
        .value_kind:     global_buffer
      - .actual_access:  read_only
        .address_space:  global
        .offset:         64
        .size:           8
        .value_kind:     global_buffer
      - .actual_access:  read_only
        .address_space:  global
        .offset:         72
        .size:           8
        .value_kind:     global_buffer
      - .offset:         80
        .size:           8
        .value_kind:     by_value
      - .actual_access:  read_only
        .address_space:  global
        .offset:         88
        .size:           8
        .value_kind:     global_buffer
      - .actual_access:  read_only
        .address_space:  global
        .offset:         96
        .size:           8
        .value_kind:     global_buffer
      - .actual_access:  read_only
        .address_space:  global
        .offset:         104
        .size:           8
        .value_kind:     global_buffer
      - .actual_access:  read_only
        .address_space:  global
        .offset:         112
        .size:           8
        .value_kind:     global_buffer
      - .actual_access:  read_only
        .address_space:  global
        .offset:         120
        .size:           8
        .value_kind:     global_buffer
      - .actual_access:  write_only
        .address_space:  global
        .offset:         128
        .size:           8
        .value_kind:     global_buffer
      - .offset:         136
        .size:           4
        .value_kind:     by_value
      - .offset:         140
        .size:           4
        .value_kind:     by_value
      - .offset:         144
        .size:           4
        .value_kind:     by_value
      - .offset:         148
        .size:           4
        .value_kind:     by_value
      - .offset:         152
        .size:           1
        .value_kind:     by_value
      - .offset:         153
        .size:           1
        .value_kind:     by_value
      - .offset:         154
        .size:           1
        .value_kind:     by_value
    .group_segment_fixed_size: 0
    .kernarg_segment_align: 8
    .kernarg_segment_size: 156
    .language:       OpenCL C
    .language_version:
      - 2
      - 0
    .max_flat_workgroup_size: 128
    .name:           _ZN9rocsparseL41csrgemm_numeric_fill_block_per_row_kernelILj128ELj16ELj256ELj137ELj32EiidEEvT5_PKS1_S3_NS_24const_host_device_scalarIT6_EEPKT4_S3_PKS5_S9_S3_SB_S6_S9_S3_SB_S9_S3_PS5_21rocsparse_index_base_SD_SD_SD_bbb
    .private_segment_fixed_size: 0
    .sgpr_count:     41
    .sgpr_spill_count: 0
    .symbol:         _ZN9rocsparseL41csrgemm_numeric_fill_block_per_row_kernelILj128ELj16ELj256ELj137ELj32EiidEEvT5_PKS1_S3_NS_24const_host_device_scalarIT6_EEPKT4_S3_PKS5_S9_S3_SB_S6_S9_S3_SB_S9_S3_PS5_21rocsparse_index_base_SD_SD_SD_bbb.kd
    .uniform_work_group_size: 1
    .uses_dynamic_stack: false
    .vgpr_count:     22
    .vgpr_spill_count: 0
    .wavefront_size: 32
  - .args:
      - .offset:         0
        .size:           4
        .value_kind:     by_value
      - .actual_access:  read_only
        .address_space:  global
        .offset:         8
        .size:           8
        .value_kind:     global_buffer
      - .actual_access:  read_only
        .address_space:  global
        .offset:         16
        .size:           8
        .value_kind:     global_buffer
      - .offset:         24
        .size:           8
        .value_kind:     by_value
      - .actual_access:  read_only
        .address_space:  global
        .offset:         32
        .size:           8
        .value_kind:     global_buffer
      - .actual_access:  read_only
        .address_space:  global
        .offset:         40
        .size:           8
        .value_kind:     global_buffer
      - .actual_access:  read_only
        .address_space:  global
        .offset:         48
        .size:           8
        .value_kind:     global_buffer
      - .actual_access:  read_only
        .address_space:  global
        .offset:         56
        .size:           8
        .value_kind:     global_buffer
      - .actual_access:  read_only
        .address_space:  global
        .offset:         64
        .size:           8
        .value_kind:     global_buffer
      - .actual_access:  read_only
        .address_space:  global
        .offset:         72
        .size:           8
        .value_kind:     global_buffer
      - .offset:         80
        .size:           8
        .value_kind:     by_value
      - .actual_access:  read_only
        .address_space:  global
        .offset:         88
        .size:           8
        .value_kind:     global_buffer
      - .actual_access:  read_only
        .address_space:  global
        .offset:         96
        .size:           8
        .value_kind:     global_buffer
      - .actual_access:  read_only
        .address_space:  global
        .offset:         104
        .size:           8
        .value_kind:     global_buffer
      - .actual_access:  read_only
        .address_space:  global
        .offset:         112
        .size:           8
        .value_kind:     global_buffer
      - .actual_access:  read_only
        .address_space:  global
        .offset:         120
        .size:           8
        .value_kind:     global_buffer
      - .actual_access:  write_only
        .address_space:  global
        .offset:         128
        .size:           8
        .value_kind:     global_buffer
      - .offset:         136
        .size:           4
        .value_kind:     by_value
      - .offset:         140
        .size:           4
        .value_kind:     by_value
      - .offset:         144
        .size:           4
        .value_kind:     by_value
      - .offset:         148
        .size:           4
        .value_kind:     by_value
      - .offset:         152
        .size:           1
        .value_kind:     by_value
      - .offset:         153
        .size:           1
        .value_kind:     by_value
      - .offset:         154
        .size:           1
        .value_kind:     by_value
    .group_segment_fixed_size: 0
    .kernarg_segment_align: 8
    .kernarg_segment_size: 156
    .language:       OpenCL C
    .language_version:
      - 2
      - 0
    .max_flat_workgroup_size: 128
    .name:           _ZN9rocsparseL41csrgemm_numeric_fill_block_per_row_kernelILj128ELj16ELj256ELj137ELj64EiidEEvT5_PKS1_S3_NS_24const_host_device_scalarIT6_EEPKT4_S3_PKS5_S9_S3_SB_S6_S9_S3_SB_S9_S3_PS5_21rocsparse_index_base_SD_SD_SD_bbb
    .private_segment_fixed_size: 0
    .sgpr_count:     41
    .sgpr_spill_count: 0
    .symbol:         _ZN9rocsparseL41csrgemm_numeric_fill_block_per_row_kernelILj128ELj16ELj256ELj137ELj64EiidEEvT5_PKS1_S3_NS_24const_host_device_scalarIT6_EEPKT4_S3_PKS5_S9_S3_SB_S6_S9_S3_SB_S9_S3_PS5_21rocsparse_index_base_SD_SD_SD_bbb.kd
    .uniform_work_group_size: 1
    .uses_dynamic_stack: false
    .vgpr_count:     22
    .vgpr_spill_count: 0
    .wavefront_size: 32
  - .args:
      - .offset:         0
        .size:           4
        .value_kind:     by_value
      - .actual_access:  read_only
        .address_space:  global
        .offset:         8
        .size:           8
        .value_kind:     global_buffer
      - .actual_access:  read_only
        .address_space:  global
        .offset:         16
        .size:           8
        .value_kind:     global_buffer
      - .offset:         24
        .size:           8
        .value_kind:     by_value
      - .actual_access:  read_only
        .address_space:  global
        .offset:         32
        .size:           8
        .value_kind:     global_buffer
      - .actual_access:  read_only
        .address_space:  global
        .offset:         40
        .size:           8
        .value_kind:     global_buffer
      - .actual_access:  read_only
        .address_space:  global
        .offset:         48
        .size:           8
        .value_kind:     global_buffer
      - .actual_access:  read_only
        .address_space:  global
        .offset:         56
        .size:           8
        .value_kind:     global_buffer
      - .actual_access:  read_only
        .address_space:  global
        .offset:         64
        .size:           8
        .value_kind:     global_buffer
      - .actual_access:  read_only
        .address_space:  global
        .offset:         72
        .size:           8
        .value_kind:     global_buffer
      - .offset:         80
        .size:           8
        .value_kind:     by_value
      - .actual_access:  read_only
        .address_space:  global
        .offset:         88
        .size:           8
        .value_kind:     global_buffer
      - .actual_access:  read_only
        .address_space:  global
        .offset:         96
        .size:           8
        .value_kind:     global_buffer
      - .actual_access:  read_only
        .address_space:  global
        .offset:         104
        .size:           8
        .value_kind:     global_buffer
      - .actual_access:  read_only
        .address_space:  global
        .offset:         112
        .size:           8
        .value_kind:     global_buffer
      - .actual_access:  read_only
        .address_space:  global
        .offset:         120
        .size:           8
        .value_kind:     global_buffer
      - .actual_access:  write_only
        .address_space:  global
        .offset:         128
        .size:           8
        .value_kind:     global_buffer
      - .offset:         136
        .size:           4
        .value_kind:     by_value
      - .offset:         140
        .size:           4
        .value_kind:     by_value
      - .offset:         144
        .size:           4
        .value_kind:     by_value
      - .offset:         148
        .size:           4
        .value_kind:     by_value
      - .offset:         152
        .size:           1
        .value_kind:     by_value
      - .offset:         153
        .size:           1
        .value_kind:     by_value
      - .offset:         154
        .size:           1
        .value_kind:     by_value
    .group_segment_fixed_size: 0
    .kernarg_segment_align: 8
    .kernarg_segment_size: 156
    .language:       OpenCL C
    .language_version:
      - 2
      - 0
    .max_flat_workgroup_size: 256
    .name:           _ZN9rocsparseL41csrgemm_numeric_fill_block_per_row_kernelILj256ELj32ELj512ELj137ELj32EiidEEvT5_PKS1_S3_NS_24const_host_device_scalarIT6_EEPKT4_S3_PKS5_S9_S3_SB_S6_S9_S3_SB_S9_S3_PS5_21rocsparse_index_base_SD_SD_SD_bbb
    .private_segment_fixed_size: 0
    .sgpr_count:     41
    .sgpr_spill_count: 0
    .symbol:         _ZN9rocsparseL41csrgemm_numeric_fill_block_per_row_kernelILj256ELj32ELj512ELj137ELj32EiidEEvT5_PKS1_S3_NS_24const_host_device_scalarIT6_EEPKT4_S3_PKS5_S9_S3_SB_S6_S9_S3_SB_S9_S3_PS5_21rocsparse_index_base_SD_SD_SD_bbb.kd
    .uniform_work_group_size: 1
    .uses_dynamic_stack: false
    .vgpr_count:     22
    .vgpr_spill_count: 0
    .wavefront_size: 32
  - .args:
      - .offset:         0
        .size:           4
        .value_kind:     by_value
      - .actual_access:  read_only
        .address_space:  global
        .offset:         8
        .size:           8
        .value_kind:     global_buffer
      - .actual_access:  read_only
        .address_space:  global
        .offset:         16
        .size:           8
        .value_kind:     global_buffer
      - .offset:         24
        .size:           8
        .value_kind:     by_value
      - .actual_access:  read_only
        .address_space:  global
        .offset:         32
        .size:           8
        .value_kind:     global_buffer
      - .actual_access:  read_only
        .address_space:  global
        .offset:         40
        .size:           8
        .value_kind:     global_buffer
      - .actual_access:  read_only
        .address_space:  global
        .offset:         48
        .size:           8
        .value_kind:     global_buffer
      - .actual_access:  read_only
        .address_space:  global
        .offset:         56
        .size:           8
        .value_kind:     global_buffer
      - .actual_access:  read_only
        .address_space:  global
        .offset:         64
        .size:           8
        .value_kind:     global_buffer
      - .actual_access:  read_only
        .address_space:  global
        .offset:         72
        .size:           8
        .value_kind:     global_buffer
      - .offset:         80
        .size:           8
        .value_kind:     by_value
      - .actual_access:  read_only
        .address_space:  global
        .offset:         88
        .size:           8
        .value_kind:     global_buffer
      - .actual_access:  read_only
        .address_space:  global
        .offset:         96
        .size:           8
        .value_kind:     global_buffer
      - .actual_access:  read_only
        .address_space:  global
        .offset:         104
        .size:           8
        .value_kind:     global_buffer
      - .actual_access:  read_only
        .address_space:  global
        .offset:         112
        .size:           8
        .value_kind:     global_buffer
      - .actual_access:  read_only
        .address_space:  global
        .offset:         120
        .size:           8
        .value_kind:     global_buffer
      - .actual_access:  write_only
        .address_space:  global
        .offset:         128
        .size:           8
        .value_kind:     global_buffer
      - .offset:         136
        .size:           4
        .value_kind:     by_value
      - .offset:         140
        .size:           4
        .value_kind:     by_value
      - .offset:         144
        .size:           4
        .value_kind:     by_value
      - .offset:         148
        .size:           4
        .value_kind:     by_value
      - .offset:         152
        .size:           1
        .value_kind:     by_value
      - .offset:         153
        .size:           1
        .value_kind:     by_value
      - .offset:         154
        .size:           1
        .value_kind:     by_value
    .group_segment_fixed_size: 0
    .kernarg_segment_align: 8
    .kernarg_segment_size: 156
    .language:       OpenCL C
    .language_version:
      - 2
      - 0
    .max_flat_workgroup_size: 256
    .name:           _ZN9rocsparseL41csrgemm_numeric_fill_block_per_row_kernelILj256ELj32ELj512ELj137ELj64EiidEEvT5_PKS1_S3_NS_24const_host_device_scalarIT6_EEPKT4_S3_PKS5_S9_S3_SB_S6_S9_S3_SB_S9_S3_PS5_21rocsparse_index_base_SD_SD_SD_bbb
    .private_segment_fixed_size: 0
    .sgpr_count:     41
    .sgpr_spill_count: 0
    .symbol:         _ZN9rocsparseL41csrgemm_numeric_fill_block_per_row_kernelILj256ELj32ELj512ELj137ELj64EiidEEvT5_PKS1_S3_NS_24const_host_device_scalarIT6_EEPKT4_S3_PKS5_S9_S3_SB_S6_S9_S3_SB_S9_S3_PS5_21rocsparse_index_base_SD_SD_SD_bbb.kd
    .uniform_work_group_size: 1
    .uses_dynamic_stack: false
    .vgpr_count:     22
    .vgpr_spill_count: 0
    .wavefront_size: 32
  - .args:
      - .offset:         0
        .size:           4
        .value_kind:     by_value
      - .actual_access:  read_only
        .address_space:  global
        .offset:         8
        .size:           8
        .value_kind:     global_buffer
      - .actual_access:  read_only
        .address_space:  global
        .offset:         16
        .size:           8
        .value_kind:     global_buffer
      - .offset:         24
        .size:           8
        .value_kind:     by_value
      - .actual_access:  read_only
        .address_space:  global
        .offset:         32
        .size:           8
        .value_kind:     global_buffer
      - .actual_access:  read_only
        .address_space:  global
        .offset:         40
        .size:           8
        .value_kind:     global_buffer
      - .actual_access:  read_only
        .address_space:  global
        .offset:         48
        .size:           8
        .value_kind:     global_buffer
      - .actual_access:  read_only
        .address_space:  global
        .offset:         56
        .size:           8
        .value_kind:     global_buffer
      - .actual_access:  read_only
        .address_space:  global
        .offset:         64
        .size:           8
        .value_kind:     global_buffer
      - .actual_access:  read_only
        .address_space:  global
        .offset:         72
        .size:           8
        .value_kind:     global_buffer
      - .offset:         80
        .size:           8
        .value_kind:     by_value
      - .actual_access:  read_only
        .address_space:  global
        .offset:         88
        .size:           8
        .value_kind:     global_buffer
      - .actual_access:  read_only
        .address_space:  global
        .offset:         96
        .size:           8
        .value_kind:     global_buffer
      - .actual_access:  read_only
        .address_space:  global
        .offset:         104
        .size:           8
        .value_kind:     global_buffer
      - .actual_access:  read_only
        .address_space:  global
        .offset:         112
        .size:           8
        .value_kind:     global_buffer
      - .actual_access:  read_only
        .address_space:  global
        .offset:         120
        .size:           8
        .value_kind:     global_buffer
      - .actual_access:  write_only
        .address_space:  global
        .offset:         128
        .size:           8
        .value_kind:     global_buffer
      - .offset:         136
        .size:           4
        .value_kind:     by_value
      - .offset:         140
        .size:           4
        .value_kind:     by_value
      - .offset:         144
        .size:           4
        .value_kind:     by_value
      - .offset:         148
        .size:           4
        .value_kind:     by_value
      - .offset:         152
        .size:           1
        .value_kind:     by_value
      - .offset:         153
        .size:           1
        .value_kind:     by_value
      - .offset:         154
        .size:           1
        .value_kind:     by_value
    .group_segment_fixed_size: 0
    .kernarg_segment_align: 8
    .kernarg_segment_size: 156
    .language:       OpenCL C
    .language_version:
      - 2
      - 0
    .max_flat_workgroup_size: 512
    .name:           _ZN9rocsparseL41csrgemm_numeric_fill_block_per_row_kernelILj512ELj32ELj1024ELj137ELj32EiidEEvT5_PKS1_S3_NS_24const_host_device_scalarIT6_EEPKT4_S3_PKS5_S9_S3_SB_S6_S9_S3_SB_S9_S3_PS5_21rocsparse_index_base_SD_SD_SD_bbb
    .private_segment_fixed_size: 0
    .sgpr_count:     40
    .sgpr_spill_count: 0
    .symbol:         _ZN9rocsparseL41csrgemm_numeric_fill_block_per_row_kernelILj512ELj32ELj1024ELj137ELj32EiidEEvT5_PKS1_S3_NS_24const_host_device_scalarIT6_EEPKT4_S3_PKS5_S9_S3_SB_S6_S9_S3_SB_S9_S3_PS5_21rocsparse_index_base_SD_SD_SD_bbb.kd
    .uniform_work_group_size: 1
    .uses_dynamic_stack: false
    .vgpr_count:     22
    .vgpr_spill_count: 0
    .wavefront_size: 32
  - .args:
      - .offset:         0
        .size:           4
        .value_kind:     by_value
      - .actual_access:  read_only
        .address_space:  global
        .offset:         8
        .size:           8
        .value_kind:     global_buffer
      - .actual_access:  read_only
        .address_space:  global
        .offset:         16
        .size:           8
        .value_kind:     global_buffer
      - .offset:         24
        .size:           8
        .value_kind:     by_value
      - .actual_access:  read_only
        .address_space:  global
        .offset:         32
        .size:           8
        .value_kind:     global_buffer
      - .actual_access:  read_only
        .address_space:  global
        .offset:         40
        .size:           8
        .value_kind:     global_buffer
      - .actual_access:  read_only
        .address_space:  global
        .offset:         48
        .size:           8
        .value_kind:     global_buffer
      - .actual_access:  read_only
        .address_space:  global
        .offset:         56
        .size:           8
        .value_kind:     global_buffer
      - .actual_access:  read_only
        .address_space:  global
        .offset:         64
        .size:           8
        .value_kind:     global_buffer
      - .actual_access:  read_only
        .address_space:  global
        .offset:         72
        .size:           8
        .value_kind:     global_buffer
      - .offset:         80
        .size:           8
        .value_kind:     by_value
      - .actual_access:  read_only
        .address_space:  global
        .offset:         88
        .size:           8
        .value_kind:     global_buffer
      - .actual_access:  read_only
        .address_space:  global
        .offset:         96
        .size:           8
        .value_kind:     global_buffer
      - .actual_access:  read_only
        .address_space:  global
        .offset:         104
        .size:           8
        .value_kind:     global_buffer
      - .actual_access:  read_only
        .address_space:  global
        .offset:         112
        .size:           8
        .value_kind:     global_buffer
      - .actual_access:  read_only
        .address_space:  global
        .offset:         120
        .size:           8
        .value_kind:     global_buffer
      - .actual_access:  write_only
        .address_space:  global
        .offset:         128
        .size:           8
        .value_kind:     global_buffer
      - .offset:         136
        .size:           4
        .value_kind:     by_value
      - .offset:         140
        .size:           4
        .value_kind:     by_value
      - .offset:         144
        .size:           4
        .value_kind:     by_value
      - .offset:         148
        .size:           4
        .value_kind:     by_value
      - .offset:         152
        .size:           1
        .value_kind:     by_value
      - .offset:         153
        .size:           1
        .value_kind:     by_value
      - .offset:         154
        .size:           1
        .value_kind:     by_value
    .group_segment_fixed_size: 0
    .kernarg_segment_align: 8
    .kernarg_segment_size: 156
    .language:       OpenCL C
    .language_version:
      - 2
      - 0
    .max_flat_workgroup_size: 512
    .name:           _ZN9rocsparseL41csrgemm_numeric_fill_block_per_row_kernelILj512ELj32ELj1024ELj137ELj64EiidEEvT5_PKS1_S3_NS_24const_host_device_scalarIT6_EEPKT4_S3_PKS5_S9_S3_SB_S6_S9_S3_SB_S9_S3_PS5_21rocsparse_index_base_SD_SD_SD_bbb
    .private_segment_fixed_size: 0
    .sgpr_count:     40
    .sgpr_spill_count: 0
    .symbol:         _ZN9rocsparseL41csrgemm_numeric_fill_block_per_row_kernelILj512ELj32ELj1024ELj137ELj64EiidEEvT5_PKS1_S3_NS_24const_host_device_scalarIT6_EEPKT4_S3_PKS5_S9_S3_SB_S6_S9_S3_SB_S9_S3_PS5_21rocsparse_index_base_SD_SD_SD_bbb.kd
    .uniform_work_group_size: 1
    .uses_dynamic_stack: false
    .vgpr_count:     22
    .vgpr_spill_count: 0
    .wavefront_size: 32
  - .args:
      - .offset:         0
        .size:           4
        .value_kind:     by_value
      - .actual_access:  read_only
        .address_space:  global
        .offset:         8
        .size:           8
        .value_kind:     global_buffer
      - .actual_access:  read_only
        .address_space:  global
        .offset:         16
        .size:           8
        .value_kind:     global_buffer
      - .offset:         24
        .size:           8
        .value_kind:     by_value
      - .actual_access:  read_only
        .address_space:  global
        .offset:         32
        .size:           8
        .value_kind:     global_buffer
      - .actual_access:  read_only
        .address_space:  global
        .offset:         40
        .size:           8
        .value_kind:     global_buffer
      - .actual_access:  read_only
        .address_space:  global
        .offset:         48
        .size:           8
        .value_kind:     global_buffer
      - .actual_access:  read_only
        .address_space:  global
        .offset:         56
        .size:           8
        .value_kind:     global_buffer
      - .actual_access:  read_only
        .address_space:  global
        .offset:         64
        .size:           8
        .value_kind:     global_buffer
      - .actual_access:  read_only
        .address_space:  global
        .offset:         72
        .size:           8
        .value_kind:     global_buffer
      - .offset:         80
        .size:           8
        .value_kind:     by_value
      - .actual_access:  read_only
        .address_space:  global
        .offset:         88
        .size:           8
        .value_kind:     global_buffer
      - .actual_access:  read_only
        .address_space:  global
        .offset:         96
        .size:           8
        .value_kind:     global_buffer
      - .actual_access:  read_only
        .address_space:  global
        .offset:         104
        .size:           8
        .value_kind:     global_buffer
      - .actual_access:  read_only
        .address_space:  global
        .offset:         112
        .size:           8
        .value_kind:     global_buffer
      - .actual_access:  read_only
        .address_space:  global
        .offset:         120
        .size:           8
        .value_kind:     global_buffer
      - .actual_access:  write_only
        .address_space:  global
        .offset:         128
        .size:           8
        .value_kind:     global_buffer
      - .offset:         136
        .size:           4
        .value_kind:     by_value
      - .offset:         140
        .size:           4
        .value_kind:     by_value
      - .offset:         144
        .size:           4
        .value_kind:     by_value
      - .offset:         148
        .size:           4
        .value_kind:     by_value
      - .offset:         152
        .size:           1
        .value_kind:     by_value
      - .offset:         153
        .size:           1
        .value_kind:     by_value
      - .offset:         154
        .size:           1
        .value_kind:     by_value
    .group_segment_fixed_size: 0
    .kernarg_segment_align: 8
    .kernarg_segment_size: 156
    .language:       OpenCL C
    .language_version:
      - 2
      - 0
    .max_flat_workgroup_size: 1024
    .name:           _ZN9rocsparseL41csrgemm_numeric_fill_block_per_row_kernelILj1024ELj32ELj2048ELj137ELj32EiidEEvT5_PKS1_S3_NS_24const_host_device_scalarIT6_EEPKT4_S3_PKS5_S9_S3_SB_S6_S9_S3_SB_S9_S3_PS5_21rocsparse_index_base_SD_SD_SD_bbb
    .private_segment_fixed_size: 0
    .sgpr_count:     46
    .sgpr_spill_count: 0
    .symbol:         _ZN9rocsparseL41csrgemm_numeric_fill_block_per_row_kernelILj1024ELj32ELj2048ELj137ELj32EiidEEvT5_PKS1_S3_NS_24const_host_device_scalarIT6_EEPKT4_S3_PKS5_S9_S3_SB_S6_S9_S3_SB_S9_S3_PS5_21rocsparse_index_base_SD_SD_SD_bbb.kd
    .uniform_work_group_size: 1
    .uses_dynamic_stack: false
    .vgpr_count:     22
    .vgpr_spill_count: 0
    .wavefront_size: 32
  - .args:
      - .offset:         0
        .size:           4
        .value_kind:     by_value
      - .actual_access:  read_only
        .address_space:  global
        .offset:         8
        .size:           8
        .value_kind:     global_buffer
      - .actual_access:  read_only
        .address_space:  global
        .offset:         16
        .size:           8
        .value_kind:     global_buffer
      - .offset:         24
        .size:           8
        .value_kind:     by_value
      - .actual_access:  read_only
        .address_space:  global
        .offset:         32
        .size:           8
        .value_kind:     global_buffer
      - .actual_access:  read_only
        .address_space:  global
        .offset:         40
        .size:           8
        .value_kind:     global_buffer
      - .actual_access:  read_only
        .address_space:  global
        .offset:         48
        .size:           8
        .value_kind:     global_buffer
      - .actual_access:  read_only
        .address_space:  global
        .offset:         56
        .size:           8
        .value_kind:     global_buffer
      - .actual_access:  read_only
        .address_space:  global
        .offset:         64
        .size:           8
        .value_kind:     global_buffer
      - .actual_access:  read_only
        .address_space:  global
        .offset:         72
        .size:           8
        .value_kind:     global_buffer
      - .offset:         80
        .size:           8
        .value_kind:     by_value
      - .actual_access:  read_only
        .address_space:  global
        .offset:         88
        .size:           8
        .value_kind:     global_buffer
      - .actual_access:  read_only
        .address_space:  global
        .offset:         96
        .size:           8
        .value_kind:     global_buffer
      - .actual_access:  read_only
        .address_space:  global
        .offset:         104
        .size:           8
        .value_kind:     global_buffer
      - .actual_access:  read_only
        .address_space:  global
        .offset:         112
        .size:           8
        .value_kind:     global_buffer
      - .actual_access:  read_only
        .address_space:  global
        .offset:         120
        .size:           8
        .value_kind:     global_buffer
      - .actual_access:  write_only
        .address_space:  global
        .offset:         128
        .size:           8
        .value_kind:     global_buffer
      - .offset:         136
        .size:           4
        .value_kind:     by_value
      - .offset:         140
        .size:           4
        .value_kind:     by_value
      - .offset:         144
        .size:           4
        .value_kind:     by_value
      - .offset:         148
        .size:           4
        .value_kind:     by_value
      - .offset:         152
        .size:           1
        .value_kind:     by_value
      - .offset:         153
        .size:           1
        .value_kind:     by_value
      - .offset:         154
        .size:           1
        .value_kind:     by_value
    .group_segment_fixed_size: 0
    .kernarg_segment_align: 8
    .kernarg_segment_size: 156
    .language:       OpenCL C
    .language_version:
      - 2
      - 0
    .max_flat_workgroup_size: 1024
    .name:           _ZN9rocsparseL41csrgemm_numeric_fill_block_per_row_kernelILj1024ELj32ELj2048ELj137ELj64EiidEEvT5_PKS1_S3_NS_24const_host_device_scalarIT6_EEPKT4_S3_PKS5_S9_S3_SB_S6_S9_S3_SB_S9_S3_PS5_21rocsparse_index_base_SD_SD_SD_bbb
    .private_segment_fixed_size: 0
    .sgpr_count:     40
    .sgpr_spill_count: 0
    .symbol:         _ZN9rocsparseL41csrgemm_numeric_fill_block_per_row_kernelILj1024ELj32ELj2048ELj137ELj64EiidEEvT5_PKS1_S3_NS_24const_host_device_scalarIT6_EEPKT4_S3_PKS5_S9_S3_SB_S6_S9_S3_SB_S9_S3_PS5_21rocsparse_index_base_SD_SD_SD_bbb.kd
    .uniform_work_group_size: 1
    .uses_dynamic_stack: false
    .vgpr_count:     22
    .vgpr_spill_count: 0
    .wavefront_size: 32
  - .args:
      - .offset:         0
        .size:           4
        .value_kind:     by_value
      - .actual_access:  read_only
        .address_space:  global
        .offset:         8
        .size:           8
        .value_kind:     global_buffer
      - .actual_access:  read_only
        .address_space:  global
        .offset:         16
        .size:           8
        .value_kind:     global_buffer
      - .offset:         24
        .size:           8
        .value_kind:     by_value
      - .actual_access:  read_only
        .address_space:  global
        .offset:         32
        .size:           8
        .value_kind:     global_buffer
      - .actual_access:  read_only
        .address_space:  global
        .offset:         40
        .size:           8
        .value_kind:     global_buffer
      - .actual_access:  read_only
        .address_space:  global
        .offset:         48
        .size:           8
        .value_kind:     global_buffer
      - .actual_access:  read_only
        .address_space:  global
        .offset:         56
        .size:           8
        .value_kind:     global_buffer
      - .actual_access:  read_only
        .address_space:  global
        .offset:         64
        .size:           8
        .value_kind:     global_buffer
      - .actual_access:  read_only
        .address_space:  global
        .offset:         72
        .size:           8
        .value_kind:     global_buffer
      - .offset:         80
        .size:           8
        .value_kind:     by_value
      - .actual_access:  read_only
        .address_space:  global
        .offset:         88
        .size:           8
        .value_kind:     global_buffer
      - .actual_access:  read_only
        .address_space:  global
        .offset:         96
        .size:           8
        .value_kind:     global_buffer
      - .actual_access:  read_only
        .address_space:  global
        .offset:         104
        .size:           8
        .value_kind:     global_buffer
      - .actual_access:  read_only
        .address_space:  global
        .offset:         112
        .size:           8
        .value_kind:     global_buffer
      - .actual_access:  read_only
        .address_space:  global
        .offset:         120
        .size:           8
        .value_kind:     global_buffer
      - .actual_access:  write_only
        .address_space:  global
        .offset:         128
        .size:           8
        .value_kind:     global_buffer
      - .offset:         136
        .size:           4
        .value_kind:     by_value
      - .offset:         140
        .size:           4
        .value_kind:     by_value
      - .offset:         144
        .size:           4
        .value_kind:     by_value
      - .offset:         148
        .size:           4
        .value_kind:     by_value
      - .offset:         152
        .size:           1
        .value_kind:     by_value
      - .offset:         153
        .size:           1
        .value_kind:     by_value
      - .offset:         154
        .size:           1
        .value_kind:     by_value
    .group_segment_fixed_size: 0
    .kernarg_segment_align: 8
    .kernarg_segment_size: 156
    .language:       OpenCL C
    .language_version:
      - 2
      - 0
    .max_flat_workgroup_size: 1024
    .name:           _ZN9rocsparseL41csrgemm_numeric_fill_block_per_row_kernelILj1024ELj64ELj4096ELj137ELj32EiidEEvT5_PKS1_S3_NS_24const_host_device_scalarIT6_EEPKT4_S3_PKS5_S9_S3_SB_S6_S9_S3_SB_S9_S3_PS5_21rocsparse_index_base_SD_SD_SD_bbb
    .private_segment_fixed_size: 0
    .sgpr_count:     46
    .sgpr_spill_count: 0
    .symbol:         _ZN9rocsparseL41csrgemm_numeric_fill_block_per_row_kernelILj1024ELj64ELj4096ELj137ELj32EiidEEvT5_PKS1_S3_NS_24const_host_device_scalarIT6_EEPKT4_S3_PKS5_S9_S3_SB_S6_S9_S3_SB_S9_S3_PS5_21rocsparse_index_base_SD_SD_SD_bbb.kd
    .uniform_work_group_size: 1
    .uses_dynamic_stack: false
    .vgpr_count:     22
    .vgpr_spill_count: 0
    .wavefront_size: 32
  - .args:
      - .offset:         0
        .size:           4
        .value_kind:     by_value
      - .actual_access:  read_only
        .address_space:  global
        .offset:         8
        .size:           8
        .value_kind:     global_buffer
      - .actual_access:  read_only
        .address_space:  global
        .offset:         16
        .size:           8
        .value_kind:     global_buffer
      - .offset:         24
        .size:           8
        .value_kind:     by_value
      - .actual_access:  read_only
        .address_space:  global
        .offset:         32
        .size:           8
        .value_kind:     global_buffer
      - .actual_access:  read_only
        .address_space:  global
        .offset:         40
        .size:           8
        .value_kind:     global_buffer
      - .actual_access:  read_only
        .address_space:  global
        .offset:         48
        .size:           8
        .value_kind:     global_buffer
      - .actual_access:  read_only
        .address_space:  global
        .offset:         56
        .size:           8
        .value_kind:     global_buffer
      - .actual_access:  read_only
        .address_space:  global
        .offset:         64
        .size:           8
        .value_kind:     global_buffer
      - .actual_access:  read_only
        .address_space:  global
        .offset:         72
        .size:           8
        .value_kind:     global_buffer
      - .offset:         80
        .size:           8
        .value_kind:     by_value
      - .actual_access:  read_only
        .address_space:  global
        .offset:         88
        .size:           8
        .value_kind:     global_buffer
      - .actual_access:  read_only
        .address_space:  global
        .offset:         96
        .size:           8
        .value_kind:     global_buffer
      - .actual_access:  read_only
        .address_space:  global
        .offset:         104
        .size:           8
        .value_kind:     global_buffer
      - .actual_access:  read_only
        .address_space:  global
        .offset:         112
        .size:           8
        .value_kind:     global_buffer
      - .actual_access:  read_only
        .address_space:  global
        .offset:         120
        .size:           8
        .value_kind:     global_buffer
      - .actual_access:  write_only
        .address_space:  global
        .offset:         128
        .size:           8
        .value_kind:     global_buffer
      - .offset:         136
        .size:           4
        .value_kind:     by_value
      - .offset:         140
        .size:           4
        .value_kind:     by_value
      - .offset:         144
        .size:           4
        .value_kind:     by_value
      - .offset:         148
        .size:           4
        .value_kind:     by_value
      - .offset:         152
        .size:           1
        .value_kind:     by_value
      - .offset:         153
        .size:           1
        .value_kind:     by_value
      - .offset:         154
        .size:           1
        .value_kind:     by_value
    .group_segment_fixed_size: 0
    .kernarg_segment_align: 8
    .kernarg_segment_size: 156
    .language:       OpenCL C
    .language_version:
      - 2
      - 0
    .max_flat_workgroup_size: 1024
    .name:           _ZN9rocsparseL41csrgemm_numeric_fill_block_per_row_kernelILj1024ELj64ELj4096ELj137ELj64EiidEEvT5_PKS1_S3_NS_24const_host_device_scalarIT6_EEPKT4_S3_PKS5_S9_S3_SB_S6_S9_S3_SB_S9_S3_PS5_21rocsparse_index_base_SD_SD_SD_bbb
    .private_segment_fixed_size: 0
    .sgpr_count:     40
    .sgpr_spill_count: 0
    .symbol:         _ZN9rocsparseL41csrgemm_numeric_fill_block_per_row_kernelILj1024ELj64ELj4096ELj137ELj64EiidEEvT5_PKS1_S3_NS_24const_host_device_scalarIT6_EEPKT4_S3_PKS5_S9_S3_SB_S6_S9_S3_SB_S9_S3_PS5_21rocsparse_index_base_SD_SD_SD_bbb.kd
    .uniform_work_group_size: 1
    .uses_dynamic_stack: false
    .vgpr_count:     22
    .vgpr_spill_count: 0
    .wavefront_size: 32
  - .args:
      - .offset:         0
        .size:           4
        .value_kind:     by_value
      - .actual_access:  read_only
        .address_space:  global
        .offset:         8
        .size:           8
        .value_kind:     global_buffer
      - .actual_access:  read_only
        .address_space:  global
        .offset:         16
        .size:           8
        .value_kind:     global_buffer
      - .offset:         24
        .size:           8
        .value_kind:     by_value
      - .actual_access:  read_only
        .address_space:  global
        .offset:         32
        .size:           8
        .value_kind:     global_buffer
      - .actual_access:  read_only
        .address_space:  global
        .offset:         40
        .size:           8
        .value_kind:     global_buffer
      - .actual_access:  read_only
        .address_space:  global
        .offset:         48
        .size:           8
        .value_kind:     global_buffer
      - .actual_access:  read_only
        .address_space:  global
        .offset:         56
        .size:           8
        .value_kind:     global_buffer
      - .actual_access:  read_only
        .address_space:  global
        .offset:         64
        .size:           8
        .value_kind:     global_buffer
      - .actual_access:  read_only
        .address_space:  global
        .offset:         72
        .size:           8
        .value_kind:     global_buffer
      - .offset:         80
        .size:           8
        .value_kind:     by_value
      - .actual_access:  read_only
        .address_space:  global
        .offset:         88
        .size:           8
        .value_kind:     global_buffer
      - .actual_access:  read_only
        .address_space:  global
        .offset:         96
        .size:           8
        .value_kind:     global_buffer
      - .actual_access:  read_only
        .address_space:  global
        .offset:         104
        .size:           8
        .value_kind:     global_buffer
      - .actual_access:  read_only
        .address_space:  global
        .offset:         112
        .size:           8
        .value_kind:     global_buffer
      - .actual_access:  read_only
        .address_space:  global
        .offset:         120
        .size:           8
        .value_kind:     global_buffer
      - .actual_access:  write_only
        .address_space:  global
        .offset:         128
        .size:           8
        .value_kind:     global_buffer
      - .offset:         136
        .size:           4
        .value_kind:     by_value
      - .offset:         140
        .size:           4
        .value_kind:     by_value
      - .offset:         144
        .size:           4
        .value_kind:     by_value
      - .offset:         148
        .size:           4
        .value_kind:     by_value
      - .offset:         152
        .size:           1
        .value_kind:     by_value
      - .offset:         153
        .size:           1
        .value_kind:     by_value
      - .offset:         154
        .size:           1
        .value_kind:     by_value
    .group_segment_fixed_size: 0
    .kernarg_segment_align: 8
    .kernarg_segment_size: 156
    .language:       OpenCL C
    .language_version:
      - 2
      - 0
    .max_flat_workgroup_size: 1024
    .name:           _ZN9rocsparseL41csrgemm_numeric_fill_block_per_row_kernelILj1024ELj64ELj8192ELj137ELj32EiidEEvT5_PKS1_S3_NS_24const_host_device_scalarIT6_EEPKT4_S3_PKS5_S9_S3_SB_S6_S9_S3_SB_S9_S3_PS5_21rocsparse_index_base_SD_SD_SD_bbb
    .private_segment_fixed_size: 0
    .sgpr_count:     76
    .sgpr_spill_count: 0
    .symbol:         _ZN9rocsparseL41csrgemm_numeric_fill_block_per_row_kernelILj1024ELj64ELj8192ELj137ELj32EiidEEvT5_PKS1_S3_NS_24const_host_device_scalarIT6_EEPKT4_S3_PKS5_S9_S3_SB_S6_S9_S3_SB_S9_S3_PS5_21rocsparse_index_base_SD_SD_SD_bbb.kd
    .uniform_work_group_size: 1
    .uses_dynamic_stack: false
    .vgpr_count:     22
    .vgpr_spill_count: 0
    .wavefront_size: 32
  - .args:
      - .offset:         0
        .size:           4
        .value_kind:     by_value
      - .actual_access:  read_only
        .address_space:  global
        .offset:         8
        .size:           8
        .value_kind:     global_buffer
      - .actual_access:  read_only
        .address_space:  global
        .offset:         16
        .size:           8
        .value_kind:     global_buffer
      - .offset:         24
        .size:           8
        .value_kind:     by_value
      - .actual_access:  read_only
        .address_space:  global
        .offset:         32
        .size:           8
        .value_kind:     global_buffer
      - .actual_access:  read_only
        .address_space:  global
        .offset:         40
        .size:           8
        .value_kind:     global_buffer
      - .actual_access:  read_only
        .address_space:  global
        .offset:         48
        .size:           8
        .value_kind:     global_buffer
      - .actual_access:  read_only
        .address_space:  global
        .offset:         56
        .size:           8
        .value_kind:     global_buffer
      - .actual_access:  read_only
        .address_space:  global
        .offset:         64
        .size:           8
        .value_kind:     global_buffer
      - .actual_access:  read_only
        .address_space:  global
        .offset:         72
        .size:           8
        .value_kind:     global_buffer
      - .offset:         80
        .size:           8
        .value_kind:     by_value
      - .actual_access:  read_only
        .address_space:  global
        .offset:         88
        .size:           8
        .value_kind:     global_buffer
      - .actual_access:  read_only
        .address_space:  global
        .offset:         96
        .size:           8
        .value_kind:     global_buffer
      - .actual_access:  read_only
        .address_space:  global
        .offset:         104
        .size:           8
        .value_kind:     global_buffer
      - .actual_access:  read_only
        .address_space:  global
        .offset:         112
        .size:           8
        .value_kind:     global_buffer
      - .actual_access:  read_only
        .address_space:  global
        .offset:         120
        .size:           8
        .value_kind:     global_buffer
      - .actual_access:  write_only
        .address_space:  global
        .offset:         128
        .size:           8
        .value_kind:     global_buffer
      - .offset:         136
        .size:           4
        .value_kind:     by_value
      - .offset:         140
        .size:           4
        .value_kind:     by_value
      - .offset:         144
        .size:           4
        .value_kind:     by_value
      - .offset:         148
        .size:           4
        .value_kind:     by_value
      - .offset:         152
        .size:           1
        .value_kind:     by_value
      - .offset:         153
        .size:           1
        .value_kind:     by_value
      - .offset:         154
        .size:           1
        .value_kind:     by_value
    .group_segment_fixed_size: 0
    .kernarg_segment_align: 8
    .kernarg_segment_size: 156
    .language:       OpenCL C
    .language_version:
      - 2
      - 0
    .max_flat_workgroup_size: 1024
    .name:           _ZN9rocsparseL41csrgemm_numeric_fill_block_per_row_kernelILj1024ELj64ELj8192ELj137ELj64EiidEEvT5_PKS1_S3_NS_24const_host_device_scalarIT6_EEPKT4_S3_PKS5_S9_S3_SB_S6_S9_S3_SB_S9_S3_PS5_21rocsparse_index_base_SD_SD_SD_bbb
    .private_segment_fixed_size: 0
    .sgpr_count:     44
    .sgpr_spill_count: 0
    .symbol:         _ZN9rocsparseL41csrgemm_numeric_fill_block_per_row_kernelILj1024ELj64ELj8192ELj137ELj64EiidEEvT5_PKS1_S3_NS_24const_host_device_scalarIT6_EEPKT4_S3_PKS5_S9_S3_SB_S6_S9_S3_SB_S9_S3_PS5_21rocsparse_index_base_SD_SD_SD_bbb.kd
    .uniform_work_group_size: 1
    .uses_dynamic_stack: false
    .vgpr_count:     22
    .vgpr_spill_count: 0
    .wavefront_size: 32
  - .args:
      - .offset:         0
        .size:           4
        .value_kind:     by_value
      - .actual_access:  read_only
        .address_space:  global
        .offset:         8
        .size:           8
        .value_kind:     global_buffer
      - .actual_access:  read_only
        .address_space:  global
        .offset:         16
        .size:           8
        .value_kind:     global_buffer
      - .offset:         24
        .size:           8
        .value_kind:     by_value
      - .actual_access:  read_only
        .address_space:  global
        .offset:         32
        .size:           8
        .value_kind:     global_buffer
      - .actual_access:  read_only
        .address_space:  global
        .offset:         40
        .size:           8
        .value_kind:     global_buffer
      - .actual_access:  read_only
        .address_space:  global
        .offset:         48
        .size:           8
        .value_kind:     global_buffer
      - .actual_access:  read_only
        .address_space:  global
        .offset:         56
        .size:           8
        .value_kind:     global_buffer
      - .actual_access:  read_only
        .address_space:  global
        .offset:         64
        .size:           8
        .value_kind:     global_buffer
      - .actual_access:  read_only
        .address_space:  global
        .offset:         72
        .size:           8
        .value_kind:     global_buffer
      - .offset:         80
        .size:           8
        .value_kind:     by_value
      - .actual_access:  read_only
        .address_space:  global
        .offset:         88
        .size:           8
        .value_kind:     global_buffer
      - .actual_access:  read_only
        .address_space:  global
        .offset:         96
        .size:           8
        .value_kind:     global_buffer
      - .actual_access:  read_only
        .address_space:  global
        .offset:         104
        .size:           8
        .value_kind:     global_buffer
      - .actual_access:  read_only
        .address_space:  global
        .offset:         112
        .size:           8
        .value_kind:     global_buffer
      - .actual_access:  read_only
        .address_space:  global
        .offset:         120
        .size:           8
        .value_kind:     global_buffer
      - .actual_access:  write_only
        .address_space:  global
        .offset:         128
        .size:           8
        .value_kind:     global_buffer
      - .offset:         136
        .size:           4
        .value_kind:     by_value
      - .offset:         140
        .size:           4
        .value_kind:     by_value
      - .offset:         144
        .size:           4
        .value_kind:     by_value
      - .offset:         148
        .size:           4
        .value_kind:     by_value
      - .offset:         152
        .size:           1
        .value_kind:     by_value
      - .offset:         153
        .size:           1
        .value_kind:     by_value
      - .offset:         154
        .size:           1
        .value_kind:     by_value
    .group_segment_fixed_size: 0
    .kernarg_segment_align: 8
    .kernarg_segment_size: 156
    .language:       OpenCL C
    .language_version:
      - 2
      - 0
    .max_flat_workgroup_size: 1024
    .name:           _ZN9rocsparseL41csrgemm_numeric_fill_block_per_row_kernelILj1024ELj64ELj16384ELj137ELj32EiidEEvT5_PKS1_S3_NS_24const_host_device_scalarIT6_EEPKT4_S3_PKS5_S9_S3_SB_S6_S9_S3_SB_S9_S3_PS5_21rocsparse_index_base_SD_SD_SD_bbb
    .private_segment_fixed_size: 0
    .sgpr_count:     76
    .sgpr_spill_count: 0
    .symbol:         _ZN9rocsparseL41csrgemm_numeric_fill_block_per_row_kernelILj1024ELj64ELj16384ELj137ELj32EiidEEvT5_PKS1_S3_NS_24const_host_device_scalarIT6_EEPKT4_S3_PKS5_S9_S3_SB_S6_S9_S3_SB_S9_S3_PS5_21rocsparse_index_base_SD_SD_SD_bbb.kd
    .uniform_work_group_size: 1
    .uses_dynamic_stack: false
    .vgpr_count:     22
    .vgpr_spill_count: 0
    .wavefront_size: 32
  - .args:
      - .offset:         0
        .size:           4
        .value_kind:     by_value
      - .actual_access:  read_only
        .address_space:  global
        .offset:         8
        .size:           8
        .value_kind:     global_buffer
      - .actual_access:  read_only
        .address_space:  global
        .offset:         16
        .size:           8
        .value_kind:     global_buffer
      - .offset:         24
        .size:           8
        .value_kind:     by_value
      - .actual_access:  read_only
        .address_space:  global
        .offset:         32
        .size:           8
        .value_kind:     global_buffer
      - .actual_access:  read_only
        .address_space:  global
        .offset:         40
        .size:           8
        .value_kind:     global_buffer
      - .actual_access:  read_only
        .address_space:  global
        .offset:         48
        .size:           8
        .value_kind:     global_buffer
      - .actual_access:  read_only
        .address_space:  global
        .offset:         56
        .size:           8
        .value_kind:     global_buffer
      - .actual_access:  read_only
        .address_space:  global
        .offset:         64
        .size:           8
        .value_kind:     global_buffer
      - .actual_access:  read_only
        .address_space:  global
        .offset:         72
        .size:           8
        .value_kind:     global_buffer
      - .offset:         80
        .size:           8
        .value_kind:     by_value
      - .actual_access:  read_only
        .address_space:  global
        .offset:         88
        .size:           8
        .value_kind:     global_buffer
      - .actual_access:  read_only
        .address_space:  global
        .offset:         96
        .size:           8
        .value_kind:     global_buffer
      - .actual_access:  read_only
        .address_space:  global
        .offset:         104
        .size:           8
        .value_kind:     global_buffer
      - .actual_access:  read_only
        .address_space:  global
        .offset:         112
        .size:           8
        .value_kind:     global_buffer
      - .actual_access:  read_only
        .address_space:  global
        .offset:         120
        .size:           8
        .value_kind:     global_buffer
      - .actual_access:  write_only
        .address_space:  global
        .offset:         128
        .size:           8
        .value_kind:     global_buffer
      - .offset:         136
        .size:           4
        .value_kind:     by_value
      - .offset:         140
        .size:           4
        .value_kind:     by_value
      - .offset:         144
        .size:           4
        .value_kind:     by_value
      - .offset:         148
        .size:           4
        .value_kind:     by_value
      - .offset:         152
        .size:           1
        .value_kind:     by_value
      - .offset:         153
        .size:           1
        .value_kind:     by_value
      - .offset:         154
        .size:           1
        .value_kind:     by_value
    .group_segment_fixed_size: 0
    .kernarg_segment_align: 8
    .kernarg_segment_size: 156
    .language:       OpenCL C
    .language_version:
      - 2
      - 0
    .max_flat_workgroup_size: 1024
    .name:           _ZN9rocsparseL41csrgemm_numeric_fill_block_per_row_kernelILj1024ELj64ELj16384ELj137ELj64EiidEEvT5_PKS1_S3_NS_24const_host_device_scalarIT6_EEPKT4_S3_PKS5_S9_S3_SB_S6_S9_S3_SB_S9_S3_PS5_21rocsparse_index_base_SD_SD_SD_bbb
    .private_segment_fixed_size: 0
    .sgpr_count:     44
    .sgpr_spill_count: 0
    .symbol:         _ZN9rocsparseL41csrgemm_numeric_fill_block_per_row_kernelILj1024ELj64ELj16384ELj137ELj64EiidEEvT5_PKS1_S3_NS_24const_host_device_scalarIT6_EEPKT4_S3_PKS5_S9_S3_SB_S6_S9_S3_SB_S9_S3_PS5_21rocsparse_index_base_SD_SD_SD_bbb.kd
    .uniform_work_group_size: 1
    .uses_dynamic_stack: false
    .vgpr_count:     22
    .vgpr_spill_count: 0
    .wavefront_size: 32
  - .args:
      - .offset:         0
        .size:           4
        .value_kind:     by_value
      - .actual_access:  read_only
        .address_space:  global
        .offset:         8
        .size:           8
        .value_kind:     global_buffer
      - .actual_access:  read_only
        .address_space:  global
        .offset:         16
        .size:           8
        .value_kind:     global_buffer
      - .offset:         24
        .size:           8
        .value_kind:     by_value
      - .actual_access:  read_only
        .address_space:  global
        .offset:         32
        .size:           8
        .value_kind:     global_buffer
      - .actual_access:  read_only
        .address_space:  global
        .offset:         40
        .size:           8
        .value_kind:     global_buffer
      - .actual_access:  read_only
        .address_space:  global
        .offset:         48
        .size:           8
        .value_kind:     global_buffer
      - .actual_access:  read_only
        .address_space:  global
        .offset:         56
        .size:           8
        .value_kind:     global_buffer
      - .actual_access:  read_only
        .address_space:  global
        .offset:         64
        .size:           8
        .value_kind:     global_buffer
      - .actual_access:  read_only
        .address_space:  global
        .offset:         72
        .size:           8
        .value_kind:     global_buffer
      - .offset:         80
        .size:           8
        .value_kind:     by_value
      - .actual_access:  read_only
        .address_space:  global
        .offset:         88
        .size:           8
        .value_kind:     global_buffer
      - .actual_access:  read_only
        .address_space:  global
        .offset:         96
        .size:           8
        .value_kind:     global_buffer
      - .actual_access:  read_only
        .address_space:  global
        .offset:         104
        .size:           8
        .value_kind:     global_buffer
      - .actual_access:  read_only
        .address_space:  global
        .offset:         112
        .size:           8
        .value_kind:     global_buffer
      - .actual_access:  read_only
        .address_space:  global
        .offset:         120
        .size:           8
        .value_kind:     global_buffer
      - .actual_access:  write_only
        .address_space:  global
        .offset:         128
        .size:           8
        .value_kind:     global_buffer
      - .offset:         136
        .size:           4
        .value_kind:     by_value
      - .offset:         140
        .size:           4
        .value_kind:     by_value
      - .offset:         144
        .size:           4
        .value_kind:     by_value
      - .offset:         148
        .size:           4
        .value_kind:     by_value
      - .offset:         152
        .size:           1
        .value_kind:     by_value
      - .offset:         153
        .size:           1
        .value_kind:     by_value
      - .offset:         154
        .size:           1
        .value_kind:     by_value
    .group_segment_fixed_size: 0
    .kernarg_segment_align: 8
    .kernarg_segment_size: 156
    .language:       OpenCL C
    .language_version:
      - 2
      - 0
    .max_flat_workgroup_size: 1024
    .name:           _ZN9rocsparseL41csrgemm_numeric_fill_block_per_row_kernelILj1024ELj64ELj32768ELj137ELj32EiidEEvT5_PKS1_S3_NS_24const_host_device_scalarIT6_EEPKT4_S3_PKS5_S9_S3_SB_S6_S9_S3_SB_S9_S3_PS5_21rocsparse_index_base_SD_SD_SD_bbb
    .private_segment_fixed_size: 0
    .sgpr_count:     76
    .sgpr_spill_count: 0
    .symbol:         _ZN9rocsparseL41csrgemm_numeric_fill_block_per_row_kernelILj1024ELj64ELj32768ELj137ELj32EiidEEvT5_PKS1_S3_NS_24const_host_device_scalarIT6_EEPKT4_S3_PKS5_S9_S3_SB_S6_S9_S3_SB_S9_S3_PS5_21rocsparse_index_base_SD_SD_SD_bbb.kd
    .uniform_work_group_size: 1
    .uses_dynamic_stack: false
    .vgpr_count:     22
    .vgpr_spill_count: 0
    .wavefront_size: 32
  - .args:
      - .offset:         0
        .size:           4
        .value_kind:     by_value
      - .actual_access:  read_only
        .address_space:  global
        .offset:         8
        .size:           8
        .value_kind:     global_buffer
      - .actual_access:  read_only
        .address_space:  global
        .offset:         16
        .size:           8
        .value_kind:     global_buffer
      - .offset:         24
        .size:           8
        .value_kind:     by_value
      - .actual_access:  read_only
        .address_space:  global
        .offset:         32
        .size:           8
        .value_kind:     global_buffer
      - .actual_access:  read_only
        .address_space:  global
        .offset:         40
        .size:           8
        .value_kind:     global_buffer
      - .actual_access:  read_only
        .address_space:  global
        .offset:         48
        .size:           8
        .value_kind:     global_buffer
      - .actual_access:  read_only
        .address_space:  global
        .offset:         56
        .size:           8
        .value_kind:     global_buffer
      - .actual_access:  read_only
        .address_space:  global
        .offset:         64
        .size:           8
        .value_kind:     global_buffer
      - .actual_access:  read_only
        .address_space:  global
        .offset:         72
        .size:           8
        .value_kind:     global_buffer
      - .offset:         80
        .size:           8
        .value_kind:     by_value
      - .actual_access:  read_only
        .address_space:  global
        .offset:         88
        .size:           8
        .value_kind:     global_buffer
      - .actual_access:  read_only
        .address_space:  global
        .offset:         96
        .size:           8
        .value_kind:     global_buffer
      - .actual_access:  read_only
        .address_space:  global
        .offset:         104
        .size:           8
        .value_kind:     global_buffer
      - .actual_access:  read_only
        .address_space:  global
        .offset:         112
        .size:           8
        .value_kind:     global_buffer
      - .actual_access:  read_only
        .address_space:  global
        .offset:         120
        .size:           8
        .value_kind:     global_buffer
      - .actual_access:  write_only
        .address_space:  global
        .offset:         128
        .size:           8
        .value_kind:     global_buffer
      - .offset:         136
        .size:           4
        .value_kind:     by_value
      - .offset:         140
        .size:           4
        .value_kind:     by_value
      - .offset:         144
        .size:           4
        .value_kind:     by_value
      - .offset:         148
        .size:           4
        .value_kind:     by_value
      - .offset:         152
        .size:           1
        .value_kind:     by_value
      - .offset:         153
        .size:           1
        .value_kind:     by_value
      - .offset:         154
        .size:           1
        .value_kind:     by_value
    .group_segment_fixed_size: 0
    .kernarg_segment_align: 8
    .kernarg_segment_size: 156
    .language:       OpenCL C
    .language_version:
      - 2
      - 0
    .max_flat_workgroup_size: 1024
    .name:           _ZN9rocsparseL41csrgemm_numeric_fill_block_per_row_kernelILj1024ELj64ELj32768ELj137ELj64EiidEEvT5_PKS1_S3_NS_24const_host_device_scalarIT6_EEPKT4_S3_PKS5_S9_S3_SB_S6_S9_S3_SB_S9_S3_PS5_21rocsparse_index_base_SD_SD_SD_bbb
    .private_segment_fixed_size: 0
    .sgpr_count:     44
    .sgpr_spill_count: 0
    .symbol:         _ZN9rocsparseL41csrgemm_numeric_fill_block_per_row_kernelILj1024ELj64ELj32768ELj137ELj64EiidEEvT5_PKS1_S3_NS_24const_host_device_scalarIT6_EEPKT4_S3_PKS5_S9_S3_SB_S6_S9_S3_SB_S9_S3_PS5_21rocsparse_index_base_SD_SD_SD_bbb.kd
    .uniform_work_group_size: 1
    .uses_dynamic_stack: false
    .vgpr_count:     22
    .vgpr_spill_count: 0
    .wavefront_size: 32
  - .args:
      - .offset:         0
        .size:           4
        .value_kind:     by_value
      - .actual_access:  read_only
        .address_space:  global
        .offset:         8
        .size:           8
        .value_kind:     global_buffer
      - .actual_access:  read_only
        .address_space:  global
        .offset:         16
        .size:           8
        .value_kind:     global_buffer
      - .offset:         24
        .size:           8
        .value_kind:     by_value
      - .actual_access:  read_only
        .address_space:  global
        .offset:         32
        .size:           8
        .value_kind:     global_buffer
      - .actual_access:  read_only
        .address_space:  global
        .offset:         40
        .size:           8
        .value_kind:     global_buffer
      - .actual_access:  read_only
        .address_space:  global
        .offset:         48
        .size:           8
        .value_kind:     global_buffer
      - .actual_access:  read_only
        .address_space:  global
        .offset:         56
        .size:           8
        .value_kind:     global_buffer
      - .actual_access:  read_only
        .address_space:  global
        .offset:         64
        .size:           8
        .value_kind:     global_buffer
      - .actual_access:  read_only
        .address_space:  global
        .offset:         72
        .size:           8
        .value_kind:     global_buffer
      - .offset:         80
        .size:           8
        .value_kind:     by_value
      - .actual_access:  read_only
        .address_space:  global
        .offset:         88
        .size:           8
        .value_kind:     global_buffer
      - .actual_access:  read_only
        .address_space:  global
        .offset:         96
        .size:           8
        .value_kind:     global_buffer
      - .actual_access:  read_only
        .address_space:  global
        .offset:         104
        .size:           8
        .value_kind:     global_buffer
      - .actual_access:  read_only
        .address_space:  global
        .offset:         112
        .size:           8
        .value_kind:     global_buffer
      - .actual_access:  read_only
        .address_space:  global
        .offset:         120
        .size:           8
        .value_kind:     global_buffer
      - .actual_access:  write_only
        .address_space:  global
        .offset:         128
        .size:           8
        .value_kind:     global_buffer
      - .address_space:  global
        .offset:         136
        .size:           8
        .value_kind:     global_buffer
      - .offset:         144
        .size:           4
        .value_kind:     by_value
      - .offset:         148
        .size:           4
        .value_kind:     by_value
      - .offset:         152
        .size:           4
        .value_kind:     by_value
      - .offset:         156
        .size:           4
        .value_kind:     by_value
      - .offset:         160
        .size:           1
        .value_kind:     by_value
      - .offset:         161
        .size:           1
        .value_kind:     by_value
      - .offset:         162
        .size:           1
        .value_kind:     by_value
    .group_segment_fixed_size: 18440
    .kernarg_segment_align: 8
    .kernarg_segment_size: 164
    .language:       OpenCL C
    .language_version:
      - 2
      - 0
    .max_flat_workgroup_size: 512
    .name:           _ZN9rocsparseL51csrgemm_numeric_fill_block_per_row_multipass_kernelILj512ELj16ELj2048ELj32EiidEEvT4_PKS1_S3_NS_24const_host_device_scalarIT5_EEPKT3_S3_PKS5_S9_S3_SB_S6_S9_S3_SB_S9_S3_PS5_PS7_21rocsparse_index_base_SE_SE_SE_bbb
    .private_segment_fixed_size: 0
    .sgpr_count:     58
    .sgpr_spill_count: 0
    .symbol:         _ZN9rocsparseL51csrgemm_numeric_fill_block_per_row_multipass_kernelILj512ELj16ELj2048ELj32EiidEEvT4_PKS1_S3_NS_24const_host_device_scalarIT5_EEPKT3_S3_PKS5_S9_S3_SB_S6_S9_S3_SB_S9_S3_PS5_PS7_21rocsparse_index_base_SE_SE_SE_bbb.kd
    .uniform_work_group_size: 1
    .uses_dynamic_stack: false
    .vgpr_count:     40
    .vgpr_spill_count: 0
    .wavefront_size: 32
  - .args:
      - .offset:         0
        .size:           4
        .value_kind:     by_value
      - .actual_access:  read_only
        .address_space:  global
        .offset:         8
        .size:           8
        .value_kind:     global_buffer
      - .actual_access:  read_only
        .address_space:  global
        .offset:         16
        .size:           8
        .value_kind:     global_buffer
      - .offset:         24
        .size:           8
        .value_kind:     by_value
      - .actual_access:  read_only
        .address_space:  global
        .offset:         32
        .size:           8
        .value_kind:     global_buffer
      - .actual_access:  read_only
        .address_space:  global
        .offset:         40
        .size:           8
        .value_kind:     global_buffer
      - .actual_access:  read_only
        .address_space:  global
        .offset:         48
        .size:           8
        .value_kind:     global_buffer
      - .actual_access:  read_only
        .address_space:  global
        .offset:         56
        .size:           8
        .value_kind:     global_buffer
      - .actual_access:  read_only
        .address_space:  global
        .offset:         64
        .size:           8
        .value_kind:     global_buffer
      - .actual_access:  read_only
        .address_space:  global
        .offset:         72
        .size:           8
        .value_kind:     global_buffer
      - .offset:         80
        .size:           8
        .value_kind:     by_value
      - .actual_access:  read_only
        .address_space:  global
        .offset:         88
        .size:           8
        .value_kind:     global_buffer
      - .actual_access:  read_only
        .address_space:  global
        .offset:         96
        .size:           8
        .value_kind:     global_buffer
      - .actual_access:  read_only
        .address_space:  global
        .offset:         104
        .size:           8
        .value_kind:     global_buffer
      - .actual_access:  read_only
        .address_space:  global
        .offset:         112
        .size:           8
        .value_kind:     global_buffer
      - .actual_access:  read_only
        .address_space:  global
        .offset:         120
        .size:           8
        .value_kind:     global_buffer
      - .actual_access:  write_only
        .address_space:  global
        .offset:         128
        .size:           8
        .value_kind:     global_buffer
      - .address_space:  global
        .offset:         136
        .size:           8
        .value_kind:     global_buffer
      - .offset:         144
        .size:           4
        .value_kind:     by_value
      - .offset:         148
        .size:           4
        .value_kind:     by_value
      - .offset:         152
        .size:           4
        .value_kind:     by_value
      - .offset:         156
        .size:           4
        .value_kind:     by_value
      - .offset:         160
        .size:           1
        .value_kind:     by_value
      - .offset:         161
        .size:           1
        .value_kind:     by_value
      - .offset:         162
        .size:           1
        .value_kind:     by_value
    .group_segment_fixed_size: 18440
    .kernarg_segment_align: 8
    .kernarg_segment_size: 164
    .language:       OpenCL C
    .language_version:
      - 2
      - 0
    .max_flat_workgroup_size: 512
    .name:           _ZN9rocsparseL51csrgemm_numeric_fill_block_per_row_multipass_kernelILj512ELj16ELj2048ELj64EiidEEvT4_PKS1_S3_NS_24const_host_device_scalarIT5_EEPKT3_S3_PKS5_S9_S3_SB_S6_S9_S3_SB_S9_S3_PS5_PS7_21rocsparse_index_base_SE_SE_SE_bbb
    .private_segment_fixed_size: 0
    .sgpr_count:     50
    .sgpr_spill_count: 0
    .symbol:         _ZN9rocsparseL51csrgemm_numeric_fill_block_per_row_multipass_kernelILj512ELj16ELj2048ELj64EiidEEvT4_PKS1_S3_NS_24const_host_device_scalarIT5_EEPKT3_S3_PKS5_S9_S3_SB_S6_S9_S3_SB_S9_S3_PS5_PS7_21rocsparse_index_base_SE_SE_SE_bbb.kd
    .uniform_work_group_size: 1
    .uses_dynamic_stack: false
    .vgpr_count:     36
    .vgpr_spill_count: 0
    .wavefront_size: 32
  - .args:
      - .offset:         0
        .size:           4
        .value_kind:     by_value
      - .offset:         4
        .size:           4
        .value_kind:     by_value
      - .actual_access:  read_only
        .address_space:  global
        .offset:         8
        .size:           8
        .value_kind:     global_buffer
      - .actual_access:  read_only
        .address_space:  global
        .offset:         16
        .size:           8
        .value_kind:     global_buffer
      - .offset:         24
        .size:           8
        .value_kind:     by_value
      - .actual_access:  read_only
        .address_space:  global
        .offset:         32
        .size:           8
        .value_kind:     global_buffer
      - .actual_access:  read_only
        .address_space:  global
        .offset:         40
        .size:           8
        .value_kind:     global_buffer
      - .actual_access:  read_only
        .address_space:  global
        .offset:         48
        .size:           8
        .value_kind:     global_buffer
      - .actual_access:  read_only
        .address_space:  global
        .offset:         56
        .size:           8
        .value_kind:     global_buffer
      - .actual_access:  read_only
        .address_space:  global
        .offset:         64
        .size:           8
        .value_kind:     global_buffer
      - .actual_access:  read_only
        .address_space:  global
        .offset:         72
        .size:           8
        .value_kind:     global_buffer
      - .offset:         80
        .size:           8
        .value_kind:     by_value
      - .actual_access:  read_only
        .address_space:  global
        .offset:         88
        .size:           8
        .value_kind:     global_buffer
      - .actual_access:  read_only
        .address_space:  global
        .offset:         96
        .size:           8
        .value_kind:     global_buffer
      - .actual_access:  read_only
        .address_space:  global
        .offset:         104
        .size:           8
        .value_kind:     global_buffer
      - .actual_access:  read_only
        .address_space:  global
        .offset:         112
        .size:           8
        .value_kind:     global_buffer
      - .actual_access:  read_only
        .address_space:  global
        .offset:         120
        .size:           8
        .value_kind:     global_buffer
      - .actual_access:  write_only
        .address_space:  global
        .offset:         128
        .size:           8
        .value_kind:     global_buffer
      - .offset:         136
        .size:           4
        .value_kind:     by_value
      - .offset:         140
        .size:           4
        .value_kind:     by_value
      - .offset:         144
        .size:           4
        .value_kind:     by_value
      - .offset:         148
        .size:           4
        .value_kind:     by_value
      - .offset:         152
        .size:           1
        .value_kind:     by_value
      - .offset:         153
        .size:           1
        .value_kind:     by_value
      - .offset:         154
        .size:           1
        .value_kind:     by_value
    .group_segment_fixed_size: 6144
    .kernarg_segment_align: 8
    .kernarg_segment_size: 156
    .language:       OpenCL C
    .language_version:
      - 2
      - 0
    .max_flat_workgroup_size: 256
    .name:           _ZN9rocsparseL38csrgemm_numeric_fill_wf_per_row_kernelILj256ELj8ELj16ELj137Eii21rocsparse_complex_numIfEEEvT4_S3_PKS3_S5_NS_24const_host_device_scalarIT5_EEPKT3_S5_PKS7_SB_S5_SD_S8_SB_S5_SD_SB_S5_PS7_21rocsparse_index_base_SF_SF_SF_bbb
    .private_segment_fixed_size: 0
    .sgpr_count:     44
    .sgpr_spill_count: 0
    .symbol:         _ZN9rocsparseL38csrgemm_numeric_fill_wf_per_row_kernelILj256ELj8ELj16ELj137Eii21rocsparse_complex_numIfEEEvT4_S3_PKS3_S5_NS_24const_host_device_scalarIT5_EEPKT3_S5_PKS7_SB_S5_SD_S8_SB_S5_SD_SB_S5_PS7_21rocsparse_index_base_SF_SF_SF_bbb.kd
    .uniform_work_group_size: 1
    .uses_dynamic_stack: false
    .vgpr_count:     24
    .vgpr_spill_count: 0
    .wavefront_size: 32
  - .args:
      - .offset:         0
        .size:           4
        .value_kind:     by_value
      - .offset:         4
        .size:           4
        .value_kind:     by_value
      - .actual_access:  read_only
        .address_space:  global
        .offset:         8
        .size:           8
        .value_kind:     global_buffer
      - .actual_access:  read_only
        .address_space:  global
        .offset:         16
        .size:           8
        .value_kind:     global_buffer
      - .offset:         24
        .size:           8
        .value_kind:     by_value
      - .actual_access:  read_only
        .address_space:  global
        .offset:         32
        .size:           8
        .value_kind:     global_buffer
      - .actual_access:  read_only
        .address_space:  global
        .offset:         40
        .size:           8
        .value_kind:     global_buffer
      - .actual_access:  read_only
        .address_space:  global
        .offset:         48
        .size:           8
        .value_kind:     global_buffer
      - .actual_access:  read_only
        .address_space:  global
        .offset:         56
        .size:           8
        .value_kind:     global_buffer
      - .actual_access:  read_only
        .address_space:  global
        .offset:         64
        .size:           8
        .value_kind:     global_buffer
      - .actual_access:  read_only
        .address_space:  global
        .offset:         72
        .size:           8
        .value_kind:     global_buffer
      - .offset:         80
        .size:           8
        .value_kind:     by_value
      - .actual_access:  read_only
        .address_space:  global
        .offset:         88
        .size:           8
        .value_kind:     global_buffer
      - .actual_access:  read_only
        .address_space:  global
        .offset:         96
        .size:           8
        .value_kind:     global_buffer
      - .actual_access:  read_only
        .address_space:  global
        .offset:         104
        .size:           8
        .value_kind:     global_buffer
      - .actual_access:  read_only
        .address_space:  global
        .offset:         112
        .size:           8
        .value_kind:     global_buffer
      - .actual_access:  read_only
        .address_space:  global
        .offset:         120
        .size:           8
        .value_kind:     global_buffer
      - .actual_access:  write_only
        .address_space:  global
        .offset:         128
        .size:           8
        .value_kind:     global_buffer
      - .offset:         136
        .size:           4
        .value_kind:     by_value
      - .offset:         140
        .size:           4
        .value_kind:     by_value
      - .offset:         144
        .size:           4
        .value_kind:     by_value
      - .offset:         148
        .size:           4
        .value_kind:     by_value
      - .offset:         152
        .size:           1
        .value_kind:     by_value
      - .offset:         153
        .size:           1
        .value_kind:     by_value
      - .offset:         154
        .size:           1
        .value_kind:     by_value
    .group_segment_fixed_size: 6144
    .kernarg_segment_align: 8
    .kernarg_segment_size: 156
    .language:       OpenCL C
    .language_version:
      - 2
      - 0
    .max_flat_workgroup_size: 256
    .name:           _ZN9rocsparseL38csrgemm_numeric_fill_wf_per_row_kernelILj256ELj16ELj32ELj137Eii21rocsparse_complex_numIfEEEvT4_S3_PKS3_S5_NS_24const_host_device_scalarIT5_EEPKT3_S5_PKS7_SB_S5_SD_S8_SB_S5_SD_SB_S5_PS7_21rocsparse_index_base_SF_SF_SF_bbb
    .private_segment_fixed_size: 0
    .sgpr_count:     44
    .sgpr_spill_count: 0
    .symbol:         _ZN9rocsparseL38csrgemm_numeric_fill_wf_per_row_kernelILj256ELj16ELj32ELj137Eii21rocsparse_complex_numIfEEEvT4_S3_PKS3_S5_NS_24const_host_device_scalarIT5_EEPKT3_S5_PKS7_SB_S5_SD_S8_SB_S5_SD_SB_S5_PS7_21rocsparse_index_base_SF_SF_SF_bbb.kd
    .uniform_work_group_size: 1
    .uses_dynamic_stack: false
    .vgpr_count:     40
    .vgpr_spill_count: 0
    .wavefront_size: 32
  - .args:
      - .offset:         0
        .size:           4
        .value_kind:     by_value
      - .actual_access:  read_only
        .address_space:  global
        .offset:         8
        .size:           8
        .value_kind:     global_buffer
      - .actual_access:  read_only
        .address_space:  global
        .offset:         16
        .size:           8
        .value_kind:     global_buffer
      - .offset:         24
        .size:           8
        .value_kind:     by_value
      - .actual_access:  read_only
        .address_space:  global
        .offset:         32
        .size:           8
        .value_kind:     global_buffer
      - .actual_access:  read_only
        .address_space:  global
        .offset:         40
        .size:           8
        .value_kind:     global_buffer
      - .actual_access:  read_only
        .address_space:  global
        .offset:         48
        .size:           8
        .value_kind:     global_buffer
      - .actual_access:  read_only
        .address_space:  global
        .offset:         56
        .size:           8
        .value_kind:     global_buffer
      - .actual_access:  read_only
        .address_space:  global
        .offset:         64
        .size:           8
        .value_kind:     global_buffer
      - .actual_access:  read_only
        .address_space:  global
        .offset:         72
        .size:           8
        .value_kind:     global_buffer
      - .offset:         80
        .size:           8
        .value_kind:     by_value
      - .actual_access:  read_only
        .address_space:  global
        .offset:         88
        .size:           8
        .value_kind:     global_buffer
      - .actual_access:  read_only
        .address_space:  global
        .offset:         96
        .size:           8
        .value_kind:     global_buffer
      - .actual_access:  read_only
        .address_space:  global
        .offset:         104
        .size:           8
        .value_kind:     global_buffer
      - .actual_access:  read_only
        .address_space:  global
        .offset:         112
        .size:           8
        .value_kind:     global_buffer
      - .actual_access:  read_only
        .address_space:  global
        .offset:         120
        .size:           8
        .value_kind:     global_buffer
      - .actual_access:  write_only
        .address_space:  global
        .offset:         128
        .size:           8
        .value_kind:     global_buffer
      - .offset:         136
        .size:           4
        .value_kind:     by_value
      - .offset:         140
        .size:           4
        .value_kind:     by_value
      - .offset:         144
        .size:           4
        .value_kind:     by_value
      - .offset:         148
        .size:           4
        .value_kind:     by_value
      - .offset:         152
        .size:           1
        .value_kind:     by_value
      - .offset:         153
        .size:           1
        .value_kind:     by_value
      - .offset:         154
        .size:           1
        .value_kind:     by_value
    .group_segment_fixed_size: 0
    .kernarg_segment_align: 8
    .kernarg_segment_size: 156
    .language:       OpenCL C
    .language_version:
      - 2
      - 0
    .max_flat_workgroup_size: 128
    .name:           _ZN9rocsparseL41csrgemm_numeric_fill_block_per_row_kernelILj128ELj16ELj256ELj137ELj32Eii21rocsparse_complex_numIfEEEvT5_PKS3_S5_NS_24const_host_device_scalarIT6_EEPKT4_S5_PKS7_SB_S5_SD_S8_SB_S5_SD_SB_S5_PS7_21rocsparse_index_base_SF_SF_SF_bbb
    .private_segment_fixed_size: 0
    .sgpr_count:     45
    .sgpr_spill_count: 0
    .symbol:         _ZN9rocsparseL41csrgemm_numeric_fill_block_per_row_kernelILj128ELj16ELj256ELj137ELj32Eii21rocsparse_complex_numIfEEEvT5_PKS3_S5_NS_24const_host_device_scalarIT6_EEPKT4_S5_PKS7_SB_S5_SD_S8_SB_S5_SD_SB_S5_PS7_21rocsparse_index_base_SF_SF_SF_bbb.kd
    .uniform_work_group_size: 1
    .uses_dynamic_stack: false
    .vgpr_count:     22
    .vgpr_spill_count: 0
    .wavefront_size: 32
  - .args:
      - .offset:         0
        .size:           4
        .value_kind:     by_value
      - .actual_access:  read_only
        .address_space:  global
        .offset:         8
        .size:           8
        .value_kind:     global_buffer
      - .actual_access:  read_only
        .address_space:  global
        .offset:         16
        .size:           8
        .value_kind:     global_buffer
      - .offset:         24
        .size:           8
        .value_kind:     by_value
      - .actual_access:  read_only
        .address_space:  global
        .offset:         32
        .size:           8
        .value_kind:     global_buffer
      - .actual_access:  read_only
        .address_space:  global
        .offset:         40
        .size:           8
        .value_kind:     global_buffer
      - .actual_access:  read_only
        .address_space:  global
        .offset:         48
        .size:           8
        .value_kind:     global_buffer
      - .actual_access:  read_only
        .address_space:  global
        .offset:         56
        .size:           8
        .value_kind:     global_buffer
      - .actual_access:  read_only
        .address_space:  global
        .offset:         64
        .size:           8
        .value_kind:     global_buffer
      - .actual_access:  read_only
        .address_space:  global
        .offset:         72
        .size:           8
        .value_kind:     global_buffer
      - .offset:         80
        .size:           8
        .value_kind:     by_value
      - .actual_access:  read_only
        .address_space:  global
        .offset:         88
        .size:           8
        .value_kind:     global_buffer
      - .actual_access:  read_only
        .address_space:  global
        .offset:         96
        .size:           8
        .value_kind:     global_buffer
      - .actual_access:  read_only
        .address_space:  global
        .offset:         104
        .size:           8
        .value_kind:     global_buffer
      - .actual_access:  read_only
        .address_space:  global
        .offset:         112
        .size:           8
        .value_kind:     global_buffer
      - .actual_access:  read_only
        .address_space:  global
        .offset:         120
        .size:           8
        .value_kind:     global_buffer
      - .actual_access:  write_only
        .address_space:  global
        .offset:         128
        .size:           8
        .value_kind:     global_buffer
      - .offset:         136
        .size:           4
        .value_kind:     by_value
      - .offset:         140
        .size:           4
        .value_kind:     by_value
      - .offset:         144
        .size:           4
        .value_kind:     by_value
      - .offset:         148
        .size:           4
        .value_kind:     by_value
      - .offset:         152
        .size:           1
        .value_kind:     by_value
      - .offset:         153
        .size:           1
        .value_kind:     by_value
      - .offset:         154
        .size:           1
        .value_kind:     by_value
    .group_segment_fixed_size: 0
    .kernarg_segment_align: 8
    .kernarg_segment_size: 156
    .language:       OpenCL C
    .language_version:
      - 2
      - 0
    .max_flat_workgroup_size: 128
    .name:           _ZN9rocsparseL41csrgemm_numeric_fill_block_per_row_kernelILj128ELj16ELj256ELj137ELj64Eii21rocsparse_complex_numIfEEEvT5_PKS3_S5_NS_24const_host_device_scalarIT6_EEPKT4_S5_PKS7_SB_S5_SD_S8_SB_S5_SD_SB_S5_PS7_21rocsparse_index_base_SF_SF_SF_bbb
    .private_segment_fixed_size: 0
    .sgpr_count:     45
    .sgpr_spill_count: 0
    .symbol:         _ZN9rocsparseL41csrgemm_numeric_fill_block_per_row_kernelILj128ELj16ELj256ELj137ELj64Eii21rocsparse_complex_numIfEEEvT5_PKS3_S5_NS_24const_host_device_scalarIT6_EEPKT4_S5_PKS7_SB_S5_SD_S8_SB_S5_SD_SB_S5_PS7_21rocsparse_index_base_SF_SF_SF_bbb.kd
    .uniform_work_group_size: 1
    .uses_dynamic_stack: false
    .vgpr_count:     22
    .vgpr_spill_count: 0
    .wavefront_size: 32
  - .args:
      - .offset:         0
        .size:           4
        .value_kind:     by_value
      - .actual_access:  read_only
        .address_space:  global
        .offset:         8
        .size:           8
        .value_kind:     global_buffer
      - .actual_access:  read_only
        .address_space:  global
        .offset:         16
        .size:           8
        .value_kind:     global_buffer
      - .offset:         24
        .size:           8
        .value_kind:     by_value
      - .actual_access:  read_only
        .address_space:  global
        .offset:         32
        .size:           8
        .value_kind:     global_buffer
      - .actual_access:  read_only
        .address_space:  global
        .offset:         40
        .size:           8
        .value_kind:     global_buffer
      - .actual_access:  read_only
        .address_space:  global
        .offset:         48
        .size:           8
        .value_kind:     global_buffer
      - .actual_access:  read_only
        .address_space:  global
        .offset:         56
        .size:           8
        .value_kind:     global_buffer
      - .actual_access:  read_only
        .address_space:  global
        .offset:         64
        .size:           8
        .value_kind:     global_buffer
      - .actual_access:  read_only
        .address_space:  global
        .offset:         72
        .size:           8
        .value_kind:     global_buffer
      - .offset:         80
        .size:           8
        .value_kind:     by_value
      - .actual_access:  read_only
        .address_space:  global
        .offset:         88
        .size:           8
        .value_kind:     global_buffer
      - .actual_access:  read_only
        .address_space:  global
        .offset:         96
        .size:           8
        .value_kind:     global_buffer
      - .actual_access:  read_only
        .address_space:  global
        .offset:         104
        .size:           8
        .value_kind:     global_buffer
      - .actual_access:  read_only
        .address_space:  global
        .offset:         112
        .size:           8
        .value_kind:     global_buffer
      - .actual_access:  read_only
        .address_space:  global
        .offset:         120
        .size:           8
        .value_kind:     global_buffer
      - .actual_access:  write_only
        .address_space:  global
        .offset:         128
        .size:           8
        .value_kind:     global_buffer
      - .offset:         136
        .size:           4
        .value_kind:     by_value
      - .offset:         140
        .size:           4
        .value_kind:     by_value
      - .offset:         144
        .size:           4
        .value_kind:     by_value
      - .offset:         148
        .size:           4
        .value_kind:     by_value
      - .offset:         152
        .size:           1
        .value_kind:     by_value
      - .offset:         153
        .size:           1
        .value_kind:     by_value
      - .offset:         154
        .size:           1
        .value_kind:     by_value
    .group_segment_fixed_size: 0
    .kernarg_segment_align: 8
    .kernarg_segment_size: 156
    .language:       OpenCL C
    .language_version:
      - 2
      - 0
    .max_flat_workgroup_size: 256
    .name:           _ZN9rocsparseL41csrgemm_numeric_fill_block_per_row_kernelILj256ELj32ELj512ELj137ELj32Eii21rocsparse_complex_numIfEEEvT5_PKS3_S5_NS_24const_host_device_scalarIT6_EEPKT4_S5_PKS7_SB_S5_SD_S8_SB_S5_SD_SB_S5_PS7_21rocsparse_index_base_SF_SF_SF_bbb
    .private_segment_fixed_size: 0
    .sgpr_count:     45
    .sgpr_spill_count: 0
    .symbol:         _ZN9rocsparseL41csrgemm_numeric_fill_block_per_row_kernelILj256ELj32ELj512ELj137ELj32Eii21rocsparse_complex_numIfEEEvT5_PKS3_S5_NS_24const_host_device_scalarIT6_EEPKT4_S5_PKS7_SB_S5_SD_S8_SB_S5_SD_SB_S5_PS7_21rocsparse_index_base_SF_SF_SF_bbb.kd
    .uniform_work_group_size: 1
    .uses_dynamic_stack: false
    .vgpr_count:     22
    .vgpr_spill_count: 0
    .wavefront_size: 32
  - .args:
      - .offset:         0
        .size:           4
        .value_kind:     by_value
      - .actual_access:  read_only
        .address_space:  global
        .offset:         8
        .size:           8
        .value_kind:     global_buffer
      - .actual_access:  read_only
        .address_space:  global
        .offset:         16
        .size:           8
        .value_kind:     global_buffer
      - .offset:         24
        .size:           8
        .value_kind:     by_value
      - .actual_access:  read_only
        .address_space:  global
        .offset:         32
        .size:           8
        .value_kind:     global_buffer
      - .actual_access:  read_only
        .address_space:  global
        .offset:         40
        .size:           8
        .value_kind:     global_buffer
      - .actual_access:  read_only
        .address_space:  global
        .offset:         48
        .size:           8
        .value_kind:     global_buffer
      - .actual_access:  read_only
        .address_space:  global
        .offset:         56
        .size:           8
        .value_kind:     global_buffer
      - .actual_access:  read_only
        .address_space:  global
        .offset:         64
        .size:           8
        .value_kind:     global_buffer
      - .actual_access:  read_only
        .address_space:  global
        .offset:         72
        .size:           8
        .value_kind:     global_buffer
      - .offset:         80
        .size:           8
        .value_kind:     by_value
      - .actual_access:  read_only
        .address_space:  global
        .offset:         88
        .size:           8
        .value_kind:     global_buffer
      - .actual_access:  read_only
        .address_space:  global
        .offset:         96
        .size:           8
        .value_kind:     global_buffer
      - .actual_access:  read_only
        .address_space:  global
        .offset:         104
        .size:           8
        .value_kind:     global_buffer
      - .actual_access:  read_only
        .address_space:  global
        .offset:         112
        .size:           8
        .value_kind:     global_buffer
      - .actual_access:  read_only
        .address_space:  global
        .offset:         120
        .size:           8
        .value_kind:     global_buffer
      - .actual_access:  write_only
        .address_space:  global
        .offset:         128
        .size:           8
        .value_kind:     global_buffer
      - .offset:         136
        .size:           4
        .value_kind:     by_value
      - .offset:         140
        .size:           4
        .value_kind:     by_value
      - .offset:         144
        .size:           4
        .value_kind:     by_value
      - .offset:         148
        .size:           4
        .value_kind:     by_value
      - .offset:         152
        .size:           1
        .value_kind:     by_value
      - .offset:         153
        .size:           1
        .value_kind:     by_value
      - .offset:         154
        .size:           1
        .value_kind:     by_value
    .group_segment_fixed_size: 0
    .kernarg_segment_align: 8
    .kernarg_segment_size: 156
    .language:       OpenCL C
    .language_version:
      - 2
      - 0
    .max_flat_workgroup_size: 256
    .name:           _ZN9rocsparseL41csrgemm_numeric_fill_block_per_row_kernelILj256ELj32ELj512ELj137ELj64Eii21rocsparse_complex_numIfEEEvT5_PKS3_S5_NS_24const_host_device_scalarIT6_EEPKT4_S5_PKS7_SB_S5_SD_S8_SB_S5_SD_SB_S5_PS7_21rocsparse_index_base_SF_SF_SF_bbb
    .private_segment_fixed_size: 0
    .sgpr_count:     45
    .sgpr_spill_count: 0
    .symbol:         _ZN9rocsparseL41csrgemm_numeric_fill_block_per_row_kernelILj256ELj32ELj512ELj137ELj64Eii21rocsparse_complex_numIfEEEvT5_PKS3_S5_NS_24const_host_device_scalarIT6_EEPKT4_S5_PKS7_SB_S5_SD_S8_SB_S5_SD_SB_S5_PS7_21rocsparse_index_base_SF_SF_SF_bbb.kd
    .uniform_work_group_size: 1
    .uses_dynamic_stack: false
    .vgpr_count:     22
    .vgpr_spill_count: 0
    .wavefront_size: 32
  - .args:
      - .offset:         0
        .size:           4
        .value_kind:     by_value
      - .actual_access:  read_only
        .address_space:  global
        .offset:         8
        .size:           8
        .value_kind:     global_buffer
      - .actual_access:  read_only
        .address_space:  global
        .offset:         16
        .size:           8
        .value_kind:     global_buffer
      - .offset:         24
        .size:           8
        .value_kind:     by_value
      - .actual_access:  read_only
        .address_space:  global
        .offset:         32
        .size:           8
        .value_kind:     global_buffer
      - .actual_access:  read_only
        .address_space:  global
        .offset:         40
        .size:           8
        .value_kind:     global_buffer
      - .actual_access:  read_only
        .address_space:  global
        .offset:         48
        .size:           8
        .value_kind:     global_buffer
      - .actual_access:  read_only
        .address_space:  global
        .offset:         56
        .size:           8
        .value_kind:     global_buffer
      - .actual_access:  read_only
        .address_space:  global
        .offset:         64
        .size:           8
        .value_kind:     global_buffer
      - .actual_access:  read_only
        .address_space:  global
        .offset:         72
        .size:           8
        .value_kind:     global_buffer
      - .offset:         80
        .size:           8
        .value_kind:     by_value
      - .actual_access:  read_only
        .address_space:  global
        .offset:         88
        .size:           8
        .value_kind:     global_buffer
      - .actual_access:  read_only
        .address_space:  global
        .offset:         96
        .size:           8
        .value_kind:     global_buffer
      - .actual_access:  read_only
        .address_space:  global
        .offset:         104
        .size:           8
        .value_kind:     global_buffer
      - .actual_access:  read_only
        .address_space:  global
        .offset:         112
        .size:           8
        .value_kind:     global_buffer
      - .actual_access:  read_only
        .address_space:  global
        .offset:         120
        .size:           8
        .value_kind:     global_buffer
      - .actual_access:  write_only
        .address_space:  global
        .offset:         128
        .size:           8
        .value_kind:     global_buffer
      - .offset:         136
        .size:           4
        .value_kind:     by_value
      - .offset:         140
        .size:           4
        .value_kind:     by_value
      - .offset:         144
        .size:           4
        .value_kind:     by_value
      - .offset:         148
        .size:           4
        .value_kind:     by_value
      - .offset:         152
        .size:           1
        .value_kind:     by_value
      - .offset:         153
        .size:           1
        .value_kind:     by_value
      - .offset:         154
        .size:           1
        .value_kind:     by_value
    .group_segment_fixed_size: 0
    .kernarg_segment_align: 8
    .kernarg_segment_size: 156
    .language:       OpenCL C
    .language_version:
      - 2
      - 0
    .max_flat_workgroup_size: 512
    .name:           _ZN9rocsparseL41csrgemm_numeric_fill_block_per_row_kernelILj512ELj32ELj1024ELj137ELj32Eii21rocsparse_complex_numIfEEEvT5_PKS3_S5_NS_24const_host_device_scalarIT6_EEPKT4_S5_PKS7_SB_S5_SD_S8_SB_S5_SD_SB_S5_PS7_21rocsparse_index_base_SF_SF_SF_bbb
    .private_segment_fixed_size: 0
    .sgpr_count:     44
    .sgpr_spill_count: 0
    .symbol:         _ZN9rocsparseL41csrgemm_numeric_fill_block_per_row_kernelILj512ELj32ELj1024ELj137ELj32Eii21rocsparse_complex_numIfEEEvT5_PKS3_S5_NS_24const_host_device_scalarIT6_EEPKT4_S5_PKS7_SB_S5_SD_S8_SB_S5_SD_SB_S5_PS7_21rocsparse_index_base_SF_SF_SF_bbb.kd
    .uniform_work_group_size: 1
    .uses_dynamic_stack: false
    .vgpr_count:     22
    .vgpr_spill_count: 0
    .wavefront_size: 32
  - .args:
      - .offset:         0
        .size:           4
        .value_kind:     by_value
      - .actual_access:  read_only
        .address_space:  global
        .offset:         8
        .size:           8
        .value_kind:     global_buffer
      - .actual_access:  read_only
        .address_space:  global
        .offset:         16
        .size:           8
        .value_kind:     global_buffer
      - .offset:         24
        .size:           8
        .value_kind:     by_value
      - .actual_access:  read_only
        .address_space:  global
        .offset:         32
        .size:           8
        .value_kind:     global_buffer
      - .actual_access:  read_only
        .address_space:  global
        .offset:         40
        .size:           8
        .value_kind:     global_buffer
      - .actual_access:  read_only
        .address_space:  global
        .offset:         48
        .size:           8
        .value_kind:     global_buffer
      - .actual_access:  read_only
        .address_space:  global
        .offset:         56
        .size:           8
        .value_kind:     global_buffer
      - .actual_access:  read_only
        .address_space:  global
        .offset:         64
        .size:           8
        .value_kind:     global_buffer
      - .actual_access:  read_only
        .address_space:  global
        .offset:         72
        .size:           8
        .value_kind:     global_buffer
      - .offset:         80
        .size:           8
        .value_kind:     by_value
      - .actual_access:  read_only
        .address_space:  global
        .offset:         88
        .size:           8
        .value_kind:     global_buffer
      - .actual_access:  read_only
        .address_space:  global
        .offset:         96
        .size:           8
        .value_kind:     global_buffer
      - .actual_access:  read_only
        .address_space:  global
        .offset:         104
        .size:           8
        .value_kind:     global_buffer
      - .actual_access:  read_only
        .address_space:  global
        .offset:         112
        .size:           8
        .value_kind:     global_buffer
      - .actual_access:  read_only
        .address_space:  global
        .offset:         120
        .size:           8
        .value_kind:     global_buffer
      - .actual_access:  write_only
        .address_space:  global
        .offset:         128
        .size:           8
        .value_kind:     global_buffer
      - .offset:         136
        .size:           4
        .value_kind:     by_value
      - .offset:         140
        .size:           4
        .value_kind:     by_value
      - .offset:         144
        .size:           4
        .value_kind:     by_value
      - .offset:         148
        .size:           4
        .value_kind:     by_value
      - .offset:         152
        .size:           1
        .value_kind:     by_value
      - .offset:         153
        .size:           1
        .value_kind:     by_value
      - .offset:         154
        .size:           1
        .value_kind:     by_value
    .group_segment_fixed_size: 0
    .kernarg_segment_align: 8
    .kernarg_segment_size: 156
    .language:       OpenCL C
    .language_version:
      - 2
      - 0
    .max_flat_workgroup_size: 512
    .name:           _ZN9rocsparseL41csrgemm_numeric_fill_block_per_row_kernelILj512ELj32ELj1024ELj137ELj64Eii21rocsparse_complex_numIfEEEvT5_PKS3_S5_NS_24const_host_device_scalarIT6_EEPKT4_S5_PKS7_SB_S5_SD_S8_SB_S5_SD_SB_S5_PS7_21rocsparse_index_base_SF_SF_SF_bbb
    .private_segment_fixed_size: 0
    .sgpr_count:     44
    .sgpr_spill_count: 0
    .symbol:         _ZN9rocsparseL41csrgemm_numeric_fill_block_per_row_kernelILj512ELj32ELj1024ELj137ELj64Eii21rocsparse_complex_numIfEEEvT5_PKS3_S5_NS_24const_host_device_scalarIT6_EEPKT4_S5_PKS7_SB_S5_SD_S8_SB_S5_SD_SB_S5_PS7_21rocsparse_index_base_SF_SF_SF_bbb.kd
    .uniform_work_group_size: 1
    .uses_dynamic_stack: false
    .vgpr_count:     22
    .vgpr_spill_count: 0
    .wavefront_size: 32
  - .args:
      - .offset:         0
        .size:           4
        .value_kind:     by_value
      - .actual_access:  read_only
        .address_space:  global
        .offset:         8
        .size:           8
        .value_kind:     global_buffer
      - .actual_access:  read_only
        .address_space:  global
        .offset:         16
        .size:           8
        .value_kind:     global_buffer
      - .offset:         24
        .size:           8
        .value_kind:     by_value
      - .actual_access:  read_only
        .address_space:  global
        .offset:         32
        .size:           8
        .value_kind:     global_buffer
      - .actual_access:  read_only
        .address_space:  global
        .offset:         40
        .size:           8
        .value_kind:     global_buffer
      - .actual_access:  read_only
        .address_space:  global
        .offset:         48
        .size:           8
        .value_kind:     global_buffer
      - .actual_access:  read_only
        .address_space:  global
        .offset:         56
        .size:           8
        .value_kind:     global_buffer
      - .actual_access:  read_only
        .address_space:  global
        .offset:         64
        .size:           8
        .value_kind:     global_buffer
      - .actual_access:  read_only
        .address_space:  global
        .offset:         72
        .size:           8
        .value_kind:     global_buffer
      - .offset:         80
        .size:           8
        .value_kind:     by_value
      - .actual_access:  read_only
        .address_space:  global
        .offset:         88
        .size:           8
        .value_kind:     global_buffer
      - .actual_access:  read_only
        .address_space:  global
        .offset:         96
        .size:           8
        .value_kind:     global_buffer
      - .actual_access:  read_only
        .address_space:  global
        .offset:         104
        .size:           8
        .value_kind:     global_buffer
      - .actual_access:  read_only
        .address_space:  global
        .offset:         112
        .size:           8
        .value_kind:     global_buffer
      - .actual_access:  read_only
        .address_space:  global
        .offset:         120
        .size:           8
        .value_kind:     global_buffer
      - .actual_access:  write_only
        .address_space:  global
        .offset:         128
        .size:           8
        .value_kind:     global_buffer
      - .offset:         136
        .size:           4
        .value_kind:     by_value
      - .offset:         140
        .size:           4
        .value_kind:     by_value
      - .offset:         144
        .size:           4
        .value_kind:     by_value
      - .offset:         148
        .size:           4
        .value_kind:     by_value
      - .offset:         152
        .size:           1
        .value_kind:     by_value
      - .offset:         153
        .size:           1
        .value_kind:     by_value
      - .offset:         154
        .size:           1
        .value_kind:     by_value
    .group_segment_fixed_size: 0
    .kernarg_segment_align: 8
    .kernarg_segment_size: 156
    .language:       OpenCL C
    .language_version:
      - 2
      - 0
    .max_flat_workgroup_size: 1024
    .name:           _ZN9rocsparseL41csrgemm_numeric_fill_block_per_row_kernelILj1024ELj32ELj2048ELj137ELj32Eii21rocsparse_complex_numIfEEEvT5_PKS3_S5_NS_24const_host_device_scalarIT6_EEPKT4_S5_PKS7_SB_S5_SD_S8_SB_S5_SD_SB_S5_PS7_21rocsparse_index_base_SF_SF_SF_bbb
    .private_segment_fixed_size: 0
    .sgpr_count:     46
    .sgpr_spill_count: 0
    .symbol:         _ZN9rocsparseL41csrgemm_numeric_fill_block_per_row_kernelILj1024ELj32ELj2048ELj137ELj32Eii21rocsparse_complex_numIfEEEvT5_PKS3_S5_NS_24const_host_device_scalarIT6_EEPKT4_S5_PKS7_SB_S5_SD_S8_SB_S5_SD_SB_S5_PS7_21rocsparse_index_base_SF_SF_SF_bbb.kd
    .uniform_work_group_size: 1
    .uses_dynamic_stack: false
    .vgpr_count:     22
    .vgpr_spill_count: 0
    .wavefront_size: 32
  - .args:
      - .offset:         0
        .size:           4
        .value_kind:     by_value
      - .actual_access:  read_only
        .address_space:  global
        .offset:         8
        .size:           8
        .value_kind:     global_buffer
      - .actual_access:  read_only
        .address_space:  global
        .offset:         16
        .size:           8
        .value_kind:     global_buffer
      - .offset:         24
        .size:           8
        .value_kind:     by_value
      - .actual_access:  read_only
        .address_space:  global
        .offset:         32
        .size:           8
        .value_kind:     global_buffer
      - .actual_access:  read_only
        .address_space:  global
        .offset:         40
        .size:           8
        .value_kind:     global_buffer
      - .actual_access:  read_only
        .address_space:  global
        .offset:         48
        .size:           8
        .value_kind:     global_buffer
      - .actual_access:  read_only
        .address_space:  global
        .offset:         56
        .size:           8
        .value_kind:     global_buffer
      - .actual_access:  read_only
        .address_space:  global
        .offset:         64
        .size:           8
        .value_kind:     global_buffer
      - .actual_access:  read_only
        .address_space:  global
        .offset:         72
        .size:           8
        .value_kind:     global_buffer
      - .offset:         80
        .size:           8
        .value_kind:     by_value
      - .actual_access:  read_only
        .address_space:  global
        .offset:         88
        .size:           8
        .value_kind:     global_buffer
      - .actual_access:  read_only
        .address_space:  global
        .offset:         96
        .size:           8
        .value_kind:     global_buffer
      - .actual_access:  read_only
        .address_space:  global
        .offset:         104
        .size:           8
        .value_kind:     global_buffer
      - .actual_access:  read_only
        .address_space:  global
        .offset:         112
        .size:           8
        .value_kind:     global_buffer
      - .actual_access:  read_only
        .address_space:  global
        .offset:         120
        .size:           8
        .value_kind:     global_buffer
      - .actual_access:  write_only
        .address_space:  global
        .offset:         128
        .size:           8
        .value_kind:     global_buffer
      - .offset:         136
        .size:           4
        .value_kind:     by_value
      - .offset:         140
        .size:           4
        .value_kind:     by_value
      - .offset:         144
        .size:           4
        .value_kind:     by_value
      - .offset:         148
        .size:           4
        .value_kind:     by_value
      - .offset:         152
        .size:           1
        .value_kind:     by_value
      - .offset:         153
        .size:           1
        .value_kind:     by_value
      - .offset:         154
        .size:           1
        .value_kind:     by_value
    .group_segment_fixed_size: 0
    .kernarg_segment_align: 8
    .kernarg_segment_size: 156
    .language:       OpenCL C
    .language_version:
      - 2
      - 0
    .max_flat_workgroup_size: 1024
    .name:           _ZN9rocsparseL41csrgemm_numeric_fill_block_per_row_kernelILj1024ELj32ELj2048ELj137ELj64Eii21rocsparse_complex_numIfEEEvT5_PKS3_S5_NS_24const_host_device_scalarIT6_EEPKT4_S5_PKS7_SB_S5_SD_S8_SB_S5_SD_SB_S5_PS7_21rocsparse_index_base_SF_SF_SF_bbb
    .private_segment_fixed_size: 0
    .sgpr_count:     44
    .sgpr_spill_count: 0
    .symbol:         _ZN9rocsparseL41csrgemm_numeric_fill_block_per_row_kernelILj1024ELj32ELj2048ELj137ELj64Eii21rocsparse_complex_numIfEEEvT5_PKS3_S5_NS_24const_host_device_scalarIT6_EEPKT4_S5_PKS7_SB_S5_SD_S8_SB_S5_SD_SB_S5_PS7_21rocsparse_index_base_SF_SF_SF_bbb.kd
    .uniform_work_group_size: 1
    .uses_dynamic_stack: false
    .vgpr_count:     22
    .vgpr_spill_count: 0
    .wavefront_size: 32
  - .args:
      - .offset:         0
        .size:           4
        .value_kind:     by_value
      - .actual_access:  read_only
        .address_space:  global
        .offset:         8
        .size:           8
        .value_kind:     global_buffer
      - .actual_access:  read_only
        .address_space:  global
        .offset:         16
        .size:           8
        .value_kind:     global_buffer
      - .offset:         24
        .size:           8
        .value_kind:     by_value
      - .actual_access:  read_only
        .address_space:  global
        .offset:         32
        .size:           8
        .value_kind:     global_buffer
      - .actual_access:  read_only
        .address_space:  global
        .offset:         40
        .size:           8
        .value_kind:     global_buffer
      - .actual_access:  read_only
        .address_space:  global
        .offset:         48
        .size:           8
        .value_kind:     global_buffer
      - .actual_access:  read_only
        .address_space:  global
        .offset:         56
        .size:           8
        .value_kind:     global_buffer
      - .actual_access:  read_only
        .address_space:  global
        .offset:         64
        .size:           8
        .value_kind:     global_buffer
      - .actual_access:  read_only
        .address_space:  global
        .offset:         72
        .size:           8
        .value_kind:     global_buffer
      - .offset:         80
        .size:           8
        .value_kind:     by_value
      - .actual_access:  read_only
        .address_space:  global
        .offset:         88
        .size:           8
        .value_kind:     global_buffer
      - .actual_access:  read_only
        .address_space:  global
        .offset:         96
        .size:           8
        .value_kind:     global_buffer
      - .actual_access:  read_only
        .address_space:  global
        .offset:         104
        .size:           8
        .value_kind:     global_buffer
      - .actual_access:  read_only
        .address_space:  global
        .offset:         112
        .size:           8
        .value_kind:     global_buffer
      - .actual_access:  read_only
        .address_space:  global
        .offset:         120
        .size:           8
        .value_kind:     global_buffer
      - .actual_access:  write_only
        .address_space:  global
        .offset:         128
        .size:           8
        .value_kind:     global_buffer
      - .offset:         136
        .size:           4
        .value_kind:     by_value
      - .offset:         140
        .size:           4
        .value_kind:     by_value
      - .offset:         144
        .size:           4
        .value_kind:     by_value
      - .offset:         148
        .size:           4
        .value_kind:     by_value
      - .offset:         152
        .size:           1
        .value_kind:     by_value
      - .offset:         153
        .size:           1
        .value_kind:     by_value
      - .offset:         154
        .size:           1
        .value_kind:     by_value
    .group_segment_fixed_size: 0
    .kernarg_segment_align: 8
    .kernarg_segment_size: 156
    .language:       OpenCL C
    .language_version:
      - 2
      - 0
    .max_flat_workgroup_size: 1024
    .name:           _ZN9rocsparseL41csrgemm_numeric_fill_block_per_row_kernelILj1024ELj64ELj4096ELj137ELj32Eii21rocsparse_complex_numIfEEEvT5_PKS3_S5_NS_24const_host_device_scalarIT6_EEPKT4_S5_PKS7_SB_S5_SD_S8_SB_S5_SD_SB_S5_PS7_21rocsparse_index_base_SF_SF_SF_bbb
    .private_segment_fixed_size: 0
    .sgpr_count:     46
    .sgpr_spill_count: 0
    .symbol:         _ZN9rocsparseL41csrgemm_numeric_fill_block_per_row_kernelILj1024ELj64ELj4096ELj137ELj32Eii21rocsparse_complex_numIfEEEvT5_PKS3_S5_NS_24const_host_device_scalarIT6_EEPKT4_S5_PKS7_SB_S5_SD_S8_SB_S5_SD_SB_S5_PS7_21rocsparse_index_base_SF_SF_SF_bbb.kd
    .uniform_work_group_size: 1
    .uses_dynamic_stack: false
    .vgpr_count:     22
    .vgpr_spill_count: 0
    .wavefront_size: 32
  - .args:
      - .offset:         0
        .size:           4
        .value_kind:     by_value
      - .actual_access:  read_only
        .address_space:  global
        .offset:         8
        .size:           8
        .value_kind:     global_buffer
      - .actual_access:  read_only
        .address_space:  global
        .offset:         16
        .size:           8
        .value_kind:     global_buffer
      - .offset:         24
        .size:           8
        .value_kind:     by_value
      - .actual_access:  read_only
        .address_space:  global
        .offset:         32
        .size:           8
        .value_kind:     global_buffer
      - .actual_access:  read_only
        .address_space:  global
        .offset:         40
        .size:           8
        .value_kind:     global_buffer
      - .actual_access:  read_only
        .address_space:  global
        .offset:         48
        .size:           8
        .value_kind:     global_buffer
      - .actual_access:  read_only
        .address_space:  global
        .offset:         56
        .size:           8
        .value_kind:     global_buffer
      - .actual_access:  read_only
        .address_space:  global
        .offset:         64
        .size:           8
        .value_kind:     global_buffer
      - .actual_access:  read_only
        .address_space:  global
        .offset:         72
        .size:           8
        .value_kind:     global_buffer
      - .offset:         80
        .size:           8
        .value_kind:     by_value
      - .actual_access:  read_only
        .address_space:  global
        .offset:         88
        .size:           8
        .value_kind:     global_buffer
      - .actual_access:  read_only
        .address_space:  global
        .offset:         96
        .size:           8
        .value_kind:     global_buffer
      - .actual_access:  read_only
        .address_space:  global
        .offset:         104
        .size:           8
        .value_kind:     global_buffer
      - .actual_access:  read_only
        .address_space:  global
        .offset:         112
        .size:           8
        .value_kind:     global_buffer
      - .actual_access:  read_only
        .address_space:  global
        .offset:         120
        .size:           8
        .value_kind:     global_buffer
      - .actual_access:  write_only
        .address_space:  global
        .offset:         128
        .size:           8
        .value_kind:     global_buffer
      - .offset:         136
        .size:           4
        .value_kind:     by_value
      - .offset:         140
        .size:           4
        .value_kind:     by_value
      - .offset:         144
        .size:           4
        .value_kind:     by_value
      - .offset:         148
        .size:           4
        .value_kind:     by_value
      - .offset:         152
        .size:           1
        .value_kind:     by_value
      - .offset:         153
        .size:           1
        .value_kind:     by_value
      - .offset:         154
        .size:           1
        .value_kind:     by_value
    .group_segment_fixed_size: 0
    .kernarg_segment_align: 8
    .kernarg_segment_size: 156
    .language:       OpenCL C
    .language_version:
      - 2
      - 0
    .max_flat_workgroup_size: 1024
    .name:           _ZN9rocsparseL41csrgemm_numeric_fill_block_per_row_kernelILj1024ELj64ELj4096ELj137ELj64Eii21rocsparse_complex_numIfEEEvT5_PKS3_S5_NS_24const_host_device_scalarIT6_EEPKT4_S5_PKS7_SB_S5_SD_S8_SB_S5_SD_SB_S5_PS7_21rocsparse_index_base_SF_SF_SF_bbb
    .private_segment_fixed_size: 0
    .sgpr_count:     44
    .sgpr_spill_count: 0
    .symbol:         _ZN9rocsparseL41csrgemm_numeric_fill_block_per_row_kernelILj1024ELj64ELj4096ELj137ELj64Eii21rocsparse_complex_numIfEEEvT5_PKS3_S5_NS_24const_host_device_scalarIT6_EEPKT4_S5_PKS7_SB_S5_SD_S8_SB_S5_SD_SB_S5_PS7_21rocsparse_index_base_SF_SF_SF_bbb.kd
    .uniform_work_group_size: 1
    .uses_dynamic_stack: false
    .vgpr_count:     22
    .vgpr_spill_count: 0
    .wavefront_size: 32
  - .args:
      - .offset:         0
        .size:           4
        .value_kind:     by_value
      - .actual_access:  read_only
        .address_space:  global
        .offset:         8
        .size:           8
        .value_kind:     global_buffer
      - .actual_access:  read_only
        .address_space:  global
        .offset:         16
        .size:           8
        .value_kind:     global_buffer
      - .offset:         24
        .size:           8
        .value_kind:     by_value
      - .actual_access:  read_only
        .address_space:  global
        .offset:         32
        .size:           8
        .value_kind:     global_buffer
      - .actual_access:  read_only
        .address_space:  global
        .offset:         40
        .size:           8
        .value_kind:     global_buffer
      - .actual_access:  read_only
        .address_space:  global
        .offset:         48
        .size:           8
        .value_kind:     global_buffer
      - .actual_access:  read_only
        .address_space:  global
        .offset:         56
        .size:           8
        .value_kind:     global_buffer
      - .actual_access:  read_only
        .address_space:  global
        .offset:         64
        .size:           8
        .value_kind:     global_buffer
      - .actual_access:  read_only
        .address_space:  global
        .offset:         72
        .size:           8
        .value_kind:     global_buffer
      - .offset:         80
        .size:           8
        .value_kind:     by_value
      - .actual_access:  read_only
        .address_space:  global
        .offset:         88
        .size:           8
        .value_kind:     global_buffer
      - .actual_access:  read_only
        .address_space:  global
        .offset:         96
        .size:           8
        .value_kind:     global_buffer
      - .actual_access:  read_only
        .address_space:  global
        .offset:         104
        .size:           8
        .value_kind:     global_buffer
      - .actual_access:  read_only
        .address_space:  global
        .offset:         112
        .size:           8
        .value_kind:     global_buffer
      - .actual_access:  read_only
        .address_space:  global
        .offset:         120
        .size:           8
        .value_kind:     global_buffer
      - .actual_access:  write_only
        .address_space:  global
        .offset:         128
        .size:           8
        .value_kind:     global_buffer
      - .offset:         136
        .size:           4
        .value_kind:     by_value
      - .offset:         140
        .size:           4
        .value_kind:     by_value
      - .offset:         144
        .size:           4
        .value_kind:     by_value
      - .offset:         148
        .size:           4
        .value_kind:     by_value
      - .offset:         152
        .size:           1
        .value_kind:     by_value
      - .offset:         153
        .size:           1
        .value_kind:     by_value
      - .offset:         154
        .size:           1
        .value_kind:     by_value
    .group_segment_fixed_size: 0
    .kernarg_segment_align: 8
    .kernarg_segment_size: 156
    .language:       OpenCL C
    .language_version:
      - 2
      - 0
    .max_flat_workgroup_size: 1024
    .name:           _ZN9rocsparseL41csrgemm_numeric_fill_block_per_row_kernelILj1024ELj64ELj8192ELj137ELj32Eii21rocsparse_complex_numIfEEEvT5_PKS3_S5_NS_24const_host_device_scalarIT6_EEPKT4_S5_PKS7_SB_S5_SD_S8_SB_S5_SD_SB_S5_PS7_21rocsparse_index_base_SF_SF_SF_bbb
    .private_segment_fixed_size: 0
    .sgpr_count:     76
    .sgpr_spill_count: 0
    .symbol:         _ZN9rocsparseL41csrgemm_numeric_fill_block_per_row_kernelILj1024ELj64ELj8192ELj137ELj32Eii21rocsparse_complex_numIfEEEvT5_PKS3_S5_NS_24const_host_device_scalarIT6_EEPKT4_S5_PKS7_SB_S5_SD_S8_SB_S5_SD_SB_S5_PS7_21rocsparse_index_base_SF_SF_SF_bbb.kd
    .uniform_work_group_size: 1
    .uses_dynamic_stack: false
    .vgpr_count:     22
    .vgpr_spill_count: 0
    .wavefront_size: 32
  - .args:
      - .offset:         0
        .size:           4
        .value_kind:     by_value
      - .actual_access:  read_only
        .address_space:  global
        .offset:         8
        .size:           8
        .value_kind:     global_buffer
      - .actual_access:  read_only
        .address_space:  global
        .offset:         16
        .size:           8
        .value_kind:     global_buffer
      - .offset:         24
        .size:           8
        .value_kind:     by_value
      - .actual_access:  read_only
        .address_space:  global
        .offset:         32
        .size:           8
        .value_kind:     global_buffer
      - .actual_access:  read_only
        .address_space:  global
        .offset:         40
        .size:           8
        .value_kind:     global_buffer
      - .actual_access:  read_only
        .address_space:  global
        .offset:         48
        .size:           8
        .value_kind:     global_buffer
      - .actual_access:  read_only
        .address_space:  global
        .offset:         56
        .size:           8
        .value_kind:     global_buffer
      - .actual_access:  read_only
        .address_space:  global
        .offset:         64
        .size:           8
        .value_kind:     global_buffer
      - .actual_access:  read_only
        .address_space:  global
        .offset:         72
        .size:           8
        .value_kind:     global_buffer
      - .offset:         80
        .size:           8
        .value_kind:     by_value
      - .actual_access:  read_only
        .address_space:  global
        .offset:         88
        .size:           8
        .value_kind:     global_buffer
      - .actual_access:  read_only
        .address_space:  global
        .offset:         96
        .size:           8
        .value_kind:     global_buffer
      - .actual_access:  read_only
        .address_space:  global
        .offset:         104
        .size:           8
        .value_kind:     global_buffer
      - .actual_access:  read_only
        .address_space:  global
        .offset:         112
        .size:           8
        .value_kind:     global_buffer
      - .actual_access:  read_only
        .address_space:  global
        .offset:         120
        .size:           8
        .value_kind:     global_buffer
      - .actual_access:  write_only
        .address_space:  global
        .offset:         128
        .size:           8
        .value_kind:     global_buffer
      - .offset:         136
        .size:           4
        .value_kind:     by_value
      - .offset:         140
        .size:           4
        .value_kind:     by_value
      - .offset:         144
        .size:           4
        .value_kind:     by_value
      - .offset:         148
        .size:           4
        .value_kind:     by_value
      - .offset:         152
        .size:           1
        .value_kind:     by_value
      - .offset:         153
        .size:           1
        .value_kind:     by_value
      - .offset:         154
        .size:           1
        .value_kind:     by_value
    .group_segment_fixed_size: 0
    .kernarg_segment_align: 8
    .kernarg_segment_size: 156
    .language:       OpenCL C
    .language_version:
      - 2
      - 0
    .max_flat_workgroup_size: 1024
    .name:           _ZN9rocsparseL41csrgemm_numeric_fill_block_per_row_kernelILj1024ELj64ELj8192ELj137ELj64Eii21rocsparse_complex_numIfEEEvT5_PKS3_S5_NS_24const_host_device_scalarIT6_EEPKT4_S5_PKS7_SB_S5_SD_S8_SB_S5_SD_SB_S5_PS7_21rocsparse_index_base_SF_SF_SF_bbb
    .private_segment_fixed_size: 0
    .sgpr_count:     44
    .sgpr_spill_count: 0
    .symbol:         _ZN9rocsparseL41csrgemm_numeric_fill_block_per_row_kernelILj1024ELj64ELj8192ELj137ELj64Eii21rocsparse_complex_numIfEEEvT5_PKS3_S5_NS_24const_host_device_scalarIT6_EEPKT4_S5_PKS7_SB_S5_SD_S8_SB_S5_SD_SB_S5_PS7_21rocsparse_index_base_SF_SF_SF_bbb.kd
    .uniform_work_group_size: 1
    .uses_dynamic_stack: false
    .vgpr_count:     22
    .vgpr_spill_count: 0
    .wavefront_size: 32
  - .args:
      - .offset:         0
        .size:           4
        .value_kind:     by_value
      - .actual_access:  read_only
        .address_space:  global
        .offset:         8
        .size:           8
        .value_kind:     global_buffer
      - .actual_access:  read_only
        .address_space:  global
        .offset:         16
        .size:           8
        .value_kind:     global_buffer
      - .offset:         24
        .size:           8
        .value_kind:     by_value
      - .actual_access:  read_only
        .address_space:  global
        .offset:         32
        .size:           8
        .value_kind:     global_buffer
      - .actual_access:  read_only
        .address_space:  global
        .offset:         40
        .size:           8
        .value_kind:     global_buffer
      - .actual_access:  read_only
        .address_space:  global
        .offset:         48
        .size:           8
        .value_kind:     global_buffer
      - .actual_access:  read_only
        .address_space:  global
        .offset:         56
        .size:           8
        .value_kind:     global_buffer
      - .actual_access:  read_only
        .address_space:  global
        .offset:         64
        .size:           8
        .value_kind:     global_buffer
      - .actual_access:  read_only
        .address_space:  global
        .offset:         72
        .size:           8
        .value_kind:     global_buffer
      - .offset:         80
        .size:           8
        .value_kind:     by_value
      - .actual_access:  read_only
        .address_space:  global
        .offset:         88
        .size:           8
        .value_kind:     global_buffer
      - .actual_access:  read_only
        .address_space:  global
        .offset:         96
        .size:           8
        .value_kind:     global_buffer
      - .actual_access:  read_only
        .address_space:  global
        .offset:         104
        .size:           8
        .value_kind:     global_buffer
      - .actual_access:  read_only
        .address_space:  global
        .offset:         112
        .size:           8
        .value_kind:     global_buffer
      - .actual_access:  read_only
        .address_space:  global
        .offset:         120
        .size:           8
        .value_kind:     global_buffer
      - .actual_access:  write_only
        .address_space:  global
        .offset:         128
        .size:           8
        .value_kind:     global_buffer
      - .offset:         136
        .size:           4
        .value_kind:     by_value
      - .offset:         140
        .size:           4
        .value_kind:     by_value
      - .offset:         144
        .size:           4
        .value_kind:     by_value
      - .offset:         148
        .size:           4
        .value_kind:     by_value
      - .offset:         152
        .size:           1
        .value_kind:     by_value
      - .offset:         153
        .size:           1
        .value_kind:     by_value
      - .offset:         154
        .size:           1
        .value_kind:     by_value
    .group_segment_fixed_size: 0
    .kernarg_segment_align: 8
    .kernarg_segment_size: 156
    .language:       OpenCL C
    .language_version:
      - 2
      - 0
    .max_flat_workgroup_size: 1024
    .name:           _ZN9rocsparseL41csrgemm_numeric_fill_block_per_row_kernelILj1024ELj64ELj16384ELj137ELj32Eii21rocsparse_complex_numIfEEEvT5_PKS3_S5_NS_24const_host_device_scalarIT6_EEPKT4_S5_PKS7_SB_S5_SD_S8_SB_S5_SD_SB_S5_PS7_21rocsparse_index_base_SF_SF_SF_bbb
    .private_segment_fixed_size: 0
    .sgpr_count:     76
    .sgpr_spill_count: 0
    .symbol:         _ZN9rocsparseL41csrgemm_numeric_fill_block_per_row_kernelILj1024ELj64ELj16384ELj137ELj32Eii21rocsparse_complex_numIfEEEvT5_PKS3_S5_NS_24const_host_device_scalarIT6_EEPKT4_S5_PKS7_SB_S5_SD_S8_SB_S5_SD_SB_S5_PS7_21rocsparse_index_base_SF_SF_SF_bbb.kd
    .uniform_work_group_size: 1
    .uses_dynamic_stack: false
    .vgpr_count:     22
    .vgpr_spill_count: 0
    .wavefront_size: 32
  - .args:
      - .offset:         0
        .size:           4
        .value_kind:     by_value
      - .actual_access:  read_only
        .address_space:  global
        .offset:         8
        .size:           8
        .value_kind:     global_buffer
      - .actual_access:  read_only
        .address_space:  global
        .offset:         16
        .size:           8
        .value_kind:     global_buffer
      - .offset:         24
        .size:           8
        .value_kind:     by_value
      - .actual_access:  read_only
        .address_space:  global
        .offset:         32
        .size:           8
        .value_kind:     global_buffer
      - .actual_access:  read_only
        .address_space:  global
        .offset:         40
        .size:           8
        .value_kind:     global_buffer
      - .actual_access:  read_only
        .address_space:  global
        .offset:         48
        .size:           8
        .value_kind:     global_buffer
      - .actual_access:  read_only
        .address_space:  global
        .offset:         56
        .size:           8
        .value_kind:     global_buffer
      - .actual_access:  read_only
        .address_space:  global
        .offset:         64
        .size:           8
        .value_kind:     global_buffer
      - .actual_access:  read_only
        .address_space:  global
        .offset:         72
        .size:           8
        .value_kind:     global_buffer
      - .offset:         80
        .size:           8
        .value_kind:     by_value
      - .actual_access:  read_only
        .address_space:  global
        .offset:         88
        .size:           8
        .value_kind:     global_buffer
      - .actual_access:  read_only
        .address_space:  global
        .offset:         96
        .size:           8
        .value_kind:     global_buffer
      - .actual_access:  read_only
        .address_space:  global
        .offset:         104
        .size:           8
        .value_kind:     global_buffer
      - .actual_access:  read_only
        .address_space:  global
        .offset:         112
        .size:           8
        .value_kind:     global_buffer
      - .actual_access:  read_only
        .address_space:  global
        .offset:         120
        .size:           8
        .value_kind:     global_buffer
      - .actual_access:  write_only
        .address_space:  global
        .offset:         128
        .size:           8
        .value_kind:     global_buffer
      - .offset:         136
        .size:           4
        .value_kind:     by_value
      - .offset:         140
        .size:           4
        .value_kind:     by_value
      - .offset:         144
        .size:           4
        .value_kind:     by_value
      - .offset:         148
        .size:           4
        .value_kind:     by_value
      - .offset:         152
        .size:           1
        .value_kind:     by_value
      - .offset:         153
        .size:           1
        .value_kind:     by_value
      - .offset:         154
        .size:           1
        .value_kind:     by_value
    .group_segment_fixed_size: 0
    .kernarg_segment_align: 8
    .kernarg_segment_size: 156
    .language:       OpenCL C
    .language_version:
      - 2
      - 0
    .max_flat_workgroup_size: 1024
    .name:           _ZN9rocsparseL41csrgemm_numeric_fill_block_per_row_kernelILj1024ELj64ELj16384ELj137ELj64Eii21rocsparse_complex_numIfEEEvT5_PKS3_S5_NS_24const_host_device_scalarIT6_EEPKT4_S5_PKS7_SB_S5_SD_S8_SB_S5_SD_SB_S5_PS7_21rocsparse_index_base_SF_SF_SF_bbb
    .private_segment_fixed_size: 0
    .sgpr_count:     44
    .sgpr_spill_count: 0
    .symbol:         _ZN9rocsparseL41csrgemm_numeric_fill_block_per_row_kernelILj1024ELj64ELj16384ELj137ELj64Eii21rocsparse_complex_numIfEEEvT5_PKS3_S5_NS_24const_host_device_scalarIT6_EEPKT4_S5_PKS7_SB_S5_SD_S8_SB_S5_SD_SB_S5_PS7_21rocsparse_index_base_SF_SF_SF_bbb.kd
    .uniform_work_group_size: 1
    .uses_dynamic_stack: false
    .vgpr_count:     22
    .vgpr_spill_count: 0
    .wavefront_size: 32
  - .args:
      - .offset:         0
        .size:           4
        .value_kind:     by_value
      - .actual_access:  read_only
        .address_space:  global
        .offset:         8
        .size:           8
        .value_kind:     global_buffer
      - .actual_access:  read_only
        .address_space:  global
        .offset:         16
        .size:           8
        .value_kind:     global_buffer
      - .offset:         24
        .size:           8
        .value_kind:     by_value
      - .actual_access:  read_only
        .address_space:  global
        .offset:         32
        .size:           8
        .value_kind:     global_buffer
      - .actual_access:  read_only
        .address_space:  global
        .offset:         40
        .size:           8
        .value_kind:     global_buffer
      - .actual_access:  read_only
        .address_space:  global
        .offset:         48
        .size:           8
        .value_kind:     global_buffer
      - .actual_access:  read_only
        .address_space:  global
        .offset:         56
        .size:           8
        .value_kind:     global_buffer
      - .actual_access:  read_only
        .address_space:  global
        .offset:         64
        .size:           8
        .value_kind:     global_buffer
      - .actual_access:  read_only
        .address_space:  global
        .offset:         72
        .size:           8
        .value_kind:     global_buffer
      - .offset:         80
        .size:           8
        .value_kind:     by_value
      - .actual_access:  read_only
        .address_space:  global
        .offset:         88
        .size:           8
        .value_kind:     global_buffer
      - .actual_access:  read_only
        .address_space:  global
        .offset:         96
        .size:           8
        .value_kind:     global_buffer
      - .actual_access:  read_only
        .address_space:  global
        .offset:         104
        .size:           8
        .value_kind:     global_buffer
      - .actual_access:  read_only
        .address_space:  global
        .offset:         112
        .size:           8
        .value_kind:     global_buffer
      - .actual_access:  read_only
        .address_space:  global
        .offset:         120
        .size:           8
        .value_kind:     global_buffer
      - .actual_access:  write_only
        .address_space:  global
        .offset:         128
        .size:           8
        .value_kind:     global_buffer
      - .offset:         136
        .size:           4
        .value_kind:     by_value
      - .offset:         140
        .size:           4
        .value_kind:     by_value
      - .offset:         144
        .size:           4
        .value_kind:     by_value
      - .offset:         148
        .size:           4
        .value_kind:     by_value
      - .offset:         152
        .size:           1
        .value_kind:     by_value
      - .offset:         153
        .size:           1
        .value_kind:     by_value
      - .offset:         154
        .size:           1
        .value_kind:     by_value
    .group_segment_fixed_size: 0
    .kernarg_segment_align: 8
    .kernarg_segment_size: 156
    .language:       OpenCL C
    .language_version:
      - 2
      - 0
    .max_flat_workgroup_size: 1024
    .name:           _ZN9rocsparseL41csrgemm_numeric_fill_block_per_row_kernelILj1024ELj64ELj32768ELj137ELj32Eii21rocsparse_complex_numIfEEEvT5_PKS3_S5_NS_24const_host_device_scalarIT6_EEPKT4_S5_PKS7_SB_S5_SD_S8_SB_S5_SD_SB_S5_PS7_21rocsparse_index_base_SF_SF_SF_bbb
    .private_segment_fixed_size: 0
    .sgpr_count:     76
    .sgpr_spill_count: 0
    .symbol:         _ZN9rocsparseL41csrgemm_numeric_fill_block_per_row_kernelILj1024ELj64ELj32768ELj137ELj32Eii21rocsparse_complex_numIfEEEvT5_PKS3_S5_NS_24const_host_device_scalarIT6_EEPKT4_S5_PKS7_SB_S5_SD_S8_SB_S5_SD_SB_S5_PS7_21rocsparse_index_base_SF_SF_SF_bbb.kd
    .uniform_work_group_size: 1
    .uses_dynamic_stack: false
    .vgpr_count:     22
    .vgpr_spill_count: 0
    .wavefront_size: 32
  - .args:
      - .offset:         0
        .size:           4
        .value_kind:     by_value
      - .actual_access:  read_only
        .address_space:  global
        .offset:         8
        .size:           8
        .value_kind:     global_buffer
      - .actual_access:  read_only
        .address_space:  global
        .offset:         16
        .size:           8
        .value_kind:     global_buffer
      - .offset:         24
        .size:           8
        .value_kind:     by_value
      - .actual_access:  read_only
        .address_space:  global
        .offset:         32
        .size:           8
        .value_kind:     global_buffer
      - .actual_access:  read_only
        .address_space:  global
        .offset:         40
        .size:           8
        .value_kind:     global_buffer
      - .actual_access:  read_only
        .address_space:  global
        .offset:         48
        .size:           8
        .value_kind:     global_buffer
      - .actual_access:  read_only
        .address_space:  global
        .offset:         56
        .size:           8
        .value_kind:     global_buffer
      - .actual_access:  read_only
        .address_space:  global
        .offset:         64
        .size:           8
        .value_kind:     global_buffer
      - .actual_access:  read_only
        .address_space:  global
        .offset:         72
        .size:           8
        .value_kind:     global_buffer
      - .offset:         80
        .size:           8
        .value_kind:     by_value
      - .actual_access:  read_only
        .address_space:  global
        .offset:         88
        .size:           8
        .value_kind:     global_buffer
      - .actual_access:  read_only
        .address_space:  global
        .offset:         96
        .size:           8
        .value_kind:     global_buffer
      - .actual_access:  read_only
        .address_space:  global
        .offset:         104
        .size:           8
        .value_kind:     global_buffer
      - .actual_access:  read_only
        .address_space:  global
        .offset:         112
        .size:           8
        .value_kind:     global_buffer
      - .actual_access:  read_only
        .address_space:  global
        .offset:         120
        .size:           8
        .value_kind:     global_buffer
      - .actual_access:  write_only
        .address_space:  global
        .offset:         128
        .size:           8
        .value_kind:     global_buffer
      - .offset:         136
        .size:           4
        .value_kind:     by_value
      - .offset:         140
        .size:           4
        .value_kind:     by_value
      - .offset:         144
        .size:           4
        .value_kind:     by_value
      - .offset:         148
        .size:           4
        .value_kind:     by_value
      - .offset:         152
        .size:           1
        .value_kind:     by_value
      - .offset:         153
        .size:           1
        .value_kind:     by_value
      - .offset:         154
        .size:           1
        .value_kind:     by_value
    .group_segment_fixed_size: 0
    .kernarg_segment_align: 8
    .kernarg_segment_size: 156
    .language:       OpenCL C
    .language_version:
      - 2
      - 0
    .max_flat_workgroup_size: 1024
    .name:           _ZN9rocsparseL41csrgemm_numeric_fill_block_per_row_kernelILj1024ELj64ELj32768ELj137ELj64Eii21rocsparse_complex_numIfEEEvT5_PKS3_S5_NS_24const_host_device_scalarIT6_EEPKT4_S5_PKS7_SB_S5_SD_S8_SB_S5_SD_SB_S5_PS7_21rocsparse_index_base_SF_SF_SF_bbb
    .private_segment_fixed_size: 0
    .sgpr_count:     44
    .sgpr_spill_count: 0
    .symbol:         _ZN9rocsparseL41csrgemm_numeric_fill_block_per_row_kernelILj1024ELj64ELj32768ELj137ELj64Eii21rocsparse_complex_numIfEEEvT5_PKS3_S5_NS_24const_host_device_scalarIT6_EEPKT4_S5_PKS7_SB_S5_SD_S8_SB_S5_SD_SB_S5_PS7_21rocsparse_index_base_SF_SF_SF_bbb.kd
    .uniform_work_group_size: 1
    .uses_dynamic_stack: false
    .vgpr_count:     22
    .vgpr_spill_count: 0
    .wavefront_size: 32
  - .args:
      - .offset:         0
        .size:           4
        .value_kind:     by_value
      - .actual_access:  read_only
        .address_space:  global
        .offset:         8
        .size:           8
        .value_kind:     global_buffer
      - .actual_access:  read_only
        .address_space:  global
        .offset:         16
        .size:           8
        .value_kind:     global_buffer
      - .offset:         24
        .size:           8
        .value_kind:     by_value
      - .actual_access:  read_only
        .address_space:  global
        .offset:         32
        .size:           8
        .value_kind:     global_buffer
      - .actual_access:  read_only
        .address_space:  global
        .offset:         40
        .size:           8
        .value_kind:     global_buffer
      - .actual_access:  read_only
        .address_space:  global
        .offset:         48
        .size:           8
        .value_kind:     global_buffer
      - .actual_access:  read_only
        .address_space:  global
        .offset:         56
        .size:           8
        .value_kind:     global_buffer
      - .actual_access:  read_only
        .address_space:  global
        .offset:         64
        .size:           8
        .value_kind:     global_buffer
      - .actual_access:  read_only
        .address_space:  global
        .offset:         72
        .size:           8
        .value_kind:     global_buffer
      - .offset:         80
        .size:           8
        .value_kind:     by_value
      - .actual_access:  read_only
        .address_space:  global
        .offset:         88
        .size:           8
        .value_kind:     global_buffer
      - .actual_access:  read_only
        .address_space:  global
        .offset:         96
        .size:           8
        .value_kind:     global_buffer
      - .actual_access:  read_only
        .address_space:  global
        .offset:         104
        .size:           8
        .value_kind:     global_buffer
      - .actual_access:  read_only
        .address_space:  global
        .offset:         112
        .size:           8
        .value_kind:     global_buffer
      - .actual_access:  read_only
        .address_space:  global
        .offset:         120
        .size:           8
        .value_kind:     global_buffer
      - .actual_access:  write_only
        .address_space:  global
        .offset:         128
        .size:           8
        .value_kind:     global_buffer
      - .address_space:  global
        .offset:         136
        .size:           8
        .value_kind:     global_buffer
      - .offset:         144
        .size:           4
        .value_kind:     by_value
      - .offset:         148
        .size:           4
        .value_kind:     by_value
      - .offset:         152
        .size:           4
        .value_kind:     by_value
      - .offset:         156
        .size:           4
        .value_kind:     by_value
      - .offset:         160
        .size:           1
        .value_kind:     by_value
      - .offset:         161
        .size:           1
        .value_kind:     by_value
      - .offset:         162
        .size:           1
        .value_kind:     by_value
    .group_segment_fixed_size: 18436
    .kernarg_segment_align: 8
    .kernarg_segment_size: 164
    .language:       OpenCL C
    .language_version:
      - 2
      - 0
    .max_flat_workgroup_size: 512
    .name:           _ZN9rocsparseL51csrgemm_numeric_fill_block_per_row_multipass_kernelILj512ELj16ELj2048ELj32Eii21rocsparse_complex_numIfEEEvT4_PKS3_S5_NS_24const_host_device_scalarIT5_EEPKT3_S5_PKS7_SB_S5_SD_S8_SB_S5_SD_SB_S5_PS7_PS9_21rocsparse_index_base_SG_SG_SG_bbb
    .private_segment_fixed_size: 0
    .sgpr_count:     62
    .sgpr_spill_count: 0
    .symbol:         _ZN9rocsparseL51csrgemm_numeric_fill_block_per_row_multipass_kernelILj512ELj16ELj2048ELj32Eii21rocsparse_complex_numIfEEEvT4_PKS3_S5_NS_24const_host_device_scalarIT5_EEPKT3_S5_PKS7_SB_S5_SD_S8_SB_S5_SD_SB_S5_PS7_PS9_21rocsparse_index_base_SG_SG_SG_bbb.kd
    .uniform_work_group_size: 1
    .uses_dynamic_stack: false
    .vgpr_count:     36
    .vgpr_spill_count: 0
    .wavefront_size: 32
  - .args:
      - .offset:         0
        .size:           4
        .value_kind:     by_value
      - .actual_access:  read_only
        .address_space:  global
        .offset:         8
        .size:           8
        .value_kind:     global_buffer
      - .actual_access:  read_only
        .address_space:  global
        .offset:         16
        .size:           8
        .value_kind:     global_buffer
      - .offset:         24
        .size:           8
        .value_kind:     by_value
      - .actual_access:  read_only
        .address_space:  global
        .offset:         32
        .size:           8
        .value_kind:     global_buffer
      - .actual_access:  read_only
        .address_space:  global
        .offset:         40
        .size:           8
        .value_kind:     global_buffer
      - .actual_access:  read_only
        .address_space:  global
        .offset:         48
        .size:           8
        .value_kind:     global_buffer
      - .actual_access:  read_only
        .address_space:  global
        .offset:         56
        .size:           8
        .value_kind:     global_buffer
      - .actual_access:  read_only
        .address_space:  global
        .offset:         64
        .size:           8
        .value_kind:     global_buffer
      - .actual_access:  read_only
        .address_space:  global
        .offset:         72
        .size:           8
        .value_kind:     global_buffer
      - .offset:         80
        .size:           8
        .value_kind:     by_value
      - .actual_access:  read_only
        .address_space:  global
        .offset:         88
        .size:           8
        .value_kind:     global_buffer
      - .actual_access:  read_only
        .address_space:  global
        .offset:         96
        .size:           8
        .value_kind:     global_buffer
      - .actual_access:  read_only
        .address_space:  global
        .offset:         104
        .size:           8
        .value_kind:     global_buffer
      - .actual_access:  read_only
        .address_space:  global
        .offset:         112
        .size:           8
        .value_kind:     global_buffer
      - .actual_access:  read_only
        .address_space:  global
        .offset:         120
        .size:           8
        .value_kind:     global_buffer
      - .actual_access:  write_only
        .address_space:  global
        .offset:         128
        .size:           8
        .value_kind:     global_buffer
      - .address_space:  global
        .offset:         136
        .size:           8
        .value_kind:     global_buffer
      - .offset:         144
        .size:           4
        .value_kind:     by_value
      - .offset:         148
        .size:           4
        .value_kind:     by_value
      - .offset:         152
        .size:           4
        .value_kind:     by_value
      - .offset:         156
        .size:           4
        .value_kind:     by_value
      - .offset:         160
        .size:           1
        .value_kind:     by_value
      - .offset:         161
        .size:           1
        .value_kind:     by_value
      - .offset:         162
        .size:           1
        .value_kind:     by_value
    .group_segment_fixed_size: 18436
    .kernarg_segment_align: 8
    .kernarg_segment_size: 164
    .language:       OpenCL C
    .language_version:
      - 2
      - 0
    .max_flat_workgroup_size: 512
    .name:           _ZN9rocsparseL51csrgemm_numeric_fill_block_per_row_multipass_kernelILj512ELj16ELj2048ELj64Eii21rocsparse_complex_numIfEEEvT4_PKS3_S5_NS_24const_host_device_scalarIT5_EEPKT3_S5_PKS7_SB_S5_SD_S8_SB_S5_SD_SB_S5_PS7_PS9_21rocsparse_index_base_SG_SG_SG_bbb
    .private_segment_fixed_size: 0
    .sgpr_count:     54
    .sgpr_spill_count: 0
    .symbol:         _ZN9rocsparseL51csrgemm_numeric_fill_block_per_row_multipass_kernelILj512ELj16ELj2048ELj64Eii21rocsparse_complex_numIfEEEvT4_PKS3_S5_NS_24const_host_device_scalarIT5_EEPKT3_S5_PKS7_SB_S5_SD_S8_SB_S5_SD_SB_S5_PS7_PS9_21rocsparse_index_base_SG_SG_SG_bbb.kd
    .uniform_work_group_size: 1
    .uses_dynamic_stack: false
    .vgpr_count:     33
    .vgpr_spill_count: 0
    .wavefront_size: 32
  - .args:
      - .offset:         0
        .size:           4
        .value_kind:     by_value
      - .offset:         4
        .size:           4
        .value_kind:     by_value
      - .actual_access:  read_only
        .address_space:  global
        .offset:         8
        .size:           8
        .value_kind:     global_buffer
      - .actual_access:  read_only
        .address_space:  global
        .offset:         16
        .size:           8
        .value_kind:     global_buffer
      - .offset:         24
        .size:           16
        .value_kind:     by_value
      - .actual_access:  read_only
        .address_space:  global
        .offset:         40
        .size:           8
        .value_kind:     global_buffer
      - .actual_access:  read_only
        .address_space:  global
        .offset:         48
        .size:           8
        .value_kind:     global_buffer
      - .actual_access:  read_only
        .address_space:  global
        .offset:         56
        .size:           8
        .value_kind:     global_buffer
      - .actual_access:  read_only
        .address_space:  global
        .offset:         64
        .size:           8
        .value_kind:     global_buffer
      - .actual_access:  read_only
        .address_space:  global
        .offset:         72
        .size:           8
        .value_kind:     global_buffer
      - .actual_access:  read_only
        .address_space:  global
        .offset:         80
        .size:           8
        .value_kind:     global_buffer
      - .offset:         88
        .size:           16
        .value_kind:     by_value
      - .actual_access:  read_only
        .address_space:  global
        .offset:         104
        .size:           8
        .value_kind:     global_buffer
      - .actual_access:  read_only
        .address_space:  global
        .offset:         112
        .size:           8
        .value_kind:     global_buffer
      - .actual_access:  read_only
        .address_space:  global
        .offset:         120
        .size:           8
        .value_kind:     global_buffer
      - .actual_access:  read_only
        .address_space:  global
        .offset:         128
        .size:           8
        .value_kind:     global_buffer
      - .actual_access:  read_only
        .address_space:  global
        .offset:         136
        .size:           8
        .value_kind:     global_buffer
      - .actual_access:  write_only
        .address_space:  global
        .offset:         144
        .size:           8
        .value_kind:     global_buffer
      - .offset:         152
        .size:           4
        .value_kind:     by_value
      - .offset:         156
        .size:           4
        .value_kind:     by_value
      - .offset:         160
        .size:           4
        .value_kind:     by_value
      - .offset:         164
        .size:           4
        .value_kind:     by_value
      - .offset:         168
        .size:           1
        .value_kind:     by_value
      - .offset:         169
        .size:           1
        .value_kind:     by_value
      - .offset:         170
        .size:           1
        .value_kind:     by_value
    .group_segment_fixed_size: 10240
    .kernarg_segment_align: 8
    .kernarg_segment_size: 172
    .language:       OpenCL C
    .language_version:
      - 2
      - 0
    .max_flat_workgroup_size: 256
    .name:           _ZN9rocsparseL38csrgemm_numeric_fill_wf_per_row_kernelILj256ELj8ELj16ELj137Eii21rocsparse_complex_numIdEEEvT4_S3_PKS3_S5_NS_24const_host_device_scalarIT5_EEPKT3_S5_PKS7_SB_S5_SD_S8_SB_S5_SD_SB_S5_PS7_21rocsparse_index_base_SF_SF_SF_bbb
    .private_segment_fixed_size: 24
    .sgpr_count:     40
    .sgpr_spill_count: 0
    .symbol:         _ZN9rocsparseL38csrgemm_numeric_fill_wf_per_row_kernelILj256ELj8ELj16ELj137Eii21rocsparse_complex_numIdEEEvT4_S3_PKS3_S5_NS_24const_host_device_scalarIT5_EEPKT3_S5_PKS7_SB_S5_SD_S8_SB_S5_SD_SB_S5_PS7_21rocsparse_index_base_SF_SF_SF_bbb.kd
    .uniform_work_group_size: 1
    .uses_dynamic_stack: false
    .vgpr_count:     32
    .vgpr_spill_count: 0
    .wavefront_size: 32
  - .args:
      - .offset:         0
        .size:           4
        .value_kind:     by_value
      - .offset:         4
        .size:           4
        .value_kind:     by_value
      - .actual_access:  read_only
        .address_space:  global
        .offset:         8
        .size:           8
        .value_kind:     global_buffer
      - .actual_access:  read_only
        .address_space:  global
        .offset:         16
        .size:           8
        .value_kind:     global_buffer
      - .offset:         24
        .size:           16
        .value_kind:     by_value
      - .actual_access:  read_only
        .address_space:  global
        .offset:         40
        .size:           8
        .value_kind:     global_buffer
      - .actual_access:  read_only
        .address_space:  global
        .offset:         48
        .size:           8
        .value_kind:     global_buffer
      - .actual_access:  read_only
        .address_space:  global
        .offset:         56
        .size:           8
        .value_kind:     global_buffer
      - .actual_access:  read_only
        .address_space:  global
        .offset:         64
        .size:           8
        .value_kind:     global_buffer
      - .actual_access:  read_only
        .address_space:  global
        .offset:         72
        .size:           8
        .value_kind:     global_buffer
      - .actual_access:  read_only
        .address_space:  global
        .offset:         80
        .size:           8
        .value_kind:     global_buffer
      - .offset:         88
        .size:           16
        .value_kind:     by_value
      - .actual_access:  read_only
        .address_space:  global
        .offset:         104
        .size:           8
        .value_kind:     global_buffer
      - .actual_access:  read_only
        .address_space:  global
        .offset:         112
        .size:           8
        .value_kind:     global_buffer
      - .actual_access:  read_only
        .address_space:  global
        .offset:         120
        .size:           8
        .value_kind:     global_buffer
      - .actual_access:  read_only
        .address_space:  global
        .offset:         128
        .size:           8
        .value_kind:     global_buffer
      - .actual_access:  read_only
        .address_space:  global
        .offset:         136
        .size:           8
        .value_kind:     global_buffer
      - .actual_access:  write_only
        .address_space:  global
        .offset:         144
        .size:           8
        .value_kind:     global_buffer
      - .offset:         152
        .size:           4
        .value_kind:     by_value
      - .offset:         156
        .size:           4
        .value_kind:     by_value
      - .offset:         160
        .size:           4
        .value_kind:     by_value
      - .offset:         164
        .size:           4
        .value_kind:     by_value
      - .offset:         168
        .size:           1
        .value_kind:     by_value
      - .offset:         169
        .size:           1
        .value_kind:     by_value
      - .offset:         170
        .size:           1
        .value_kind:     by_value
    .group_segment_fixed_size: 10240
    .kernarg_segment_align: 8
    .kernarg_segment_size: 172
    .language:       OpenCL C
    .language_version:
      - 2
      - 0
    .max_flat_workgroup_size: 256
    .name:           _ZN9rocsparseL38csrgemm_numeric_fill_wf_per_row_kernelILj256ELj16ELj32ELj137Eii21rocsparse_complex_numIdEEEvT4_S3_PKS3_S5_NS_24const_host_device_scalarIT5_EEPKT3_S5_PKS7_SB_S5_SD_S8_SB_S5_SD_SB_S5_PS7_21rocsparse_index_base_SF_SF_SF_bbb
    .private_segment_fixed_size: 24
    .sgpr_count:     40
    .sgpr_spill_count: 0
    .symbol:         _ZN9rocsparseL38csrgemm_numeric_fill_wf_per_row_kernelILj256ELj16ELj32ELj137Eii21rocsparse_complex_numIdEEEvT4_S3_PKS3_S5_NS_24const_host_device_scalarIT5_EEPKT3_S5_PKS7_SB_S5_SD_S8_SB_S5_SD_SB_S5_PS7_21rocsparse_index_base_SF_SF_SF_bbb.kd
    .uniform_work_group_size: 1
    .uses_dynamic_stack: false
    .vgpr_count:     44
    .vgpr_spill_count: 0
    .wavefront_size: 32
  - .args:
      - .offset:         0
        .size:           4
        .value_kind:     by_value
      - .actual_access:  read_only
        .address_space:  global
        .offset:         8
        .size:           8
        .value_kind:     global_buffer
      - .actual_access:  read_only
        .address_space:  global
        .offset:         16
        .size:           8
        .value_kind:     global_buffer
      - .offset:         24
        .size:           16
        .value_kind:     by_value
      - .actual_access:  read_only
        .address_space:  global
        .offset:         40
        .size:           8
        .value_kind:     global_buffer
      - .actual_access:  read_only
        .address_space:  global
        .offset:         48
        .size:           8
        .value_kind:     global_buffer
      - .actual_access:  read_only
        .address_space:  global
        .offset:         56
        .size:           8
        .value_kind:     global_buffer
      - .actual_access:  read_only
        .address_space:  global
        .offset:         64
        .size:           8
        .value_kind:     global_buffer
      - .actual_access:  read_only
        .address_space:  global
        .offset:         72
        .size:           8
        .value_kind:     global_buffer
      - .actual_access:  read_only
        .address_space:  global
        .offset:         80
        .size:           8
        .value_kind:     global_buffer
      - .offset:         88
        .size:           16
        .value_kind:     by_value
      - .actual_access:  read_only
        .address_space:  global
        .offset:         104
        .size:           8
        .value_kind:     global_buffer
      - .actual_access:  read_only
        .address_space:  global
        .offset:         112
        .size:           8
        .value_kind:     global_buffer
      - .actual_access:  read_only
        .address_space:  global
        .offset:         120
        .size:           8
        .value_kind:     global_buffer
      - .actual_access:  read_only
        .address_space:  global
        .offset:         128
        .size:           8
        .value_kind:     global_buffer
      - .actual_access:  read_only
        .address_space:  global
        .offset:         136
        .size:           8
        .value_kind:     global_buffer
      - .actual_access:  write_only
        .address_space:  global
        .offset:         144
        .size:           8
        .value_kind:     global_buffer
      - .offset:         152
        .size:           4
        .value_kind:     by_value
      - .offset:         156
        .size:           4
        .value_kind:     by_value
      - .offset:         160
        .size:           4
        .value_kind:     by_value
      - .offset:         164
        .size:           4
        .value_kind:     by_value
      - .offset:         168
        .size:           1
        .value_kind:     by_value
      - .offset:         169
        .size:           1
        .value_kind:     by_value
      - .offset:         170
        .size:           1
        .value_kind:     by_value
    .group_segment_fixed_size: 0
    .kernarg_segment_align: 8
    .kernarg_segment_size: 172
    .language:       OpenCL C
    .language_version:
      - 2
      - 0
    .max_flat_workgroup_size: 128
    .name:           _ZN9rocsparseL41csrgemm_numeric_fill_block_per_row_kernelILj128ELj16ELj256ELj137ELj32Eii21rocsparse_complex_numIdEEEvT5_PKS3_S5_NS_24const_host_device_scalarIT6_EEPKT4_S5_PKS7_SB_S5_SD_S8_SB_S5_SD_SB_S5_PS7_21rocsparse_index_base_SF_SF_SF_bbb
    .private_segment_fixed_size: 40
    .sgpr_count:     41
    .sgpr_spill_count: 0
    .symbol:         _ZN9rocsparseL41csrgemm_numeric_fill_block_per_row_kernelILj128ELj16ELj256ELj137ELj32Eii21rocsparse_complex_numIdEEEvT5_PKS3_S5_NS_24const_host_device_scalarIT6_EEPKT4_S5_PKS7_SB_S5_SD_S8_SB_S5_SD_SB_S5_PS7_21rocsparse_index_base_SF_SF_SF_bbb.kd
    .uniform_work_group_size: 1
    .uses_dynamic_stack: false
    .vgpr_count:     29
    .vgpr_spill_count: 0
    .wavefront_size: 32
  - .args:
      - .offset:         0
        .size:           4
        .value_kind:     by_value
      - .actual_access:  read_only
        .address_space:  global
        .offset:         8
        .size:           8
        .value_kind:     global_buffer
      - .actual_access:  read_only
        .address_space:  global
        .offset:         16
        .size:           8
        .value_kind:     global_buffer
      - .offset:         24
        .size:           16
        .value_kind:     by_value
      - .actual_access:  read_only
        .address_space:  global
        .offset:         40
        .size:           8
        .value_kind:     global_buffer
      - .actual_access:  read_only
        .address_space:  global
        .offset:         48
        .size:           8
        .value_kind:     global_buffer
      - .actual_access:  read_only
        .address_space:  global
        .offset:         56
        .size:           8
        .value_kind:     global_buffer
      - .actual_access:  read_only
        .address_space:  global
        .offset:         64
        .size:           8
        .value_kind:     global_buffer
      - .actual_access:  read_only
        .address_space:  global
        .offset:         72
        .size:           8
        .value_kind:     global_buffer
      - .actual_access:  read_only
        .address_space:  global
        .offset:         80
        .size:           8
        .value_kind:     global_buffer
      - .offset:         88
        .size:           16
        .value_kind:     by_value
      - .actual_access:  read_only
        .address_space:  global
        .offset:         104
        .size:           8
        .value_kind:     global_buffer
      - .actual_access:  read_only
        .address_space:  global
        .offset:         112
        .size:           8
        .value_kind:     global_buffer
      - .actual_access:  read_only
        .address_space:  global
        .offset:         120
        .size:           8
        .value_kind:     global_buffer
      - .actual_access:  read_only
        .address_space:  global
        .offset:         128
        .size:           8
        .value_kind:     global_buffer
      - .actual_access:  read_only
        .address_space:  global
        .offset:         136
        .size:           8
        .value_kind:     global_buffer
      - .actual_access:  write_only
        .address_space:  global
        .offset:         144
        .size:           8
        .value_kind:     global_buffer
      - .offset:         152
        .size:           4
        .value_kind:     by_value
      - .offset:         156
        .size:           4
        .value_kind:     by_value
      - .offset:         160
        .size:           4
        .value_kind:     by_value
      - .offset:         164
        .size:           4
        .value_kind:     by_value
      - .offset:         168
        .size:           1
        .value_kind:     by_value
      - .offset:         169
        .size:           1
        .value_kind:     by_value
      - .offset:         170
        .size:           1
        .value_kind:     by_value
    .group_segment_fixed_size: 0
    .kernarg_segment_align: 8
    .kernarg_segment_size: 172
    .language:       OpenCL C
    .language_version:
      - 2
      - 0
    .max_flat_workgroup_size: 128
    .name:           _ZN9rocsparseL41csrgemm_numeric_fill_block_per_row_kernelILj128ELj16ELj256ELj137ELj64Eii21rocsparse_complex_numIdEEEvT5_PKS3_S5_NS_24const_host_device_scalarIT6_EEPKT4_S5_PKS7_SB_S5_SD_S8_SB_S5_SD_SB_S5_PS7_21rocsparse_index_base_SF_SF_SF_bbb
    .private_segment_fixed_size: 40
    .sgpr_count:     41
    .sgpr_spill_count: 0
    .symbol:         _ZN9rocsparseL41csrgemm_numeric_fill_block_per_row_kernelILj128ELj16ELj256ELj137ELj64Eii21rocsparse_complex_numIdEEEvT5_PKS3_S5_NS_24const_host_device_scalarIT6_EEPKT4_S5_PKS7_SB_S5_SD_S8_SB_S5_SD_SB_S5_PS7_21rocsparse_index_base_SF_SF_SF_bbb.kd
    .uniform_work_group_size: 1
    .uses_dynamic_stack: false
    .vgpr_count:     30
    .vgpr_spill_count: 0
    .wavefront_size: 32
  - .args:
      - .offset:         0
        .size:           4
        .value_kind:     by_value
      - .actual_access:  read_only
        .address_space:  global
        .offset:         8
        .size:           8
        .value_kind:     global_buffer
      - .actual_access:  read_only
        .address_space:  global
        .offset:         16
        .size:           8
        .value_kind:     global_buffer
      - .offset:         24
        .size:           16
        .value_kind:     by_value
      - .actual_access:  read_only
        .address_space:  global
        .offset:         40
        .size:           8
        .value_kind:     global_buffer
      - .actual_access:  read_only
        .address_space:  global
        .offset:         48
        .size:           8
        .value_kind:     global_buffer
      - .actual_access:  read_only
        .address_space:  global
        .offset:         56
        .size:           8
        .value_kind:     global_buffer
      - .actual_access:  read_only
        .address_space:  global
        .offset:         64
        .size:           8
        .value_kind:     global_buffer
      - .actual_access:  read_only
        .address_space:  global
        .offset:         72
        .size:           8
        .value_kind:     global_buffer
      - .actual_access:  read_only
        .address_space:  global
        .offset:         80
        .size:           8
        .value_kind:     global_buffer
      - .offset:         88
        .size:           16
        .value_kind:     by_value
      - .actual_access:  read_only
        .address_space:  global
        .offset:         104
        .size:           8
        .value_kind:     global_buffer
      - .actual_access:  read_only
        .address_space:  global
        .offset:         112
        .size:           8
        .value_kind:     global_buffer
      - .actual_access:  read_only
        .address_space:  global
        .offset:         120
        .size:           8
        .value_kind:     global_buffer
      - .actual_access:  read_only
        .address_space:  global
        .offset:         128
        .size:           8
        .value_kind:     global_buffer
      - .actual_access:  read_only
        .address_space:  global
        .offset:         136
        .size:           8
        .value_kind:     global_buffer
      - .actual_access:  write_only
        .address_space:  global
        .offset:         144
        .size:           8
        .value_kind:     global_buffer
      - .offset:         152
        .size:           4
        .value_kind:     by_value
      - .offset:         156
        .size:           4
        .value_kind:     by_value
      - .offset:         160
        .size:           4
        .value_kind:     by_value
      - .offset:         164
        .size:           4
        .value_kind:     by_value
      - .offset:         168
        .size:           1
        .value_kind:     by_value
      - .offset:         169
        .size:           1
        .value_kind:     by_value
      - .offset:         170
        .size:           1
        .value_kind:     by_value
    .group_segment_fixed_size: 0
    .kernarg_segment_align: 8
    .kernarg_segment_size: 172
    .language:       OpenCL C
    .language_version:
      - 2
      - 0
    .max_flat_workgroup_size: 256
    .name:           _ZN9rocsparseL41csrgemm_numeric_fill_block_per_row_kernelILj256ELj32ELj512ELj137ELj32Eii21rocsparse_complex_numIdEEEvT5_PKS3_S5_NS_24const_host_device_scalarIT6_EEPKT4_S5_PKS7_SB_S5_SD_S8_SB_S5_SD_SB_S5_PS7_21rocsparse_index_base_SF_SF_SF_bbb
    .private_segment_fixed_size: 40
    .sgpr_count:     41
    .sgpr_spill_count: 0
    .symbol:         _ZN9rocsparseL41csrgemm_numeric_fill_block_per_row_kernelILj256ELj32ELj512ELj137ELj32Eii21rocsparse_complex_numIdEEEvT5_PKS3_S5_NS_24const_host_device_scalarIT6_EEPKT4_S5_PKS7_SB_S5_SD_S8_SB_S5_SD_SB_S5_PS7_21rocsparse_index_base_SF_SF_SF_bbb.kd
    .uniform_work_group_size: 1
    .uses_dynamic_stack: false
    .vgpr_count:     30
    .vgpr_spill_count: 0
    .wavefront_size: 32
  - .args:
      - .offset:         0
        .size:           4
        .value_kind:     by_value
      - .actual_access:  read_only
        .address_space:  global
        .offset:         8
        .size:           8
        .value_kind:     global_buffer
      - .actual_access:  read_only
        .address_space:  global
        .offset:         16
        .size:           8
        .value_kind:     global_buffer
      - .offset:         24
        .size:           16
        .value_kind:     by_value
      - .actual_access:  read_only
        .address_space:  global
        .offset:         40
        .size:           8
        .value_kind:     global_buffer
      - .actual_access:  read_only
        .address_space:  global
        .offset:         48
        .size:           8
        .value_kind:     global_buffer
      - .actual_access:  read_only
        .address_space:  global
        .offset:         56
        .size:           8
        .value_kind:     global_buffer
      - .actual_access:  read_only
        .address_space:  global
        .offset:         64
        .size:           8
        .value_kind:     global_buffer
      - .actual_access:  read_only
        .address_space:  global
        .offset:         72
        .size:           8
        .value_kind:     global_buffer
      - .actual_access:  read_only
        .address_space:  global
        .offset:         80
        .size:           8
        .value_kind:     global_buffer
      - .offset:         88
        .size:           16
        .value_kind:     by_value
      - .actual_access:  read_only
        .address_space:  global
        .offset:         104
        .size:           8
        .value_kind:     global_buffer
      - .actual_access:  read_only
        .address_space:  global
        .offset:         112
        .size:           8
        .value_kind:     global_buffer
      - .actual_access:  read_only
        .address_space:  global
        .offset:         120
        .size:           8
        .value_kind:     global_buffer
      - .actual_access:  read_only
        .address_space:  global
        .offset:         128
        .size:           8
        .value_kind:     global_buffer
      - .actual_access:  read_only
        .address_space:  global
        .offset:         136
        .size:           8
        .value_kind:     global_buffer
      - .actual_access:  write_only
        .address_space:  global
        .offset:         144
        .size:           8
        .value_kind:     global_buffer
      - .offset:         152
        .size:           4
        .value_kind:     by_value
      - .offset:         156
        .size:           4
        .value_kind:     by_value
      - .offset:         160
        .size:           4
        .value_kind:     by_value
      - .offset:         164
        .size:           4
        .value_kind:     by_value
      - .offset:         168
        .size:           1
        .value_kind:     by_value
      - .offset:         169
        .size:           1
        .value_kind:     by_value
      - .offset:         170
        .size:           1
        .value_kind:     by_value
    .group_segment_fixed_size: 0
    .kernarg_segment_align: 8
    .kernarg_segment_size: 172
    .language:       OpenCL C
    .language_version:
      - 2
      - 0
    .max_flat_workgroup_size: 256
    .name:           _ZN9rocsparseL41csrgemm_numeric_fill_block_per_row_kernelILj256ELj32ELj512ELj137ELj64Eii21rocsparse_complex_numIdEEEvT5_PKS3_S5_NS_24const_host_device_scalarIT6_EEPKT4_S5_PKS7_SB_S5_SD_S8_SB_S5_SD_SB_S5_PS7_21rocsparse_index_base_SF_SF_SF_bbb
    .private_segment_fixed_size: 40
    .sgpr_count:     41
    .sgpr_spill_count: 0
    .symbol:         _ZN9rocsparseL41csrgemm_numeric_fill_block_per_row_kernelILj256ELj32ELj512ELj137ELj64Eii21rocsparse_complex_numIdEEEvT5_PKS3_S5_NS_24const_host_device_scalarIT6_EEPKT4_S5_PKS7_SB_S5_SD_S8_SB_S5_SD_SB_S5_PS7_21rocsparse_index_base_SF_SF_SF_bbb.kd
    .uniform_work_group_size: 1
    .uses_dynamic_stack: false
    .vgpr_count:     29
    .vgpr_spill_count: 0
    .wavefront_size: 32
  - .args:
      - .offset:         0
        .size:           4
        .value_kind:     by_value
      - .actual_access:  read_only
        .address_space:  global
        .offset:         8
        .size:           8
        .value_kind:     global_buffer
      - .actual_access:  read_only
        .address_space:  global
        .offset:         16
        .size:           8
        .value_kind:     global_buffer
      - .offset:         24
        .size:           16
        .value_kind:     by_value
      - .actual_access:  read_only
        .address_space:  global
        .offset:         40
        .size:           8
        .value_kind:     global_buffer
      - .actual_access:  read_only
        .address_space:  global
        .offset:         48
        .size:           8
        .value_kind:     global_buffer
      - .actual_access:  read_only
        .address_space:  global
        .offset:         56
        .size:           8
        .value_kind:     global_buffer
      - .actual_access:  read_only
        .address_space:  global
        .offset:         64
        .size:           8
        .value_kind:     global_buffer
      - .actual_access:  read_only
        .address_space:  global
        .offset:         72
        .size:           8
        .value_kind:     global_buffer
      - .actual_access:  read_only
        .address_space:  global
        .offset:         80
        .size:           8
        .value_kind:     global_buffer
      - .offset:         88
        .size:           16
        .value_kind:     by_value
      - .actual_access:  read_only
        .address_space:  global
        .offset:         104
        .size:           8
        .value_kind:     global_buffer
      - .actual_access:  read_only
        .address_space:  global
        .offset:         112
        .size:           8
        .value_kind:     global_buffer
      - .actual_access:  read_only
        .address_space:  global
        .offset:         120
        .size:           8
        .value_kind:     global_buffer
      - .actual_access:  read_only
        .address_space:  global
        .offset:         128
        .size:           8
        .value_kind:     global_buffer
      - .actual_access:  read_only
        .address_space:  global
        .offset:         136
        .size:           8
        .value_kind:     global_buffer
      - .actual_access:  write_only
        .address_space:  global
        .offset:         144
        .size:           8
        .value_kind:     global_buffer
      - .offset:         152
        .size:           4
        .value_kind:     by_value
      - .offset:         156
        .size:           4
        .value_kind:     by_value
      - .offset:         160
        .size:           4
        .value_kind:     by_value
      - .offset:         164
        .size:           4
        .value_kind:     by_value
      - .offset:         168
        .size:           1
        .value_kind:     by_value
      - .offset:         169
        .size:           1
        .value_kind:     by_value
      - .offset:         170
        .size:           1
        .value_kind:     by_value
    .group_segment_fixed_size: 0
    .kernarg_segment_align: 8
    .kernarg_segment_size: 172
    .language:       OpenCL C
    .language_version:
      - 2
      - 0
    .max_flat_workgroup_size: 512
    .name:           _ZN9rocsparseL41csrgemm_numeric_fill_block_per_row_kernelILj512ELj32ELj1024ELj137ELj32Eii21rocsparse_complex_numIdEEEvT5_PKS3_S5_NS_24const_host_device_scalarIT6_EEPKT4_S5_PKS7_SB_S5_SD_S8_SB_S5_SD_SB_S5_PS7_21rocsparse_index_base_SF_SF_SF_bbb
    .private_segment_fixed_size: 40
    .sgpr_count:     40
    .sgpr_spill_count: 0
    .symbol:         _ZN9rocsparseL41csrgemm_numeric_fill_block_per_row_kernelILj512ELj32ELj1024ELj137ELj32Eii21rocsparse_complex_numIdEEEvT5_PKS3_S5_NS_24const_host_device_scalarIT6_EEPKT4_S5_PKS7_SB_S5_SD_S8_SB_S5_SD_SB_S5_PS7_21rocsparse_index_base_SF_SF_SF_bbb.kd
    .uniform_work_group_size: 1
    .uses_dynamic_stack: false
    .vgpr_count:     30
    .vgpr_spill_count: 0
    .wavefront_size: 32
  - .args:
      - .offset:         0
        .size:           4
        .value_kind:     by_value
      - .actual_access:  read_only
        .address_space:  global
        .offset:         8
        .size:           8
        .value_kind:     global_buffer
      - .actual_access:  read_only
        .address_space:  global
        .offset:         16
        .size:           8
        .value_kind:     global_buffer
      - .offset:         24
        .size:           16
        .value_kind:     by_value
      - .actual_access:  read_only
        .address_space:  global
        .offset:         40
        .size:           8
        .value_kind:     global_buffer
      - .actual_access:  read_only
        .address_space:  global
        .offset:         48
        .size:           8
        .value_kind:     global_buffer
      - .actual_access:  read_only
        .address_space:  global
        .offset:         56
        .size:           8
        .value_kind:     global_buffer
      - .actual_access:  read_only
        .address_space:  global
        .offset:         64
        .size:           8
        .value_kind:     global_buffer
      - .actual_access:  read_only
        .address_space:  global
        .offset:         72
        .size:           8
        .value_kind:     global_buffer
      - .actual_access:  read_only
        .address_space:  global
        .offset:         80
        .size:           8
        .value_kind:     global_buffer
      - .offset:         88
        .size:           16
        .value_kind:     by_value
      - .actual_access:  read_only
        .address_space:  global
        .offset:         104
        .size:           8
        .value_kind:     global_buffer
      - .actual_access:  read_only
        .address_space:  global
        .offset:         112
        .size:           8
        .value_kind:     global_buffer
      - .actual_access:  read_only
        .address_space:  global
        .offset:         120
        .size:           8
        .value_kind:     global_buffer
      - .actual_access:  read_only
        .address_space:  global
        .offset:         128
        .size:           8
        .value_kind:     global_buffer
      - .actual_access:  read_only
        .address_space:  global
        .offset:         136
        .size:           8
        .value_kind:     global_buffer
      - .actual_access:  write_only
        .address_space:  global
        .offset:         144
        .size:           8
        .value_kind:     global_buffer
      - .offset:         152
        .size:           4
        .value_kind:     by_value
      - .offset:         156
        .size:           4
        .value_kind:     by_value
      - .offset:         160
        .size:           4
        .value_kind:     by_value
      - .offset:         164
        .size:           4
        .value_kind:     by_value
      - .offset:         168
        .size:           1
        .value_kind:     by_value
      - .offset:         169
        .size:           1
        .value_kind:     by_value
      - .offset:         170
        .size:           1
        .value_kind:     by_value
    .group_segment_fixed_size: 0
    .kernarg_segment_align: 8
    .kernarg_segment_size: 172
    .language:       OpenCL C
    .language_version:
      - 2
      - 0
    .max_flat_workgroup_size: 512
    .name:           _ZN9rocsparseL41csrgemm_numeric_fill_block_per_row_kernelILj512ELj32ELj1024ELj137ELj64Eii21rocsparse_complex_numIdEEEvT5_PKS3_S5_NS_24const_host_device_scalarIT6_EEPKT4_S5_PKS7_SB_S5_SD_S8_SB_S5_SD_SB_S5_PS7_21rocsparse_index_base_SF_SF_SF_bbb
    .private_segment_fixed_size: 40
    .sgpr_count:     40
    .sgpr_spill_count: 0
    .symbol:         _ZN9rocsparseL41csrgemm_numeric_fill_block_per_row_kernelILj512ELj32ELj1024ELj137ELj64Eii21rocsparse_complex_numIdEEEvT5_PKS3_S5_NS_24const_host_device_scalarIT6_EEPKT4_S5_PKS7_SB_S5_SD_S8_SB_S5_SD_SB_S5_PS7_21rocsparse_index_base_SF_SF_SF_bbb.kd
    .uniform_work_group_size: 1
    .uses_dynamic_stack: false
    .vgpr_count:     29
    .vgpr_spill_count: 0
    .wavefront_size: 32
  - .args:
      - .offset:         0
        .size:           4
        .value_kind:     by_value
      - .actual_access:  read_only
        .address_space:  global
        .offset:         8
        .size:           8
        .value_kind:     global_buffer
      - .actual_access:  read_only
        .address_space:  global
        .offset:         16
        .size:           8
        .value_kind:     global_buffer
      - .offset:         24
        .size:           16
        .value_kind:     by_value
      - .actual_access:  read_only
        .address_space:  global
        .offset:         40
        .size:           8
        .value_kind:     global_buffer
      - .actual_access:  read_only
        .address_space:  global
        .offset:         48
        .size:           8
        .value_kind:     global_buffer
      - .actual_access:  read_only
        .address_space:  global
        .offset:         56
        .size:           8
        .value_kind:     global_buffer
      - .actual_access:  read_only
        .address_space:  global
        .offset:         64
        .size:           8
        .value_kind:     global_buffer
      - .actual_access:  read_only
        .address_space:  global
        .offset:         72
        .size:           8
        .value_kind:     global_buffer
      - .actual_access:  read_only
        .address_space:  global
        .offset:         80
        .size:           8
        .value_kind:     global_buffer
      - .offset:         88
        .size:           16
        .value_kind:     by_value
      - .actual_access:  read_only
        .address_space:  global
        .offset:         104
        .size:           8
        .value_kind:     global_buffer
      - .actual_access:  read_only
        .address_space:  global
        .offset:         112
        .size:           8
        .value_kind:     global_buffer
      - .actual_access:  read_only
        .address_space:  global
        .offset:         120
        .size:           8
        .value_kind:     global_buffer
      - .actual_access:  read_only
        .address_space:  global
        .offset:         128
        .size:           8
        .value_kind:     global_buffer
      - .actual_access:  read_only
        .address_space:  global
        .offset:         136
        .size:           8
        .value_kind:     global_buffer
      - .actual_access:  write_only
        .address_space:  global
        .offset:         144
        .size:           8
        .value_kind:     global_buffer
      - .offset:         152
        .size:           4
        .value_kind:     by_value
      - .offset:         156
        .size:           4
        .value_kind:     by_value
      - .offset:         160
        .size:           4
        .value_kind:     by_value
      - .offset:         164
        .size:           4
        .value_kind:     by_value
      - .offset:         168
        .size:           1
        .value_kind:     by_value
      - .offset:         169
        .size:           1
        .value_kind:     by_value
      - .offset:         170
        .size:           1
        .value_kind:     by_value
    .group_segment_fixed_size: 0
    .kernarg_segment_align: 8
    .kernarg_segment_size: 172
    .language:       OpenCL C
    .language_version:
      - 2
      - 0
    .max_flat_workgroup_size: 1024
    .name:           _ZN9rocsparseL41csrgemm_numeric_fill_block_per_row_kernelILj1024ELj32ELj2048ELj137ELj32Eii21rocsparse_complex_numIdEEEvT5_PKS3_S5_NS_24const_host_device_scalarIT6_EEPKT4_S5_PKS7_SB_S5_SD_S8_SB_S5_SD_SB_S5_PS7_21rocsparse_index_base_SF_SF_SF_bbb
    .private_segment_fixed_size: 40
    .sgpr_count:     46
    .sgpr_spill_count: 0
    .symbol:         _ZN9rocsparseL41csrgemm_numeric_fill_block_per_row_kernelILj1024ELj32ELj2048ELj137ELj32Eii21rocsparse_complex_numIdEEEvT5_PKS3_S5_NS_24const_host_device_scalarIT6_EEPKT4_S5_PKS7_SB_S5_SD_S8_SB_S5_SD_SB_S5_PS7_21rocsparse_index_base_SF_SF_SF_bbb.kd
    .uniform_work_group_size: 1
    .uses_dynamic_stack: false
    .vgpr_count:     30
    .vgpr_spill_count: 0
    .wavefront_size: 32
  - .args:
      - .offset:         0
        .size:           4
        .value_kind:     by_value
      - .actual_access:  read_only
        .address_space:  global
        .offset:         8
        .size:           8
        .value_kind:     global_buffer
      - .actual_access:  read_only
        .address_space:  global
        .offset:         16
        .size:           8
        .value_kind:     global_buffer
      - .offset:         24
        .size:           16
        .value_kind:     by_value
      - .actual_access:  read_only
        .address_space:  global
        .offset:         40
        .size:           8
        .value_kind:     global_buffer
      - .actual_access:  read_only
        .address_space:  global
        .offset:         48
        .size:           8
        .value_kind:     global_buffer
      - .actual_access:  read_only
        .address_space:  global
        .offset:         56
        .size:           8
        .value_kind:     global_buffer
      - .actual_access:  read_only
        .address_space:  global
        .offset:         64
        .size:           8
        .value_kind:     global_buffer
      - .actual_access:  read_only
        .address_space:  global
        .offset:         72
        .size:           8
        .value_kind:     global_buffer
      - .actual_access:  read_only
        .address_space:  global
        .offset:         80
        .size:           8
        .value_kind:     global_buffer
      - .offset:         88
        .size:           16
        .value_kind:     by_value
      - .actual_access:  read_only
        .address_space:  global
        .offset:         104
        .size:           8
        .value_kind:     global_buffer
      - .actual_access:  read_only
        .address_space:  global
        .offset:         112
        .size:           8
        .value_kind:     global_buffer
      - .actual_access:  read_only
        .address_space:  global
        .offset:         120
        .size:           8
        .value_kind:     global_buffer
      - .actual_access:  read_only
        .address_space:  global
        .offset:         128
        .size:           8
        .value_kind:     global_buffer
      - .actual_access:  read_only
        .address_space:  global
        .offset:         136
        .size:           8
        .value_kind:     global_buffer
      - .actual_access:  write_only
        .address_space:  global
        .offset:         144
        .size:           8
        .value_kind:     global_buffer
      - .offset:         152
        .size:           4
        .value_kind:     by_value
      - .offset:         156
        .size:           4
        .value_kind:     by_value
      - .offset:         160
        .size:           4
        .value_kind:     by_value
      - .offset:         164
        .size:           4
        .value_kind:     by_value
      - .offset:         168
        .size:           1
        .value_kind:     by_value
      - .offset:         169
        .size:           1
        .value_kind:     by_value
      - .offset:         170
        .size:           1
        .value_kind:     by_value
    .group_segment_fixed_size: 0
    .kernarg_segment_align: 8
    .kernarg_segment_size: 172
    .language:       OpenCL C
    .language_version:
      - 2
      - 0
    .max_flat_workgroup_size: 1024
    .name:           _ZN9rocsparseL41csrgemm_numeric_fill_block_per_row_kernelILj1024ELj32ELj2048ELj137ELj64Eii21rocsparse_complex_numIdEEEvT5_PKS3_S5_NS_24const_host_device_scalarIT6_EEPKT4_S5_PKS7_SB_S5_SD_S8_SB_S5_SD_SB_S5_PS7_21rocsparse_index_base_SF_SF_SF_bbb
    .private_segment_fixed_size: 40
    .sgpr_count:     40
    .sgpr_spill_count: 0
    .symbol:         _ZN9rocsparseL41csrgemm_numeric_fill_block_per_row_kernelILj1024ELj32ELj2048ELj137ELj64Eii21rocsparse_complex_numIdEEEvT5_PKS3_S5_NS_24const_host_device_scalarIT6_EEPKT4_S5_PKS7_SB_S5_SD_S8_SB_S5_SD_SB_S5_PS7_21rocsparse_index_base_SF_SF_SF_bbb.kd
    .uniform_work_group_size: 1
    .uses_dynamic_stack: false
    .vgpr_count:     29
    .vgpr_spill_count: 0
    .wavefront_size: 32
  - .args:
      - .offset:         0
        .size:           4
        .value_kind:     by_value
      - .actual_access:  read_only
        .address_space:  global
        .offset:         8
        .size:           8
        .value_kind:     global_buffer
      - .actual_access:  read_only
        .address_space:  global
        .offset:         16
        .size:           8
        .value_kind:     global_buffer
      - .offset:         24
        .size:           16
        .value_kind:     by_value
      - .actual_access:  read_only
        .address_space:  global
        .offset:         40
        .size:           8
        .value_kind:     global_buffer
      - .actual_access:  read_only
        .address_space:  global
        .offset:         48
        .size:           8
        .value_kind:     global_buffer
      - .actual_access:  read_only
        .address_space:  global
        .offset:         56
        .size:           8
        .value_kind:     global_buffer
      - .actual_access:  read_only
        .address_space:  global
        .offset:         64
        .size:           8
        .value_kind:     global_buffer
      - .actual_access:  read_only
        .address_space:  global
        .offset:         72
        .size:           8
        .value_kind:     global_buffer
      - .actual_access:  read_only
        .address_space:  global
        .offset:         80
        .size:           8
        .value_kind:     global_buffer
      - .offset:         88
        .size:           16
        .value_kind:     by_value
      - .actual_access:  read_only
        .address_space:  global
        .offset:         104
        .size:           8
        .value_kind:     global_buffer
      - .actual_access:  read_only
        .address_space:  global
        .offset:         112
        .size:           8
        .value_kind:     global_buffer
      - .actual_access:  read_only
        .address_space:  global
        .offset:         120
        .size:           8
        .value_kind:     global_buffer
      - .actual_access:  read_only
        .address_space:  global
        .offset:         128
        .size:           8
        .value_kind:     global_buffer
      - .actual_access:  read_only
        .address_space:  global
        .offset:         136
        .size:           8
        .value_kind:     global_buffer
      - .actual_access:  write_only
        .address_space:  global
        .offset:         144
        .size:           8
        .value_kind:     global_buffer
      - .offset:         152
        .size:           4
        .value_kind:     by_value
      - .offset:         156
        .size:           4
        .value_kind:     by_value
      - .offset:         160
        .size:           4
        .value_kind:     by_value
      - .offset:         164
        .size:           4
        .value_kind:     by_value
      - .offset:         168
        .size:           1
        .value_kind:     by_value
      - .offset:         169
        .size:           1
        .value_kind:     by_value
      - .offset:         170
        .size:           1
        .value_kind:     by_value
    .group_segment_fixed_size: 0
    .kernarg_segment_align: 8
    .kernarg_segment_size: 172
    .language:       OpenCL C
    .language_version:
      - 2
      - 0
    .max_flat_workgroup_size: 1024
    .name:           _ZN9rocsparseL41csrgemm_numeric_fill_block_per_row_kernelILj1024ELj64ELj4096ELj137ELj32Eii21rocsparse_complex_numIdEEEvT5_PKS3_S5_NS_24const_host_device_scalarIT6_EEPKT4_S5_PKS7_SB_S5_SD_S8_SB_S5_SD_SB_S5_PS7_21rocsparse_index_base_SF_SF_SF_bbb
    .private_segment_fixed_size: 40
    .sgpr_count:     76
    .sgpr_spill_count: 0
    .symbol:         _ZN9rocsparseL41csrgemm_numeric_fill_block_per_row_kernelILj1024ELj64ELj4096ELj137ELj32Eii21rocsparse_complex_numIdEEEvT5_PKS3_S5_NS_24const_host_device_scalarIT6_EEPKT4_S5_PKS7_SB_S5_SD_S8_SB_S5_SD_SB_S5_PS7_21rocsparse_index_base_SF_SF_SF_bbb.kd
    .uniform_work_group_size: 1
    .uses_dynamic_stack: false
    .vgpr_count:     29
    .vgpr_spill_count: 0
    .wavefront_size: 32
  - .args:
      - .offset:         0
        .size:           4
        .value_kind:     by_value
      - .actual_access:  read_only
        .address_space:  global
        .offset:         8
        .size:           8
        .value_kind:     global_buffer
      - .actual_access:  read_only
        .address_space:  global
        .offset:         16
        .size:           8
        .value_kind:     global_buffer
      - .offset:         24
        .size:           16
        .value_kind:     by_value
      - .actual_access:  read_only
        .address_space:  global
        .offset:         40
        .size:           8
        .value_kind:     global_buffer
      - .actual_access:  read_only
        .address_space:  global
        .offset:         48
        .size:           8
        .value_kind:     global_buffer
      - .actual_access:  read_only
        .address_space:  global
        .offset:         56
        .size:           8
        .value_kind:     global_buffer
      - .actual_access:  read_only
        .address_space:  global
        .offset:         64
        .size:           8
        .value_kind:     global_buffer
      - .actual_access:  read_only
        .address_space:  global
        .offset:         72
        .size:           8
        .value_kind:     global_buffer
      - .actual_access:  read_only
        .address_space:  global
        .offset:         80
        .size:           8
        .value_kind:     global_buffer
      - .offset:         88
        .size:           16
        .value_kind:     by_value
      - .actual_access:  read_only
        .address_space:  global
        .offset:         104
        .size:           8
        .value_kind:     global_buffer
      - .actual_access:  read_only
        .address_space:  global
        .offset:         112
        .size:           8
        .value_kind:     global_buffer
      - .actual_access:  read_only
        .address_space:  global
        .offset:         120
        .size:           8
        .value_kind:     global_buffer
      - .actual_access:  read_only
        .address_space:  global
        .offset:         128
        .size:           8
        .value_kind:     global_buffer
      - .actual_access:  read_only
        .address_space:  global
        .offset:         136
        .size:           8
        .value_kind:     global_buffer
      - .actual_access:  write_only
        .address_space:  global
        .offset:         144
        .size:           8
        .value_kind:     global_buffer
      - .offset:         152
        .size:           4
        .value_kind:     by_value
      - .offset:         156
        .size:           4
        .value_kind:     by_value
      - .offset:         160
        .size:           4
        .value_kind:     by_value
      - .offset:         164
        .size:           4
        .value_kind:     by_value
      - .offset:         168
        .size:           1
        .value_kind:     by_value
      - .offset:         169
        .size:           1
        .value_kind:     by_value
      - .offset:         170
        .size:           1
        .value_kind:     by_value
    .group_segment_fixed_size: 0
    .kernarg_segment_align: 8
    .kernarg_segment_size: 172
    .language:       OpenCL C
    .language_version:
      - 2
      - 0
    .max_flat_workgroup_size: 1024
    .name:           _ZN9rocsparseL41csrgemm_numeric_fill_block_per_row_kernelILj1024ELj64ELj4096ELj137ELj64Eii21rocsparse_complex_numIdEEEvT5_PKS3_S5_NS_24const_host_device_scalarIT6_EEPKT4_S5_PKS7_SB_S5_SD_S8_SB_S5_SD_SB_S5_PS7_21rocsparse_index_base_SF_SF_SF_bbb
    .private_segment_fixed_size: 40
    .sgpr_count:     44
    .sgpr_spill_count: 0
    .symbol:         _ZN9rocsparseL41csrgemm_numeric_fill_block_per_row_kernelILj1024ELj64ELj4096ELj137ELj64Eii21rocsparse_complex_numIdEEEvT5_PKS3_S5_NS_24const_host_device_scalarIT6_EEPKT4_S5_PKS7_SB_S5_SD_S8_SB_S5_SD_SB_S5_PS7_21rocsparse_index_base_SF_SF_SF_bbb.kd
    .uniform_work_group_size: 1
    .uses_dynamic_stack: false
    .vgpr_count:     30
    .vgpr_spill_count: 0
    .wavefront_size: 32
  - .args:
      - .offset:         0
        .size:           4
        .value_kind:     by_value
      - .actual_access:  read_only
        .address_space:  global
        .offset:         8
        .size:           8
        .value_kind:     global_buffer
      - .actual_access:  read_only
        .address_space:  global
        .offset:         16
        .size:           8
        .value_kind:     global_buffer
      - .offset:         24
        .size:           16
        .value_kind:     by_value
      - .actual_access:  read_only
        .address_space:  global
        .offset:         40
        .size:           8
        .value_kind:     global_buffer
      - .actual_access:  read_only
        .address_space:  global
        .offset:         48
        .size:           8
        .value_kind:     global_buffer
      - .actual_access:  read_only
        .address_space:  global
        .offset:         56
        .size:           8
        .value_kind:     global_buffer
      - .actual_access:  read_only
        .address_space:  global
        .offset:         64
        .size:           8
        .value_kind:     global_buffer
      - .actual_access:  read_only
        .address_space:  global
        .offset:         72
        .size:           8
        .value_kind:     global_buffer
      - .actual_access:  read_only
        .address_space:  global
        .offset:         80
        .size:           8
        .value_kind:     global_buffer
      - .offset:         88
        .size:           16
        .value_kind:     by_value
      - .actual_access:  read_only
        .address_space:  global
        .offset:         104
        .size:           8
        .value_kind:     global_buffer
      - .actual_access:  read_only
        .address_space:  global
        .offset:         112
        .size:           8
        .value_kind:     global_buffer
      - .actual_access:  read_only
        .address_space:  global
        .offset:         120
        .size:           8
        .value_kind:     global_buffer
      - .actual_access:  read_only
        .address_space:  global
        .offset:         128
        .size:           8
        .value_kind:     global_buffer
      - .actual_access:  read_only
        .address_space:  global
        .offset:         136
        .size:           8
        .value_kind:     global_buffer
      - .actual_access:  write_only
        .address_space:  global
        .offset:         144
        .size:           8
        .value_kind:     global_buffer
      - .offset:         152
        .size:           4
        .value_kind:     by_value
      - .offset:         156
        .size:           4
        .value_kind:     by_value
      - .offset:         160
        .size:           4
        .value_kind:     by_value
      - .offset:         164
        .size:           4
        .value_kind:     by_value
      - .offset:         168
        .size:           1
        .value_kind:     by_value
      - .offset:         169
        .size:           1
        .value_kind:     by_value
      - .offset:         170
        .size:           1
        .value_kind:     by_value
    .group_segment_fixed_size: 0
    .kernarg_segment_align: 8
    .kernarg_segment_size: 172
    .language:       OpenCL C
    .language_version:
      - 2
      - 0
    .max_flat_workgroup_size: 1024
    .name:           _ZN9rocsparseL41csrgemm_numeric_fill_block_per_row_kernelILj1024ELj64ELj8192ELj137ELj32Eii21rocsparse_complex_numIdEEEvT5_PKS3_S5_NS_24const_host_device_scalarIT6_EEPKT4_S5_PKS7_SB_S5_SD_S8_SB_S5_SD_SB_S5_PS7_21rocsparse_index_base_SF_SF_SF_bbb
    .private_segment_fixed_size: 40
    .sgpr_count:     76
    .sgpr_spill_count: 0
    .symbol:         _ZN9rocsparseL41csrgemm_numeric_fill_block_per_row_kernelILj1024ELj64ELj8192ELj137ELj32Eii21rocsparse_complex_numIdEEEvT5_PKS3_S5_NS_24const_host_device_scalarIT6_EEPKT4_S5_PKS7_SB_S5_SD_S8_SB_S5_SD_SB_S5_PS7_21rocsparse_index_base_SF_SF_SF_bbb.kd
    .uniform_work_group_size: 1
    .uses_dynamic_stack: false
    .vgpr_count:     28
    .vgpr_spill_count: 0
    .wavefront_size: 32
  - .args:
      - .offset:         0
        .size:           4
        .value_kind:     by_value
      - .actual_access:  read_only
        .address_space:  global
        .offset:         8
        .size:           8
        .value_kind:     global_buffer
      - .actual_access:  read_only
        .address_space:  global
        .offset:         16
        .size:           8
        .value_kind:     global_buffer
      - .offset:         24
        .size:           16
        .value_kind:     by_value
      - .actual_access:  read_only
        .address_space:  global
        .offset:         40
        .size:           8
        .value_kind:     global_buffer
      - .actual_access:  read_only
        .address_space:  global
        .offset:         48
        .size:           8
        .value_kind:     global_buffer
      - .actual_access:  read_only
        .address_space:  global
        .offset:         56
        .size:           8
        .value_kind:     global_buffer
      - .actual_access:  read_only
        .address_space:  global
        .offset:         64
        .size:           8
        .value_kind:     global_buffer
      - .actual_access:  read_only
        .address_space:  global
        .offset:         72
        .size:           8
        .value_kind:     global_buffer
      - .actual_access:  read_only
        .address_space:  global
        .offset:         80
        .size:           8
        .value_kind:     global_buffer
      - .offset:         88
        .size:           16
        .value_kind:     by_value
      - .actual_access:  read_only
        .address_space:  global
        .offset:         104
        .size:           8
        .value_kind:     global_buffer
      - .actual_access:  read_only
        .address_space:  global
        .offset:         112
        .size:           8
        .value_kind:     global_buffer
      - .actual_access:  read_only
        .address_space:  global
        .offset:         120
        .size:           8
        .value_kind:     global_buffer
      - .actual_access:  read_only
        .address_space:  global
        .offset:         128
        .size:           8
        .value_kind:     global_buffer
      - .actual_access:  read_only
        .address_space:  global
        .offset:         136
        .size:           8
        .value_kind:     global_buffer
      - .actual_access:  write_only
        .address_space:  global
        .offset:         144
        .size:           8
        .value_kind:     global_buffer
      - .offset:         152
        .size:           4
        .value_kind:     by_value
      - .offset:         156
        .size:           4
        .value_kind:     by_value
      - .offset:         160
        .size:           4
        .value_kind:     by_value
      - .offset:         164
        .size:           4
        .value_kind:     by_value
      - .offset:         168
        .size:           1
        .value_kind:     by_value
      - .offset:         169
        .size:           1
        .value_kind:     by_value
      - .offset:         170
        .size:           1
        .value_kind:     by_value
    .group_segment_fixed_size: 0
    .kernarg_segment_align: 8
    .kernarg_segment_size: 172
    .language:       OpenCL C
    .language_version:
      - 2
      - 0
    .max_flat_workgroup_size: 1024
    .name:           _ZN9rocsparseL41csrgemm_numeric_fill_block_per_row_kernelILj1024ELj64ELj8192ELj137ELj64Eii21rocsparse_complex_numIdEEEvT5_PKS3_S5_NS_24const_host_device_scalarIT6_EEPKT4_S5_PKS7_SB_S5_SD_S8_SB_S5_SD_SB_S5_PS7_21rocsparse_index_base_SF_SF_SF_bbb
    .private_segment_fixed_size: 40
    .sgpr_count:     44
    .sgpr_spill_count: 0
    .symbol:         _ZN9rocsparseL41csrgemm_numeric_fill_block_per_row_kernelILj1024ELj64ELj8192ELj137ELj64Eii21rocsparse_complex_numIdEEEvT5_PKS3_S5_NS_24const_host_device_scalarIT6_EEPKT4_S5_PKS7_SB_S5_SD_S8_SB_S5_SD_SB_S5_PS7_21rocsparse_index_base_SF_SF_SF_bbb.kd
    .uniform_work_group_size: 1
    .uses_dynamic_stack: false
    .vgpr_count:     29
    .vgpr_spill_count: 0
    .wavefront_size: 32
  - .args:
      - .offset:         0
        .size:           4
        .value_kind:     by_value
      - .actual_access:  read_only
        .address_space:  global
        .offset:         8
        .size:           8
        .value_kind:     global_buffer
      - .actual_access:  read_only
        .address_space:  global
        .offset:         16
        .size:           8
        .value_kind:     global_buffer
      - .offset:         24
        .size:           16
        .value_kind:     by_value
      - .actual_access:  read_only
        .address_space:  global
        .offset:         40
        .size:           8
        .value_kind:     global_buffer
      - .actual_access:  read_only
        .address_space:  global
        .offset:         48
        .size:           8
        .value_kind:     global_buffer
      - .actual_access:  read_only
        .address_space:  global
        .offset:         56
        .size:           8
        .value_kind:     global_buffer
      - .actual_access:  read_only
        .address_space:  global
        .offset:         64
        .size:           8
        .value_kind:     global_buffer
      - .actual_access:  read_only
        .address_space:  global
        .offset:         72
        .size:           8
        .value_kind:     global_buffer
      - .actual_access:  read_only
        .address_space:  global
        .offset:         80
        .size:           8
        .value_kind:     global_buffer
      - .offset:         88
        .size:           16
        .value_kind:     by_value
      - .actual_access:  read_only
        .address_space:  global
        .offset:         104
        .size:           8
        .value_kind:     global_buffer
      - .actual_access:  read_only
        .address_space:  global
        .offset:         112
        .size:           8
        .value_kind:     global_buffer
      - .actual_access:  read_only
        .address_space:  global
        .offset:         120
        .size:           8
        .value_kind:     global_buffer
      - .actual_access:  read_only
        .address_space:  global
        .offset:         128
        .size:           8
        .value_kind:     global_buffer
      - .actual_access:  read_only
        .address_space:  global
        .offset:         136
        .size:           8
        .value_kind:     global_buffer
      - .actual_access:  write_only
        .address_space:  global
        .offset:         144
        .size:           8
        .value_kind:     global_buffer
      - .offset:         152
        .size:           4
        .value_kind:     by_value
      - .offset:         156
        .size:           4
        .value_kind:     by_value
      - .offset:         160
        .size:           4
        .value_kind:     by_value
      - .offset:         164
        .size:           4
        .value_kind:     by_value
      - .offset:         168
        .size:           1
        .value_kind:     by_value
      - .offset:         169
        .size:           1
        .value_kind:     by_value
      - .offset:         170
        .size:           1
        .value_kind:     by_value
    .group_segment_fixed_size: 0
    .kernarg_segment_align: 8
    .kernarg_segment_size: 172
    .language:       OpenCL C
    .language_version:
      - 2
      - 0
    .max_flat_workgroup_size: 1024
    .name:           _ZN9rocsparseL41csrgemm_numeric_fill_block_per_row_kernelILj1024ELj64ELj16384ELj137ELj32Eii21rocsparse_complex_numIdEEEvT5_PKS3_S5_NS_24const_host_device_scalarIT6_EEPKT4_S5_PKS7_SB_S5_SD_S8_SB_S5_SD_SB_S5_PS7_21rocsparse_index_base_SF_SF_SF_bbb
    .private_segment_fixed_size: 40
    .sgpr_count:     76
    .sgpr_spill_count: 0
    .symbol:         _ZN9rocsparseL41csrgemm_numeric_fill_block_per_row_kernelILj1024ELj64ELj16384ELj137ELj32Eii21rocsparse_complex_numIdEEEvT5_PKS3_S5_NS_24const_host_device_scalarIT6_EEPKT4_S5_PKS7_SB_S5_SD_S8_SB_S5_SD_SB_S5_PS7_21rocsparse_index_base_SF_SF_SF_bbb.kd
    .uniform_work_group_size: 1
    .uses_dynamic_stack: false
    .vgpr_count:     29
    .vgpr_spill_count: 0
    .wavefront_size: 32
  - .args:
      - .offset:         0
        .size:           4
        .value_kind:     by_value
      - .actual_access:  read_only
        .address_space:  global
        .offset:         8
        .size:           8
        .value_kind:     global_buffer
      - .actual_access:  read_only
        .address_space:  global
        .offset:         16
        .size:           8
        .value_kind:     global_buffer
      - .offset:         24
        .size:           16
        .value_kind:     by_value
      - .actual_access:  read_only
        .address_space:  global
        .offset:         40
        .size:           8
        .value_kind:     global_buffer
      - .actual_access:  read_only
        .address_space:  global
        .offset:         48
        .size:           8
        .value_kind:     global_buffer
      - .actual_access:  read_only
        .address_space:  global
        .offset:         56
        .size:           8
        .value_kind:     global_buffer
      - .actual_access:  read_only
        .address_space:  global
        .offset:         64
        .size:           8
        .value_kind:     global_buffer
      - .actual_access:  read_only
        .address_space:  global
        .offset:         72
        .size:           8
        .value_kind:     global_buffer
      - .actual_access:  read_only
        .address_space:  global
        .offset:         80
        .size:           8
        .value_kind:     global_buffer
      - .offset:         88
        .size:           16
        .value_kind:     by_value
      - .actual_access:  read_only
        .address_space:  global
        .offset:         104
        .size:           8
        .value_kind:     global_buffer
      - .actual_access:  read_only
        .address_space:  global
        .offset:         112
        .size:           8
        .value_kind:     global_buffer
      - .actual_access:  read_only
        .address_space:  global
        .offset:         120
        .size:           8
        .value_kind:     global_buffer
      - .actual_access:  read_only
        .address_space:  global
        .offset:         128
        .size:           8
        .value_kind:     global_buffer
      - .actual_access:  read_only
        .address_space:  global
        .offset:         136
        .size:           8
        .value_kind:     global_buffer
      - .actual_access:  write_only
        .address_space:  global
        .offset:         144
        .size:           8
        .value_kind:     global_buffer
      - .offset:         152
        .size:           4
        .value_kind:     by_value
      - .offset:         156
        .size:           4
        .value_kind:     by_value
      - .offset:         160
        .size:           4
        .value_kind:     by_value
      - .offset:         164
        .size:           4
        .value_kind:     by_value
      - .offset:         168
        .size:           1
        .value_kind:     by_value
      - .offset:         169
        .size:           1
        .value_kind:     by_value
      - .offset:         170
        .size:           1
        .value_kind:     by_value
    .group_segment_fixed_size: 0
    .kernarg_segment_align: 8
    .kernarg_segment_size: 172
    .language:       OpenCL C
    .language_version:
      - 2
      - 0
    .max_flat_workgroup_size: 1024
    .name:           _ZN9rocsparseL41csrgemm_numeric_fill_block_per_row_kernelILj1024ELj64ELj16384ELj137ELj64Eii21rocsparse_complex_numIdEEEvT5_PKS3_S5_NS_24const_host_device_scalarIT6_EEPKT4_S5_PKS7_SB_S5_SD_S8_SB_S5_SD_SB_S5_PS7_21rocsparse_index_base_SF_SF_SF_bbb
    .private_segment_fixed_size: 40
    .sgpr_count:     44
    .sgpr_spill_count: 0
    .symbol:         _ZN9rocsparseL41csrgemm_numeric_fill_block_per_row_kernelILj1024ELj64ELj16384ELj137ELj64Eii21rocsparse_complex_numIdEEEvT5_PKS3_S5_NS_24const_host_device_scalarIT6_EEPKT4_S5_PKS7_SB_S5_SD_S8_SB_S5_SD_SB_S5_PS7_21rocsparse_index_base_SF_SF_SF_bbb.kd
    .uniform_work_group_size: 1
    .uses_dynamic_stack: false
    .vgpr_count:     30
    .vgpr_spill_count: 0
    .wavefront_size: 32
  - .args:
      - .offset:         0
        .size:           4
        .value_kind:     by_value
      - .actual_access:  read_only
        .address_space:  global
        .offset:         8
        .size:           8
        .value_kind:     global_buffer
      - .actual_access:  read_only
        .address_space:  global
        .offset:         16
        .size:           8
        .value_kind:     global_buffer
      - .offset:         24
        .size:           16
        .value_kind:     by_value
      - .actual_access:  read_only
        .address_space:  global
        .offset:         40
        .size:           8
        .value_kind:     global_buffer
      - .actual_access:  read_only
        .address_space:  global
        .offset:         48
        .size:           8
        .value_kind:     global_buffer
      - .actual_access:  read_only
        .address_space:  global
        .offset:         56
        .size:           8
        .value_kind:     global_buffer
      - .actual_access:  read_only
        .address_space:  global
        .offset:         64
        .size:           8
        .value_kind:     global_buffer
      - .actual_access:  read_only
        .address_space:  global
        .offset:         72
        .size:           8
        .value_kind:     global_buffer
      - .actual_access:  read_only
        .address_space:  global
        .offset:         80
        .size:           8
        .value_kind:     global_buffer
      - .offset:         88
        .size:           16
        .value_kind:     by_value
      - .actual_access:  read_only
        .address_space:  global
        .offset:         104
        .size:           8
        .value_kind:     global_buffer
      - .actual_access:  read_only
        .address_space:  global
        .offset:         112
        .size:           8
        .value_kind:     global_buffer
      - .actual_access:  read_only
        .address_space:  global
        .offset:         120
        .size:           8
        .value_kind:     global_buffer
      - .actual_access:  read_only
        .address_space:  global
        .offset:         128
        .size:           8
        .value_kind:     global_buffer
      - .actual_access:  read_only
        .address_space:  global
        .offset:         136
        .size:           8
        .value_kind:     global_buffer
      - .actual_access:  write_only
        .address_space:  global
        .offset:         144
        .size:           8
        .value_kind:     global_buffer
      - .offset:         152
        .size:           4
        .value_kind:     by_value
      - .offset:         156
        .size:           4
        .value_kind:     by_value
      - .offset:         160
        .size:           4
        .value_kind:     by_value
      - .offset:         164
        .size:           4
        .value_kind:     by_value
      - .offset:         168
        .size:           1
        .value_kind:     by_value
      - .offset:         169
        .size:           1
        .value_kind:     by_value
      - .offset:         170
        .size:           1
        .value_kind:     by_value
    .group_segment_fixed_size: 0
    .kernarg_segment_align: 8
    .kernarg_segment_size: 172
    .language:       OpenCL C
    .language_version:
      - 2
      - 0
    .max_flat_workgroup_size: 1024
    .name:           _ZN9rocsparseL41csrgemm_numeric_fill_block_per_row_kernelILj1024ELj64ELj32768ELj137ELj32Eii21rocsparse_complex_numIdEEEvT5_PKS3_S5_NS_24const_host_device_scalarIT6_EEPKT4_S5_PKS7_SB_S5_SD_S8_SB_S5_SD_SB_S5_PS7_21rocsparse_index_base_SF_SF_SF_bbb
    .private_segment_fixed_size: 40
    .sgpr_count:     76
    .sgpr_spill_count: 0
    .symbol:         _ZN9rocsparseL41csrgemm_numeric_fill_block_per_row_kernelILj1024ELj64ELj32768ELj137ELj32Eii21rocsparse_complex_numIdEEEvT5_PKS3_S5_NS_24const_host_device_scalarIT6_EEPKT4_S5_PKS7_SB_S5_SD_S8_SB_S5_SD_SB_S5_PS7_21rocsparse_index_base_SF_SF_SF_bbb.kd
    .uniform_work_group_size: 1
    .uses_dynamic_stack: false
    .vgpr_count:     29
    .vgpr_spill_count: 0
    .wavefront_size: 32
  - .args:
      - .offset:         0
        .size:           4
        .value_kind:     by_value
      - .actual_access:  read_only
        .address_space:  global
        .offset:         8
        .size:           8
        .value_kind:     global_buffer
      - .actual_access:  read_only
        .address_space:  global
        .offset:         16
        .size:           8
        .value_kind:     global_buffer
      - .offset:         24
        .size:           16
        .value_kind:     by_value
      - .actual_access:  read_only
        .address_space:  global
        .offset:         40
        .size:           8
        .value_kind:     global_buffer
      - .actual_access:  read_only
        .address_space:  global
        .offset:         48
        .size:           8
        .value_kind:     global_buffer
      - .actual_access:  read_only
        .address_space:  global
        .offset:         56
        .size:           8
        .value_kind:     global_buffer
      - .actual_access:  read_only
        .address_space:  global
        .offset:         64
        .size:           8
        .value_kind:     global_buffer
      - .actual_access:  read_only
        .address_space:  global
        .offset:         72
        .size:           8
        .value_kind:     global_buffer
      - .actual_access:  read_only
        .address_space:  global
        .offset:         80
        .size:           8
        .value_kind:     global_buffer
      - .offset:         88
        .size:           16
        .value_kind:     by_value
      - .actual_access:  read_only
        .address_space:  global
        .offset:         104
        .size:           8
        .value_kind:     global_buffer
      - .actual_access:  read_only
        .address_space:  global
        .offset:         112
        .size:           8
        .value_kind:     global_buffer
      - .actual_access:  read_only
        .address_space:  global
        .offset:         120
        .size:           8
        .value_kind:     global_buffer
      - .actual_access:  read_only
        .address_space:  global
        .offset:         128
        .size:           8
        .value_kind:     global_buffer
      - .actual_access:  read_only
        .address_space:  global
        .offset:         136
        .size:           8
        .value_kind:     global_buffer
      - .actual_access:  write_only
        .address_space:  global
        .offset:         144
        .size:           8
        .value_kind:     global_buffer
      - .offset:         152
        .size:           4
        .value_kind:     by_value
      - .offset:         156
        .size:           4
        .value_kind:     by_value
      - .offset:         160
        .size:           4
        .value_kind:     by_value
      - .offset:         164
        .size:           4
        .value_kind:     by_value
      - .offset:         168
        .size:           1
        .value_kind:     by_value
      - .offset:         169
        .size:           1
        .value_kind:     by_value
      - .offset:         170
        .size:           1
        .value_kind:     by_value
    .group_segment_fixed_size: 0
    .kernarg_segment_align: 8
    .kernarg_segment_size: 172
    .language:       OpenCL C
    .language_version:
      - 2
      - 0
    .max_flat_workgroup_size: 1024
    .name:           _ZN9rocsparseL41csrgemm_numeric_fill_block_per_row_kernelILj1024ELj64ELj32768ELj137ELj64Eii21rocsparse_complex_numIdEEEvT5_PKS3_S5_NS_24const_host_device_scalarIT6_EEPKT4_S5_PKS7_SB_S5_SD_S8_SB_S5_SD_SB_S5_PS7_21rocsparse_index_base_SF_SF_SF_bbb
    .private_segment_fixed_size: 40
    .sgpr_count:     44
    .sgpr_spill_count: 0
    .symbol:         _ZN9rocsparseL41csrgemm_numeric_fill_block_per_row_kernelILj1024ELj64ELj32768ELj137ELj64Eii21rocsparse_complex_numIdEEEvT5_PKS3_S5_NS_24const_host_device_scalarIT6_EEPKT4_S5_PKS7_SB_S5_SD_S8_SB_S5_SD_SB_S5_PS7_21rocsparse_index_base_SF_SF_SF_bbb.kd
    .uniform_work_group_size: 1
    .uses_dynamic_stack: false
    .vgpr_count:     30
    .vgpr_spill_count: 0
    .wavefront_size: 32
  - .args:
      - .offset:         0
        .size:           4
        .value_kind:     by_value
      - .actual_access:  read_only
        .address_space:  global
        .offset:         8
        .size:           8
        .value_kind:     global_buffer
      - .actual_access:  read_only
        .address_space:  global
        .offset:         16
        .size:           8
        .value_kind:     global_buffer
      - .offset:         24
        .size:           16
        .value_kind:     by_value
      - .actual_access:  read_only
        .address_space:  global
        .offset:         40
        .size:           8
        .value_kind:     global_buffer
      - .actual_access:  read_only
        .address_space:  global
        .offset:         48
        .size:           8
        .value_kind:     global_buffer
      - .actual_access:  read_only
        .address_space:  global
        .offset:         56
        .size:           8
        .value_kind:     global_buffer
      - .actual_access:  read_only
        .address_space:  global
        .offset:         64
        .size:           8
        .value_kind:     global_buffer
      - .actual_access:  read_only
        .address_space:  global
        .offset:         72
        .size:           8
        .value_kind:     global_buffer
      - .actual_access:  read_only
        .address_space:  global
        .offset:         80
        .size:           8
        .value_kind:     global_buffer
      - .offset:         88
        .size:           16
        .value_kind:     by_value
      - .actual_access:  read_only
        .address_space:  global
        .offset:         104
        .size:           8
        .value_kind:     global_buffer
      - .actual_access:  read_only
        .address_space:  global
        .offset:         112
        .size:           8
        .value_kind:     global_buffer
      - .actual_access:  read_only
        .address_space:  global
        .offset:         120
        .size:           8
        .value_kind:     global_buffer
      - .actual_access:  read_only
        .address_space:  global
        .offset:         128
        .size:           8
        .value_kind:     global_buffer
      - .actual_access:  read_only
        .address_space:  global
        .offset:         136
        .size:           8
        .value_kind:     global_buffer
      - .actual_access:  write_only
        .address_space:  global
        .offset:         144
        .size:           8
        .value_kind:     global_buffer
      - .address_space:  global
        .offset:         152
        .size:           8
        .value_kind:     global_buffer
      - .offset:         160
        .size:           4
        .value_kind:     by_value
      - .offset:         164
        .size:           4
        .value_kind:     by_value
      - .offset:         168
        .size:           4
        .value_kind:     by_value
      - .offset:         172
        .size:           4
        .value_kind:     by_value
      - .offset:         176
        .size:           1
        .value_kind:     by_value
      - .offset:         177
        .size:           1
        .value_kind:     by_value
      - .offset:         178
        .size:           1
        .value_kind:     by_value
    .group_segment_fixed_size: 43016
    .kernarg_segment_align: 8
    .kernarg_segment_size: 180
    .language:       OpenCL C
    .language_version:
      - 2
      - 0
    .max_flat_workgroup_size: 512
    .name:           _ZN9rocsparseL51csrgemm_numeric_fill_block_per_row_multipass_kernelILj512ELj16ELj2048ELj32Eii21rocsparse_complex_numIdEEEvT4_PKS3_S5_NS_24const_host_device_scalarIT5_EEPKT3_S5_PKS7_SB_S5_SD_S8_SB_S5_SD_SB_S5_PS7_PS9_21rocsparse_index_base_SG_SG_SG_bbb
    .private_segment_fixed_size: 24
    .sgpr_count:     58
    .sgpr_spill_count: 0
    .symbol:         _ZN9rocsparseL51csrgemm_numeric_fill_block_per_row_multipass_kernelILj512ELj16ELj2048ELj32Eii21rocsparse_complex_numIdEEEvT4_PKS3_S5_NS_24const_host_device_scalarIT5_EEPKT3_S5_PKS7_SB_S5_SD_S8_SB_S5_SD_SB_S5_PS7_PS9_21rocsparse_index_base_SG_SG_SG_bbb.kd
    .uniform_work_group_size: 1
    .uses_dynamic_stack: false
    .vgpr_count:     48
    .vgpr_spill_count: 0
    .wavefront_size: 32
  - .args:
      - .offset:         0
        .size:           4
        .value_kind:     by_value
      - .actual_access:  read_only
        .address_space:  global
        .offset:         8
        .size:           8
        .value_kind:     global_buffer
      - .actual_access:  read_only
        .address_space:  global
        .offset:         16
        .size:           8
        .value_kind:     global_buffer
      - .offset:         24
        .size:           16
        .value_kind:     by_value
      - .actual_access:  read_only
        .address_space:  global
        .offset:         40
        .size:           8
        .value_kind:     global_buffer
      - .actual_access:  read_only
        .address_space:  global
        .offset:         48
        .size:           8
        .value_kind:     global_buffer
      - .actual_access:  read_only
        .address_space:  global
        .offset:         56
        .size:           8
        .value_kind:     global_buffer
      - .actual_access:  read_only
        .address_space:  global
        .offset:         64
        .size:           8
        .value_kind:     global_buffer
      - .actual_access:  read_only
        .address_space:  global
        .offset:         72
        .size:           8
        .value_kind:     global_buffer
      - .actual_access:  read_only
        .address_space:  global
        .offset:         80
        .size:           8
        .value_kind:     global_buffer
      - .offset:         88
        .size:           16
        .value_kind:     by_value
      - .actual_access:  read_only
        .address_space:  global
        .offset:         104
        .size:           8
        .value_kind:     global_buffer
      - .actual_access:  read_only
        .address_space:  global
        .offset:         112
        .size:           8
        .value_kind:     global_buffer
      - .actual_access:  read_only
        .address_space:  global
        .offset:         120
        .size:           8
        .value_kind:     global_buffer
      - .actual_access:  read_only
        .address_space:  global
        .offset:         128
        .size:           8
        .value_kind:     global_buffer
      - .actual_access:  read_only
        .address_space:  global
        .offset:         136
        .size:           8
        .value_kind:     global_buffer
      - .actual_access:  write_only
        .address_space:  global
        .offset:         144
        .size:           8
        .value_kind:     global_buffer
      - .address_space:  global
        .offset:         152
        .size:           8
        .value_kind:     global_buffer
      - .offset:         160
        .size:           4
        .value_kind:     by_value
      - .offset:         164
        .size:           4
        .value_kind:     by_value
      - .offset:         168
        .size:           4
        .value_kind:     by_value
      - .offset:         172
        .size:           4
        .value_kind:     by_value
      - .offset:         176
        .size:           1
        .value_kind:     by_value
      - .offset:         177
        .size:           1
        .value_kind:     by_value
      - .offset:         178
        .size:           1
        .value_kind:     by_value
    .group_segment_fixed_size: 43016
    .kernarg_segment_align: 8
    .kernarg_segment_size: 180
    .language:       OpenCL C
    .language_version:
      - 2
      - 0
    .max_flat_workgroup_size: 512
    .name:           _ZN9rocsparseL51csrgemm_numeric_fill_block_per_row_multipass_kernelILj512ELj16ELj2048ELj64Eii21rocsparse_complex_numIdEEEvT4_PKS3_S5_NS_24const_host_device_scalarIT5_EEPKT3_S5_PKS7_SB_S5_SD_S8_SB_S5_SD_SB_S5_PS7_PS9_21rocsparse_index_base_SG_SG_SG_bbb
    .private_segment_fixed_size: 24
    .sgpr_count:     50
    .sgpr_spill_count: 0
    .symbol:         _ZN9rocsparseL51csrgemm_numeric_fill_block_per_row_multipass_kernelILj512ELj16ELj2048ELj64Eii21rocsparse_complex_numIdEEEvT4_PKS3_S5_NS_24const_host_device_scalarIT5_EEPKT3_S5_PKS7_SB_S5_SD_S8_SB_S5_SD_SB_S5_PS7_PS9_21rocsparse_index_base_SG_SG_SG_bbb.kd
    .uniform_work_group_size: 1
    .uses_dynamic_stack: false
    .vgpr_count:     48
    .vgpr_spill_count: 0
    .wavefront_size: 32
  - .args:
      - .offset:         0
        .size:           8
        .value_kind:     by_value
      - .offset:         8
        .size:           8
        .value_kind:     by_value
      - .actual_access:  read_only
        .address_space:  global
        .offset:         16
        .size:           8
        .value_kind:     global_buffer
      - .actual_access:  read_only
        .address_space:  global
        .offset:         24
        .size:           8
        .value_kind:     global_buffer
      - .offset:         32
        .size:           8
        .value_kind:     by_value
      - .actual_access:  read_only
        .address_space:  global
        .offset:         40
        .size:           8
        .value_kind:     global_buffer
      - .actual_access:  read_only
        .address_space:  global
        .offset:         48
        .size:           8
        .value_kind:     global_buffer
      - .actual_access:  read_only
        .address_space:  global
        .offset:         56
        .size:           8
        .value_kind:     global_buffer
      - .actual_access:  read_only
        .address_space:  global
        .offset:         64
        .size:           8
        .value_kind:     global_buffer
      - .actual_access:  read_only
        .address_space:  global
        .offset:         72
        .size:           8
        .value_kind:     global_buffer
      - .actual_access:  read_only
        .address_space:  global
        .offset:         80
        .size:           8
        .value_kind:     global_buffer
      - .offset:         88
        .size:           8
        .value_kind:     by_value
      - .actual_access:  read_only
        .address_space:  global
        .offset:         96
        .size:           8
        .value_kind:     global_buffer
      - .actual_access:  read_only
        .address_space:  global
        .offset:         104
        .size:           8
        .value_kind:     global_buffer
      - .actual_access:  read_only
        .address_space:  global
        .offset:         112
        .size:           8
        .value_kind:     global_buffer
      - .actual_access:  read_only
        .address_space:  global
        .offset:         120
        .size:           8
        .value_kind:     global_buffer
      - .actual_access:  read_only
        .address_space:  global
        .offset:         128
        .size:           8
        .value_kind:     global_buffer
      - .actual_access:  write_only
        .address_space:  global
        .offset:         136
        .size:           8
        .value_kind:     global_buffer
      - .offset:         144
        .size:           4
        .value_kind:     by_value
      - .offset:         148
        .size:           4
        .value_kind:     by_value
      - .offset:         152
        .size:           4
        .value_kind:     by_value
      - .offset:         156
        .size:           4
        .value_kind:     by_value
      - .offset:         160
        .size:           1
        .value_kind:     by_value
      - .offset:         161
        .size:           1
        .value_kind:     by_value
      - .offset:         162
        .size:           1
        .value_kind:     by_value
    .group_segment_fixed_size: 6144
    .kernarg_segment_align: 8
    .kernarg_segment_size: 164
    .language:       OpenCL C
    .language_version:
      - 2
      - 0
    .max_flat_workgroup_size: 256
    .name:           _ZN9rocsparseL38csrgemm_numeric_fill_wf_per_row_kernelILj256ELj8ELj16ELj137EllfEEvT4_S1_PKS1_S3_NS_24const_host_device_scalarIT5_EEPKT3_S3_PKS5_S9_S3_SB_S6_S9_S3_SB_S9_S3_PS5_21rocsparse_index_base_SD_SD_SD_bbb
    .private_segment_fixed_size: 0
    .sgpr_count:     45
    .sgpr_spill_count: 0
    .symbol:         _ZN9rocsparseL38csrgemm_numeric_fill_wf_per_row_kernelILj256ELj8ELj16ELj137EllfEEvT4_S1_PKS1_S3_NS_24const_host_device_scalarIT5_EEPKT3_S3_PKS5_S9_S3_SB_S6_S9_S3_SB_S9_S3_PS5_21rocsparse_index_base_SD_SD_SD_bbb.kd
    .uniform_work_group_size: 1
    .uses_dynamic_stack: false
    .vgpr_count:     27
    .vgpr_spill_count: 0
    .wavefront_size: 32
  - .args:
      - .offset:         0
        .size:           8
        .value_kind:     by_value
      - .offset:         8
        .size:           8
        .value_kind:     by_value
      - .actual_access:  read_only
        .address_space:  global
        .offset:         16
        .size:           8
        .value_kind:     global_buffer
      - .actual_access:  read_only
        .address_space:  global
        .offset:         24
        .size:           8
        .value_kind:     global_buffer
      - .offset:         32
        .size:           8
        .value_kind:     by_value
      - .actual_access:  read_only
        .address_space:  global
        .offset:         40
        .size:           8
        .value_kind:     global_buffer
      - .actual_access:  read_only
        .address_space:  global
        .offset:         48
        .size:           8
        .value_kind:     global_buffer
      - .actual_access:  read_only
        .address_space:  global
        .offset:         56
        .size:           8
        .value_kind:     global_buffer
      - .actual_access:  read_only
        .address_space:  global
        .offset:         64
        .size:           8
        .value_kind:     global_buffer
      - .actual_access:  read_only
        .address_space:  global
        .offset:         72
        .size:           8
        .value_kind:     global_buffer
      - .actual_access:  read_only
        .address_space:  global
        .offset:         80
        .size:           8
        .value_kind:     global_buffer
      - .offset:         88
        .size:           8
        .value_kind:     by_value
      - .actual_access:  read_only
        .address_space:  global
        .offset:         96
        .size:           8
        .value_kind:     global_buffer
      - .actual_access:  read_only
        .address_space:  global
        .offset:         104
        .size:           8
        .value_kind:     global_buffer
      - .actual_access:  read_only
        .address_space:  global
        .offset:         112
        .size:           8
        .value_kind:     global_buffer
      - .actual_access:  read_only
        .address_space:  global
        .offset:         120
        .size:           8
        .value_kind:     global_buffer
      - .actual_access:  read_only
        .address_space:  global
        .offset:         128
        .size:           8
        .value_kind:     global_buffer
      - .actual_access:  write_only
        .address_space:  global
        .offset:         136
        .size:           8
        .value_kind:     global_buffer
      - .offset:         144
        .size:           4
        .value_kind:     by_value
      - .offset:         148
        .size:           4
        .value_kind:     by_value
      - .offset:         152
        .size:           4
        .value_kind:     by_value
      - .offset:         156
        .size:           4
        .value_kind:     by_value
      - .offset:         160
        .size:           1
        .value_kind:     by_value
      - .offset:         161
        .size:           1
        .value_kind:     by_value
      - .offset:         162
        .size:           1
        .value_kind:     by_value
    .group_segment_fixed_size: 6144
    .kernarg_segment_align: 8
    .kernarg_segment_size: 164
    .language:       OpenCL C
    .language_version:
      - 2
      - 0
    .max_flat_workgroup_size: 256
    .name:           _ZN9rocsparseL38csrgemm_numeric_fill_wf_per_row_kernelILj256ELj16ELj32ELj137EllfEEvT4_S1_PKS1_S3_NS_24const_host_device_scalarIT5_EEPKT3_S3_PKS5_S9_S3_SB_S6_S9_S3_SB_S9_S3_PS5_21rocsparse_index_base_SD_SD_SD_bbb
    .private_segment_fixed_size: 0
    .sgpr_count:     45
    .sgpr_spill_count: 0
    .symbol:         _ZN9rocsparseL38csrgemm_numeric_fill_wf_per_row_kernelILj256ELj16ELj32ELj137EllfEEvT4_S1_PKS1_S3_NS_24const_host_device_scalarIT5_EEPKT3_S3_PKS5_S9_S3_SB_S6_S9_S3_SB_S9_S3_PS5_21rocsparse_index_base_SD_SD_SD_bbb.kd
    .uniform_work_group_size: 1
    .uses_dynamic_stack: false
    .vgpr_count:     27
    .vgpr_spill_count: 0
    .wavefront_size: 32
  - .args:
      - .offset:         0
        .size:           8
        .value_kind:     by_value
      - .actual_access:  read_only
        .address_space:  global
        .offset:         8
        .size:           8
        .value_kind:     global_buffer
      - .actual_access:  read_only
        .address_space:  global
        .offset:         16
        .size:           8
        .value_kind:     global_buffer
      - .offset:         24
        .size:           8
        .value_kind:     by_value
      - .actual_access:  read_only
        .address_space:  global
        .offset:         32
        .size:           8
        .value_kind:     global_buffer
      - .actual_access:  read_only
        .address_space:  global
        .offset:         40
        .size:           8
        .value_kind:     global_buffer
      - .actual_access:  read_only
        .address_space:  global
        .offset:         48
        .size:           8
        .value_kind:     global_buffer
      - .actual_access:  read_only
        .address_space:  global
        .offset:         56
        .size:           8
        .value_kind:     global_buffer
      - .actual_access:  read_only
        .address_space:  global
        .offset:         64
        .size:           8
        .value_kind:     global_buffer
      - .actual_access:  read_only
        .address_space:  global
        .offset:         72
        .size:           8
        .value_kind:     global_buffer
      - .offset:         80
        .size:           8
        .value_kind:     by_value
      - .actual_access:  read_only
        .address_space:  global
        .offset:         88
        .size:           8
        .value_kind:     global_buffer
      - .actual_access:  read_only
        .address_space:  global
        .offset:         96
        .size:           8
        .value_kind:     global_buffer
      - .actual_access:  read_only
        .address_space:  global
        .offset:         104
        .size:           8
        .value_kind:     global_buffer
      - .actual_access:  read_only
        .address_space:  global
        .offset:         112
        .size:           8
        .value_kind:     global_buffer
      - .actual_access:  read_only
        .address_space:  global
        .offset:         120
        .size:           8
        .value_kind:     global_buffer
      - .actual_access:  write_only
        .address_space:  global
        .offset:         128
        .size:           8
        .value_kind:     global_buffer
      - .offset:         136
        .size:           4
        .value_kind:     by_value
      - .offset:         140
        .size:           4
        .value_kind:     by_value
      - .offset:         144
        .size:           4
        .value_kind:     by_value
      - .offset:         148
        .size:           4
        .value_kind:     by_value
      - .offset:         152
        .size:           1
        .value_kind:     by_value
      - .offset:         153
        .size:           1
        .value_kind:     by_value
      - .offset:         154
        .size:           1
        .value_kind:     by_value
    .group_segment_fixed_size: 0
    .kernarg_segment_align: 8
    .kernarg_segment_size: 156
    .language:       OpenCL C
    .language_version:
      - 2
      - 0
    .max_flat_workgroup_size: 128
    .name:           _ZN9rocsparseL41csrgemm_numeric_fill_block_per_row_kernelILj128ELj16ELj256ELj137ELj32EllfEEvT5_PKS1_S3_NS_24const_host_device_scalarIT6_EEPKT4_S3_PKS5_S9_S3_SB_S6_S9_S3_SB_S9_S3_PS5_21rocsparse_index_base_SD_SD_SD_bbb
    .private_segment_fixed_size: 0
    .sgpr_count:     50
    .sgpr_spill_count: 0
    .symbol:         _ZN9rocsparseL41csrgemm_numeric_fill_block_per_row_kernelILj128ELj16ELj256ELj137ELj32EllfEEvT5_PKS1_S3_NS_24const_host_device_scalarIT6_EEPKT4_S3_PKS5_S9_S3_SB_S6_S9_S3_SB_S9_S3_PS5_21rocsparse_index_base_SD_SD_SD_bbb.kd
    .uniform_work_group_size: 1
    .uses_dynamic_stack: false
    .vgpr_count:     23
    .vgpr_spill_count: 0
    .wavefront_size: 32
  - .args:
      - .offset:         0
        .size:           8
        .value_kind:     by_value
      - .actual_access:  read_only
        .address_space:  global
        .offset:         8
        .size:           8
        .value_kind:     global_buffer
      - .actual_access:  read_only
        .address_space:  global
        .offset:         16
        .size:           8
        .value_kind:     global_buffer
      - .offset:         24
        .size:           8
        .value_kind:     by_value
      - .actual_access:  read_only
        .address_space:  global
        .offset:         32
        .size:           8
        .value_kind:     global_buffer
      - .actual_access:  read_only
        .address_space:  global
        .offset:         40
        .size:           8
        .value_kind:     global_buffer
      - .actual_access:  read_only
        .address_space:  global
        .offset:         48
        .size:           8
        .value_kind:     global_buffer
      - .actual_access:  read_only
        .address_space:  global
        .offset:         56
        .size:           8
        .value_kind:     global_buffer
      - .actual_access:  read_only
        .address_space:  global
        .offset:         64
        .size:           8
        .value_kind:     global_buffer
      - .actual_access:  read_only
        .address_space:  global
        .offset:         72
        .size:           8
        .value_kind:     global_buffer
      - .offset:         80
        .size:           8
        .value_kind:     by_value
      - .actual_access:  read_only
        .address_space:  global
        .offset:         88
        .size:           8
        .value_kind:     global_buffer
      - .actual_access:  read_only
        .address_space:  global
        .offset:         96
        .size:           8
        .value_kind:     global_buffer
      - .actual_access:  read_only
        .address_space:  global
        .offset:         104
        .size:           8
        .value_kind:     global_buffer
      - .actual_access:  read_only
        .address_space:  global
        .offset:         112
        .size:           8
        .value_kind:     global_buffer
      - .actual_access:  read_only
        .address_space:  global
        .offset:         120
        .size:           8
        .value_kind:     global_buffer
      - .actual_access:  write_only
        .address_space:  global
        .offset:         128
        .size:           8
        .value_kind:     global_buffer
      - .offset:         136
        .size:           4
        .value_kind:     by_value
      - .offset:         140
        .size:           4
        .value_kind:     by_value
      - .offset:         144
        .size:           4
        .value_kind:     by_value
      - .offset:         148
        .size:           4
        .value_kind:     by_value
      - .offset:         152
        .size:           1
        .value_kind:     by_value
      - .offset:         153
        .size:           1
        .value_kind:     by_value
      - .offset:         154
        .size:           1
        .value_kind:     by_value
    .group_segment_fixed_size: 0
    .kernarg_segment_align: 8
    .kernarg_segment_size: 156
    .language:       OpenCL C
    .language_version:
      - 2
      - 0
    .max_flat_workgroup_size: 128
    .name:           _ZN9rocsparseL41csrgemm_numeric_fill_block_per_row_kernelILj128ELj16ELj256ELj137ELj64EllfEEvT5_PKS1_S3_NS_24const_host_device_scalarIT6_EEPKT4_S3_PKS5_S9_S3_SB_S6_S9_S3_SB_S9_S3_PS5_21rocsparse_index_base_SD_SD_SD_bbb
    .private_segment_fixed_size: 0
    .sgpr_count:     50
    .sgpr_spill_count: 0
    .symbol:         _ZN9rocsparseL41csrgemm_numeric_fill_block_per_row_kernelILj128ELj16ELj256ELj137ELj64EllfEEvT5_PKS1_S3_NS_24const_host_device_scalarIT6_EEPKT4_S3_PKS5_S9_S3_SB_S6_S9_S3_SB_S9_S3_PS5_21rocsparse_index_base_SD_SD_SD_bbb.kd
    .uniform_work_group_size: 1
    .uses_dynamic_stack: false
    .vgpr_count:     23
    .vgpr_spill_count: 0
    .wavefront_size: 32
  - .args:
      - .offset:         0
        .size:           8
        .value_kind:     by_value
      - .actual_access:  read_only
        .address_space:  global
        .offset:         8
        .size:           8
        .value_kind:     global_buffer
      - .actual_access:  read_only
        .address_space:  global
        .offset:         16
        .size:           8
        .value_kind:     global_buffer
      - .offset:         24
        .size:           8
        .value_kind:     by_value
      - .actual_access:  read_only
        .address_space:  global
        .offset:         32
        .size:           8
        .value_kind:     global_buffer
      - .actual_access:  read_only
        .address_space:  global
        .offset:         40
        .size:           8
        .value_kind:     global_buffer
      - .actual_access:  read_only
        .address_space:  global
        .offset:         48
        .size:           8
        .value_kind:     global_buffer
      - .actual_access:  read_only
        .address_space:  global
        .offset:         56
        .size:           8
        .value_kind:     global_buffer
      - .actual_access:  read_only
        .address_space:  global
        .offset:         64
        .size:           8
        .value_kind:     global_buffer
      - .actual_access:  read_only
        .address_space:  global
        .offset:         72
        .size:           8
        .value_kind:     global_buffer
      - .offset:         80
        .size:           8
        .value_kind:     by_value
      - .actual_access:  read_only
        .address_space:  global
        .offset:         88
        .size:           8
        .value_kind:     global_buffer
      - .actual_access:  read_only
        .address_space:  global
        .offset:         96
        .size:           8
        .value_kind:     global_buffer
      - .actual_access:  read_only
        .address_space:  global
        .offset:         104
        .size:           8
        .value_kind:     global_buffer
      - .actual_access:  read_only
        .address_space:  global
        .offset:         112
        .size:           8
        .value_kind:     global_buffer
      - .actual_access:  read_only
        .address_space:  global
        .offset:         120
        .size:           8
        .value_kind:     global_buffer
      - .actual_access:  write_only
        .address_space:  global
        .offset:         128
        .size:           8
        .value_kind:     global_buffer
      - .offset:         136
        .size:           4
        .value_kind:     by_value
      - .offset:         140
        .size:           4
        .value_kind:     by_value
      - .offset:         144
        .size:           4
        .value_kind:     by_value
      - .offset:         148
        .size:           4
        .value_kind:     by_value
      - .offset:         152
        .size:           1
        .value_kind:     by_value
      - .offset:         153
        .size:           1
        .value_kind:     by_value
      - .offset:         154
        .size:           1
        .value_kind:     by_value
    .group_segment_fixed_size: 0
    .kernarg_segment_align: 8
    .kernarg_segment_size: 156
    .language:       OpenCL C
    .language_version:
      - 2
      - 0
    .max_flat_workgroup_size: 256
    .name:           _ZN9rocsparseL41csrgemm_numeric_fill_block_per_row_kernelILj256ELj32ELj512ELj137ELj32EllfEEvT5_PKS1_S3_NS_24const_host_device_scalarIT6_EEPKT4_S3_PKS5_S9_S3_SB_S6_S9_S3_SB_S9_S3_PS5_21rocsparse_index_base_SD_SD_SD_bbb
    .private_segment_fixed_size: 0
    .sgpr_count:     50
    .sgpr_spill_count: 0
    .symbol:         _ZN9rocsparseL41csrgemm_numeric_fill_block_per_row_kernelILj256ELj32ELj512ELj137ELj32EllfEEvT5_PKS1_S3_NS_24const_host_device_scalarIT6_EEPKT4_S3_PKS5_S9_S3_SB_S6_S9_S3_SB_S9_S3_PS5_21rocsparse_index_base_SD_SD_SD_bbb.kd
    .uniform_work_group_size: 1
    .uses_dynamic_stack: false
    .vgpr_count:     24
    .vgpr_spill_count: 0
    .wavefront_size: 32
  - .args:
      - .offset:         0
        .size:           8
        .value_kind:     by_value
      - .actual_access:  read_only
        .address_space:  global
        .offset:         8
        .size:           8
        .value_kind:     global_buffer
      - .actual_access:  read_only
        .address_space:  global
        .offset:         16
        .size:           8
        .value_kind:     global_buffer
      - .offset:         24
        .size:           8
        .value_kind:     by_value
      - .actual_access:  read_only
        .address_space:  global
        .offset:         32
        .size:           8
        .value_kind:     global_buffer
      - .actual_access:  read_only
        .address_space:  global
        .offset:         40
        .size:           8
        .value_kind:     global_buffer
      - .actual_access:  read_only
        .address_space:  global
        .offset:         48
        .size:           8
        .value_kind:     global_buffer
      - .actual_access:  read_only
        .address_space:  global
        .offset:         56
        .size:           8
        .value_kind:     global_buffer
      - .actual_access:  read_only
        .address_space:  global
        .offset:         64
        .size:           8
        .value_kind:     global_buffer
      - .actual_access:  read_only
        .address_space:  global
        .offset:         72
        .size:           8
        .value_kind:     global_buffer
      - .offset:         80
        .size:           8
        .value_kind:     by_value
      - .actual_access:  read_only
        .address_space:  global
        .offset:         88
        .size:           8
        .value_kind:     global_buffer
      - .actual_access:  read_only
        .address_space:  global
        .offset:         96
        .size:           8
        .value_kind:     global_buffer
      - .actual_access:  read_only
        .address_space:  global
        .offset:         104
        .size:           8
        .value_kind:     global_buffer
      - .actual_access:  read_only
        .address_space:  global
        .offset:         112
        .size:           8
        .value_kind:     global_buffer
      - .actual_access:  read_only
        .address_space:  global
        .offset:         120
        .size:           8
        .value_kind:     global_buffer
      - .actual_access:  write_only
        .address_space:  global
        .offset:         128
        .size:           8
        .value_kind:     global_buffer
      - .offset:         136
        .size:           4
        .value_kind:     by_value
      - .offset:         140
        .size:           4
        .value_kind:     by_value
      - .offset:         144
        .size:           4
        .value_kind:     by_value
      - .offset:         148
        .size:           4
        .value_kind:     by_value
      - .offset:         152
        .size:           1
        .value_kind:     by_value
      - .offset:         153
        .size:           1
        .value_kind:     by_value
      - .offset:         154
        .size:           1
        .value_kind:     by_value
    .group_segment_fixed_size: 0
    .kernarg_segment_align: 8
    .kernarg_segment_size: 156
    .language:       OpenCL C
    .language_version:
      - 2
      - 0
    .max_flat_workgroup_size: 256
    .name:           _ZN9rocsparseL41csrgemm_numeric_fill_block_per_row_kernelILj256ELj32ELj512ELj137ELj64EllfEEvT5_PKS1_S3_NS_24const_host_device_scalarIT6_EEPKT4_S3_PKS5_S9_S3_SB_S6_S9_S3_SB_S9_S3_PS5_21rocsparse_index_base_SD_SD_SD_bbb
    .private_segment_fixed_size: 0
    .sgpr_count:     50
    .sgpr_spill_count: 0
    .symbol:         _ZN9rocsparseL41csrgemm_numeric_fill_block_per_row_kernelILj256ELj32ELj512ELj137ELj64EllfEEvT5_PKS1_S3_NS_24const_host_device_scalarIT6_EEPKT4_S3_PKS5_S9_S3_SB_S6_S9_S3_SB_S9_S3_PS5_21rocsparse_index_base_SD_SD_SD_bbb.kd
    .uniform_work_group_size: 1
    .uses_dynamic_stack: false
    .vgpr_count:     23
    .vgpr_spill_count: 0
    .wavefront_size: 32
  - .args:
      - .offset:         0
        .size:           8
        .value_kind:     by_value
      - .actual_access:  read_only
        .address_space:  global
        .offset:         8
        .size:           8
        .value_kind:     global_buffer
      - .actual_access:  read_only
        .address_space:  global
        .offset:         16
        .size:           8
        .value_kind:     global_buffer
      - .offset:         24
        .size:           8
        .value_kind:     by_value
      - .actual_access:  read_only
        .address_space:  global
        .offset:         32
        .size:           8
        .value_kind:     global_buffer
      - .actual_access:  read_only
        .address_space:  global
        .offset:         40
        .size:           8
        .value_kind:     global_buffer
      - .actual_access:  read_only
        .address_space:  global
        .offset:         48
        .size:           8
        .value_kind:     global_buffer
      - .actual_access:  read_only
        .address_space:  global
        .offset:         56
        .size:           8
        .value_kind:     global_buffer
      - .actual_access:  read_only
        .address_space:  global
        .offset:         64
        .size:           8
        .value_kind:     global_buffer
      - .actual_access:  read_only
        .address_space:  global
        .offset:         72
        .size:           8
        .value_kind:     global_buffer
      - .offset:         80
        .size:           8
        .value_kind:     by_value
      - .actual_access:  read_only
        .address_space:  global
        .offset:         88
        .size:           8
        .value_kind:     global_buffer
      - .actual_access:  read_only
        .address_space:  global
        .offset:         96
        .size:           8
        .value_kind:     global_buffer
      - .actual_access:  read_only
        .address_space:  global
        .offset:         104
        .size:           8
        .value_kind:     global_buffer
      - .actual_access:  read_only
        .address_space:  global
        .offset:         112
        .size:           8
        .value_kind:     global_buffer
      - .actual_access:  read_only
        .address_space:  global
        .offset:         120
        .size:           8
        .value_kind:     global_buffer
      - .actual_access:  write_only
        .address_space:  global
        .offset:         128
        .size:           8
        .value_kind:     global_buffer
      - .offset:         136
        .size:           4
        .value_kind:     by_value
      - .offset:         140
        .size:           4
        .value_kind:     by_value
      - .offset:         144
        .size:           4
        .value_kind:     by_value
      - .offset:         148
        .size:           4
        .value_kind:     by_value
      - .offset:         152
        .size:           1
        .value_kind:     by_value
      - .offset:         153
        .size:           1
        .value_kind:     by_value
      - .offset:         154
        .size:           1
        .value_kind:     by_value
    .group_segment_fixed_size: 0
    .kernarg_segment_align: 8
    .kernarg_segment_size: 156
    .language:       OpenCL C
    .language_version:
      - 2
      - 0
    .max_flat_workgroup_size: 512
    .name:           _ZN9rocsparseL41csrgemm_numeric_fill_block_per_row_kernelILj512ELj32ELj1024ELj137ELj32EllfEEvT5_PKS1_S3_NS_24const_host_device_scalarIT6_EEPKT4_S3_PKS5_S9_S3_SB_S6_S9_S3_SB_S9_S3_PS5_21rocsparse_index_base_SD_SD_SD_bbb
    .private_segment_fixed_size: 0
    .sgpr_count:     49
    .sgpr_spill_count: 0
    .symbol:         _ZN9rocsparseL41csrgemm_numeric_fill_block_per_row_kernelILj512ELj32ELj1024ELj137ELj32EllfEEvT5_PKS1_S3_NS_24const_host_device_scalarIT6_EEPKT4_S3_PKS5_S9_S3_SB_S6_S9_S3_SB_S9_S3_PS5_21rocsparse_index_base_SD_SD_SD_bbb.kd
    .uniform_work_group_size: 1
    .uses_dynamic_stack: false
    .vgpr_count:     24
    .vgpr_spill_count: 0
    .wavefront_size: 32
  - .args:
      - .offset:         0
        .size:           8
        .value_kind:     by_value
      - .actual_access:  read_only
        .address_space:  global
        .offset:         8
        .size:           8
        .value_kind:     global_buffer
      - .actual_access:  read_only
        .address_space:  global
        .offset:         16
        .size:           8
        .value_kind:     global_buffer
      - .offset:         24
        .size:           8
        .value_kind:     by_value
      - .actual_access:  read_only
        .address_space:  global
        .offset:         32
        .size:           8
        .value_kind:     global_buffer
      - .actual_access:  read_only
        .address_space:  global
        .offset:         40
        .size:           8
        .value_kind:     global_buffer
      - .actual_access:  read_only
        .address_space:  global
        .offset:         48
        .size:           8
        .value_kind:     global_buffer
      - .actual_access:  read_only
        .address_space:  global
        .offset:         56
        .size:           8
        .value_kind:     global_buffer
      - .actual_access:  read_only
        .address_space:  global
        .offset:         64
        .size:           8
        .value_kind:     global_buffer
      - .actual_access:  read_only
        .address_space:  global
        .offset:         72
        .size:           8
        .value_kind:     global_buffer
      - .offset:         80
        .size:           8
        .value_kind:     by_value
      - .actual_access:  read_only
        .address_space:  global
        .offset:         88
        .size:           8
        .value_kind:     global_buffer
      - .actual_access:  read_only
        .address_space:  global
        .offset:         96
        .size:           8
        .value_kind:     global_buffer
      - .actual_access:  read_only
        .address_space:  global
        .offset:         104
        .size:           8
        .value_kind:     global_buffer
      - .actual_access:  read_only
        .address_space:  global
        .offset:         112
        .size:           8
        .value_kind:     global_buffer
      - .actual_access:  read_only
        .address_space:  global
        .offset:         120
        .size:           8
        .value_kind:     global_buffer
      - .actual_access:  write_only
        .address_space:  global
        .offset:         128
        .size:           8
        .value_kind:     global_buffer
      - .offset:         136
        .size:           4
        .value_kind:     by_value
      - .offset:         140
        .size:           4
        .value_kind:     by_value
      - .offset:         144
        .size:           4
        .value_kind:     by_value
      - .offset:         148
        .size:           4
        .value_kind:     by_value
      - .offset:         152
        .size:           1
        .value_kind:     by_value
      - .offset:         153
        .size:           1
        .value_kind:     by_value
      - .offset:         154
        .size:           1
        .value_kind:     by_value
    .group_segment_fixed_size: 0
    .kernarg_segment_align: 8
    .kernarg_segment_size: 156
    .language:       OpenCL C
    .language_version:
      - 2
      - 0
    .max_flat_workgroup_size: 512
    .name:           _ZN9rocsparseL41csrgemm_numeric_fill_block_per_row_kernelILj512ELj32ELj1024ELj137ELj64EllfEEvT5_PKS1_S3_NS_24const_host_device_scalarIT6_EEPKT4_S3_PKS5_S9_S3_SB_S6_S9_S3_SB_S9_S3_PS5_21rocsparse_index_base_SD_SD_SD_bbb
    .private_segment_fixed_size: 0
    .sgpr_count:     49
    .sgpr_spill_count: 0
    .symbol:         _ZN9rocsparseL41csrgemm_numeric_fill_block_per_row_kernelILj512ELj32ELj1024ELj137ELj64EllfEEvT5_PKS1_S3_NS_24const_host_device_scalarIT6_EEPKT4_S3_PKS5_S9_S3_SB_S6_S9_S3_SB_S9_S3_PS5_21rocsparse_index_base_SD_SD_SD_bbb.kd
    .uniform_work_group_size: 1
    .uses_dynamic_stack: false
    .vgpr_count:     23
    .vgpr_spill_count: 0
    .wavefront_size: 32
  - .args:
      - .offset:         0
        .size:           8
        .value_kind:     by_value
      - .actual_access:  read_only
        .address_space:  global
        .offset:         8
        .size:           8
        .value_kind:     global_buffer
      - .actual_access:  read_only
        .address_space:  global
        .offset:         16
        .size:           8
        .value_kind:     global_buffer
      - .offset:         24
        .size:           8
        .value_kind:     by_value
      - .actual_access:  read_only
        .address_space:  global
        .offset:         32
        .size:           8
        .value_kind:     global_buffer
      - .actual_access:  read_only
        .address_space:  global
        .offset:         40
        .size:           8
        .value_kind:     global_buffer
      - .actual_access:  read_only
        .address_space:  global
        .offset:         48
        .size:           8
        .value_kind:     global_buffer
      - .actual_access:  read_only
        .address_space:  global
        .offset:         56
        .size:           8
        .value_kind:     global_buffer
      - .actual_access:  read_only
        .address_space:  global
        .offset:         64
        .size:           8
        .value_kind:     global_buffer
      - .actual_access:  read_only
        .address_space:  global
        .offset:         72
        .size:           8
        .value_kind:     global_buffer
      - .offset:         80
        .size:           8
        .value_kind:     by_value
      - .actual_access:  read_only
        .address_space:  global
        .offset:         88
        .size:           8
        .value_kind:     global_buffer
      - .actual_access:  read_only
        .address_space:  global
        .offset:         96
        .size:           8
        .value_kind:     global_buffer
      - .actual_access:  read_only
        .address_space:  global
        .offset:         104
        .size:           8
        .value_kind:     global_buffer
      - .actual_access:  read_only
        .address_space:  global
        .offset:         112
        .size:           8
        .value_kind:     global_buffer
      - .actual_access:  read_only
        .address_space:  global
        .offset:         120
        .size:           8
        .value_kind:     global_buffer
      - .actual_access:  write_only
        .address_space:  global
        .offset:         128
        .size:           8
        .value_kind:     global_buffer
      - .offset:         136
        .size:           4
        .value_kind:     by_value
      - .offset:         140
        .size:           4
        .value_kind:     by_value
      - .offset:         144
        .size:           4
        .value_kind:     by_value
      - .offset:         148
        .size:           4
        .value_kind:     by_value
      - .offset:         152
        .size:           1
        .value_kind:     by_value
      - .offset:         153
        .size:           1
        .value_kind:     by_value
      - .offset:         154
        .size:           1
        .value_kind:     by_value
    .group_segment_fixed_size: 0
    .kernarg_segment_align: 8
    .kernarg_segment_size: 156
    .language:       OpenCL C
    .language_version:
      - 2
      - 0
    .max_flat_workgroup_size: 1024
    .name:           _ZN9rocsparseL41csrgemm_numeric_fill_block_per_row_kernelILj1024ELj32ELj2048ELj137ELj32EllfEEvT5_PKS1_S3_NS_24const_host_device_scalarIT6_EEPKT4_S3_PKS5_S9_S3_SB_S6_S9_S3_SB_S9_S3_PS5_21rocsparse_index_base_SD_SD_SD_bbb
    .private_segment_fixed_size: 0
    .sgpr_count:     54
    .sgpr_spill_count: 0
    .symbol:         _ZN9rocsparseL41csrgemm_numeric_fill_block_per_row_kernelILj1024ELj32ELj2048ELj137ELj32EllfEEvT5_PKS1_S3_NS_24const_host_device_scalarIT6_EEPKT4_S3_PKS5_S9_S3_SB_S6_S9_S3_SB_S9_S3_PS5_21rocsparse_index_base_SD_SD_SD_bbb.kd
    .uniform_work_group_size: 1
    .uses_dynamic_stack: false
    .vgpr_count:     24
    .vgpr_spill_count: 0
    .wavefront_size: 32
  - .args:
      - .offset:         0
        .size:           8
        .value_kind:     by_value
      - .actual_access:  read_only
        .address_space:  global
        .offset:         8
        .size:           8
        .value_kind:     global_buffer
      - .actual_access:  read_only
        .address_space:  global
        .offset:         16
        .size:           8
        .value_kind:     global_buffer
      - .offset:         24
        .size:           8
        .value_kind:     by_value
      - .actual_access:  read_only
        .address_space:  global
        .offset:         32
        .size:           8
        .value_kind:     global_buffer
      - .actual_access:  read_only
        .address_space:  global
        .offset:         40
        .size:           8
        .value_kind:     global_buffer
      - .actual_access:  read_only
        .address_space:  global
        .offset:         48
        .size:           8
        .value_kind:     global_buffer
      - .actual_access:  read_only
        .address_space:  global
        .offset:         56
        .size:           8
        .value_kind:     global_buffer
      - .actual_access:  read_only
        .address_space:  global
        .offset:         64
        .size:           8
        .value_kind:     global_buffer
      - .actual_access:  read_only
        .address_space:  global
        .offset:         72
        .size:           8
        .value_kind:     global_buffer
      - .offset:         80
        .size:           8
        .value_kind:     by_value
      - .actual_access:  read_only
        .address_space:  global
        .offset:         88
        .size:           8
        .value_kind:     global_buffer
      - .actual_access:  read_only
        .address_space:  global
        .offset:         96
        .size:           8
        .value_kind:     global_buffer
      - .actual_access:  read_only
        .address_space:  global
        .offset:         104
        .size:           8
        .value_kind:     global_buffer
      - .actual_access:  read_only
        .address_space:  global
        .offset:         112
        .size:           8
        .value_kind:     global_buffer
      - .actual_access:  read_only
        .address_space:  global
        .offset:         120
        .size:           8
        .value_kind:     global_buffer
      - .actual_access:  write_only
        .address_space:  global
        .offset:         128
        .size:           8
        .value_kind:     global_buffer
      - .offset:         136
        .size:           4
        .value_kind:     by_value
      - .offset:         140
        .size:           4
        .value_kind:     by_value
      - .offset:         144
        .size:           4
        .value_kind:     by_value
      - .offset:         148
        .size:           4
        .value_kind:     by_value
      - .offset:         152
        .size:           1
        .value_kind:     by_value
      - .offset:         153
        .size:           1
        .value_kind:     by_value
      - .offset:         154
        .size:           1
        .value_kind:     by_value
    .group_segment_fixed_size: 0
    .kernarg_segment_align: 8
    .kernarg_segment_size: 156
    .language:       OpenCL C
    .language_version:
      - 2
      - 0
    .max_flat_workgroup_size: 1024
    .name:           _ZN9rocsparseL41csrgemm_numeric_fill_block_per_row_kernelILj1024ELj32ELj2048ELj137ELj64EllfEEvT5_PKS1_S3_NS_24const_host_device_scalarIT6_EEPKT4_S3_PKS5_S9_S3_SB_S6_S9_S3_SB_S9_S3_PS5_21rocsparse_index_base_SD_SD_SD_bbb
    .private_segment_fixed_size: 0
    .sgpr_count:     49
    .sgpr_spill_count: 0
    .symbol:         _ZN9rocsparseL41csrgemm_numeric_fill_block_per_row_kernelILj1024ELj32ELj2048ELj137ELj64EllfEEvT5_PKS1_S3_NS_24const_host_device_scalarIT6_EEPKT4_S3_PKS5_S9_S3_SB_S6_S9_S3_SB_S9_S3_PS5_21rocsparse_index_base_SD_SD_SD_bbb.kd
    .uniform_work_group_size: 1
    .uses_dynamic_stack: false
    .vgpr_count:     23
    .vgpr_spill_count: 0
    .wavefront_size: 32
  - .args:
      - .offset:         0
        .size:           8
        .value_kind:     by_value
      - .actual_access:  read_only
        .address_space:  global
        .offset:         8
        .size:           8
        .value_kind:     global_buffer
      - .actual_access:  read_only
        .address_space:  global
        .offset:         16
        .size:           8
        .value_kind:     global_buffer
      - .offset:         24
        .size:           8
        .value_kind:     by_value
      - .actual_access:  read_only
        .address_space:  global
        .offset:         32
        .size:           8
        .value_kind:     global_buffer
      - .actual_access:  read_only
        .address_space:  global
        .offset:         40
        .size:           8
        .value_kind:     global_buffer
      - .actual_access:  read_only
        .address_space:  global
        .offset:         48
        .size:           8
        .value_kind:     global_buffer
      - .actual_access:  read_only
        .address_space:  global
        .offset:         56
        .size:           8
        .value_kind:     global_buffer
      - .actual_access:  read_only
        .address_space:  global
        .offset:         64
        .size:           8
        .value_kind:     global_buffer
      - .actual_access:  read_only
        .address_space:  global
        .offset:         72
        .size:           8
        .value_kind:     global_buffer
      - .offset:         80
        .size:           8
        .value_kind:     by_value
      - .actual_access:  read_only
        .address_space:  global
        .offset:         88
        .size:           8
        .value_kind:     global_buffer
      - .actual_access:  read_only
        .address_space:  global
        .offset:         96
        .size:           8
        .value_kind:     global_buffer
      - .actual_access:  read_only
        .address_space:  global
        .offset:         104
        .size:           8
        .value_kind:     global_buffer
      - .actual_access:  read_only
        .address_space:  global
        .offset:         112
        .size:           8
        .value_kind:     global_buffer
      - .actual_access:  read_only
        .address_space:  global
        .offset:         120
        .size:           8
        .value_kind:     global_buffer
      - .actual_access:  write_only
        .address_space:  global
        .offset:         128
        .size:           8
        .value_kind:     global_buffer
      - .offset:         136
        .size:           4
        .value_kind:     by_value
      - .offset:         140
        .size:           4
        .value_kind:     by_value
      - .offset:         144
        .size:           4
        .value_kind:     by_value
      - .offset:         148
        .size:           4
        .value_kind:     by_value
      - .offset:         152
        .size:           1
        .value_kind:     by_value
      - .offset:         153
        .size:           1
        .value_kind:     by_value
      - .offset:         154
        .size:           1
        .value_kind:     by_value
    .group_segment_fixed_size: 0
    .kernarg_segment_align: 8
    .kernarg_segment_size: 156
    .language:       OpenCL C
    .language_version:
      - 2
      - 0
    .max_flat_workgroup_size: 1024
    .name:           _ZN9rocsparseL41csrgemm_numeric_fill_block_per_row_kernelILj1024ELj64ELj4096ELj137ELj32EllfEEvT5_PKS1_S3_NS_24const_host_device_scalarIT6_EEPKT4_S3_PKS5_S9_S3_SB_S6_S9_S3_SB_S9_S3_PS5_21rocsparse_index_base_SD_SD_SD_bbb
    .private_segment_fixed_size: 0
    .sgpr_count:     54
    .sgpr_spill_count: 0
    .symbol:         _ZN9rocsparseL41csrgemm_numeric_fill_block_per_row_kernelILj1024ELj64ELj4096ELj137ELj32EllfEEvT5_PKS1_S3_NS_24const_host_device_scalarIT6_EEPKT4_S3_PKS5_S9_S3_SB_S6_S9_S3_SB_S9_S3_PS5_21rocsparse_index_base_SD_SD_SD_bbb.kd
    .uniform_work_group_size: 1
    .uses_dynamic_stack: false
    .vgpr_count:     23
    .vgpr_spill_count: 0
    .wavefront_size: 32
  - .args:
      - .offset:         0
        .size:           8
        .value_kind:     by_value
      - .actual_access:  read_only
        .address_space:  global
        .offset:         8
        .size:           8
        .value_kind:     global_buffer
      - .actual_access:  read_only
        .address_space:  global
        .offset:         16
        .size:           8
        .value_kind:     global_buffer
      - .offset:         24
        .size:           8
        .value_kind:     by_value
      - .actual_access:  read_only
        .address_space:  global
        .offset:         32
        .size:           8
        .value_kind:     global_buffer
      - .actual_access:  read_only
        .address_space:  global
        .offset:         40
        .size:           8
        .value_kind:     global_buffer
      - .actual_access:  read_only
        .address_space:  global
        .offset:         48
        .size:           8
        .value_kind:     global_buffer
      - .actual_access:  read_only
        .address_space:  global
        .offset:         56
        .size:           8
        .value_kind:     global_buffer
      - .actual_access:  read_only
        .address_space:  global
        .offset:         64
        .size:           8
        .value_kind:     global_buffer
      - .actual_access:  read_only
        .address_space:  global
        .offset:         72
        .size:           8
        .value_kind:     global_buffer
      - .offset:         80
        .size:           8
        .value_kind:     by_value
      - .actual_access:  read_only
        .address_space:  global
        .offset:         88
        .size:           8
        .value_kind:     global_buffer
      - .actual_access:  read_only
        .address_space:  global
        .offset:         96
        .size:           8
        .value_kind:     global_buffer
      - .actual_access:  read_only
        .address_space:  global
        .offset:         104
        .size:           8
        .value_kind:     global_buffer
      - .actual_access:  read_only
        .address_space:  global
        .offset:         112
        .size:           8
        .value_kind:     global_buffer
      - .actual_access:  read_only
        .address_space:  global
        .offset:         120
        .size:           8
        .value_kind:     global_buffer
      - .actual_access:  write_only
        .address_space:  global
        .offset:         128
        .size:           8
        .value_kind:     global_buffer
      - .offset:         136
        .size:           4
        .value_kind:     by_value
      - .offset:         140
        .size:           4
        .value_kind:     by_value
      - .offset:         144
        .size:           4
        .value_kind:     by_value
      - .offset:         148
        .size:           4
        .value_kind:     by_value
      - .offset:         152
        .size:           1
        .value_kind:     by_value
      - .offset:         153
        .size:           1
        .value_kind:     by_value
      - .offset:         154
        .size:           1
        .value_kind:     by_value
    .group_segment_fixed_size: 0
    .kernarg_segment_align: 8
    .kernarg_segment_size: 156
    .language:       OpenCL C
    .language_version:
      - 2
      - 0
    .max_flat_workgroup_size: 1024
    .name:           _ZN9rocsparseL41csrgemm_numeric_fill_block_per_row_kernelILj1024ELj64ELj4096ELj137ELj64EllfEEvT5_PKS1_S3_NS_24const_host_device_scalarIT6_EEPKT4_S3_PKS5_S9_S3_SB_S6_S9_S3_SB_S9_S3_PS5_21rocsparse_index_base_SD_SD_SD_bbb
    .private_segment_fixed_size: 0
    .sgpr_count:     49
    .sgpr_spill_count: 0
    .symbol:         _ZN9rocsparseL41csrgemm_numeric_fill_block_per_row_kernelILj1024ELj64ELj4096ELj137ELj64EllfEEvT5_PKS1_S3_NS_24const_host_device_scalarIT6_EEPKT4_S3_PKS5_S9_S3_SB_S6_S9_S3_SB_S9_S3_PS5_21rocsparse_index_base_SD_SD_SD_bbb.kd
    .uniform_work_group_size: 1
    .uses_dynamic_stack: false
    .vgpr_count:     24
    .vgpr_spill_count: 0
    .wavefront_size: 32
  - .args:
      - .offset:         0
        .size:           8
        .value_kind:     by_value
      - .actual_access:  read_only
        .address_space:  global
        .offset:         8
        .size:           8
        .value_kind:     global_buffer
      - .actual_access:  read_only
        .address_space:  global
        .offset:         16
        .size:           8
        .value_kind:     global_buffer
      - .offset:         24
        .size:           8
        .value_kind:     by_value
      - .actual_access:  read_only
        .address_space:  global
        .offset:         32
        .size:           8
        .value_kind:     global_buffer
      - .actual_access:  read_only
        .address_space:  global
        .offset:         40
        .size:           8
        .value_kind:     global_buffer
      - .actual_access:  read_only
        .address_space:  global
        .offset:         48
        .size:           8
        .value_kind:     global_buffer
      - .actual_access:  read_only
        .address_space:  global
        .offset:         56
        .size:           8
        .value_kind:     global_buffer
      - .actual_access:  read_only
        .address_space:  global
        .offset:         64
        .size:           8
        .value_kind:     global_buffer
      - .actual_access:  read_only
        .address_space:  global
        .offset:         72
        .size:           8
        .value_kind:     global_buffer
      - .offset:         80
        .size:           8
        .value_kind:     by_value
      - .actual_access:  read_only
        .address_space:  global
        .offset:         88
        .size:           8
        .value_kind:     global_buffer
      - .actual_access:  read_only
        .address_space:  global
        .offset:         96
        .size:           8
        .value_kind:     global_buffer
      - .actual_access:  read_only
        .address_space:  global
        .offset:         104
        .size:           8
        .value_kind:     global_buffer
      - .actual_access:  read_only
        .address_space:  global
        .offset:         112
        .size:           8
        .value_kind:     global_buffer
      - .actual_access:  read_only
        .address_space:  global
        .offset:         120
        .size:           8
        .value_kind:     global_buffer
      - .actual_access:  write_only
        .address_space:  global
        .offset:         128
        .size:           8
        .value_kind:     global_buffer
      - .offset:         136
        .size:           4
        .value_kind:     by_value
      - .offset:         140
        .size:           4
        .value_kind:     by_value
      - .offset:         144
        .size:           4
        .value_kind:     by_value
      - .offset:         148
        .size:           4
        .value_kind:     by_value
      - .offset:         152
        .size:           1
        .value_kind:     by_value
      - .offset:         153
        .size:           1
        .value_kind:     by_value
      - .offset:         154
        .size:           1
        .value_kind:     by_value
    .group_segment_fixed_size: 0
    .kernarg_segment_align: 8
    .kernarg_segment_size: 156
    .language:       OpenCL C
    .language_version:
      - 2
      - 0
    .max_flat_workgroup_size: 1024
    .name:           _ZN9rocsparseL41csrgemm_numeric_fill_block_per_row_kernelILj1024ELj64ELj8192ELj137ELj32EllfEEvT5_PKS1_S3_NS_24const_host_device_scalarIT6_EEPKT4_S3_PKS5_S9_S3_SB_S6_S9_S3_SB_S9_S3_PS5_21rocsparse_index_base_SD_SD_SD_bbb
    .private_segment_fixed_size: 0
    .sgpr_count:     78
    .sgpr_spill_count: 0
    .symbol:         _ZN9rocsparseL41csrgemm_numeric_fill_block_per_row_kernelILj1024ELj64ELj8192ELj137ELj32EllfEEvT5_PKS1_S3_NS_24const_host_device_scalarIT6_EEPKT4_S3_PKS5_S9_S3_SB_S6_S9_S3_SB_S9_S3_PS5_21rocsparse_index_base_SD_SD_SD_bbb.kd
    .uniform_work_group_size: 1
    .uses_dynamic_stack: false
    .vgpr_count:     22
    .vgpr_spill_count: 0
    .wavefront_size: 32
  - .args:
      - .offset:         0
        .size:           8
        .value_kind:     by_value
      - .actual_access:  read_only
        .address_space:  global
        .offset:         8
        .size:           8
        .value_kind:     global_buffer
      - .actual_access:  read_only
        .address_space:  global
        .offset:         16
        .size:           8
        .value_kind:     global_buffer
      - .offset:         24
        .size:           8
        .value_kind:     by_value
      - .actual_access:  read_only
        .address_space:  global
        .offset:         32
        .size:           8
        .value_kind:     global_buffer
      - .actual_access:  read_only
        .address_space:  global
        .offset:         40
        .size:           8
        .value_kind:     global_buffer
      - .actual_access:  read_only
        .address_space:  global
        .offset:         48
        .size:           8
        .value_kind:     global_buffer
      - .actual_access:  read_only
        .address_space:  global
        .offset:         56
        .size:           8
        .value_kind:     global_buffer
      - .actual_access:  read_only
        .address_space:  global
        .offset:         64
        .size:           8
        .value_kind:     global_buffer
      - .actual_access:  read_only
        .address_space:  global
        .offset:         72
        .size:           8
        .value_kind:     global_buffer
      - .offset:         80
        .size:           8
        .value_kind:     by_value
      - .actual_access:  read_only
        .address_space:  global
        .offset:         88
        .size:           8
        .value_kind:     global_buffer
      - .actual_access:  read_only
        .address_space:  global
        .offset:         96
        .size:           8
        .value_kind:     global_buffer
      - .actual_access:  read_only
        .address_space:  global
        .offset:         104
        .size:           8
        .value_kind:     global_buffer
      - .actual_access:  read_only
        .address_space:  global
        .offset:         112
        .size:           8
        .value_kind:     global_buffer
      - .actual_access:  read_only
        .address_space:  global
        .offset:         120
        .size:           8
        .value_kind:     global_buffer
      - .actual_access:  write_only
        .address_space:  global
        .offset:         128
        .size:           8
        .value_kind:     global_buffer
      - .offset:         136
        .size:           4
        .value_kind:     by_value
      - .offset:         140
        .size:           4
        .value_kind:     by_value
      - .offset:         144
        .size:           4
        .value_kind:     by_value
      - .offset:         148
        .size:           4
        .value_kind:     by_value
      - .offset:         152
        .size:           1
        .value_kind:     by_value
      - .offset:         153
        .size:           1
        .value_kind:     by_value
      - .offset:         154
        .size:           1
        .value_kind:     by_value
    .group_segment_fixed_size: 0
    .kernarg_segment_align: 8
    .kernarg_segment_size: 156
    .language:       OpenCL C
    .language_version:
      - 2
      - 0
    .max_flat_workgroup_size: 1024
    .name:           _ZN9rocsparseL41csrgemm_numeric_fill_block_per_row_kernelILj1024ELj64ELj8192ELj137ELj64EllfEEvT5_PKS1_S3_NS_24const_host_device_scalarIT6_EEPKT4_S3_PKS5_S9_S3_SB_S6_S9_S3_SB_S9_S3_PS5_21rocsparse_index_base_SD_SD_SD_bbb
    .private_segment_fixed_size: 0
    .sgpr_count:     46
    .sgpr_spill_count: 0
    .symbol:         _ZN9rocsparseL41csrgemm_numeric_fill_block_per_row_kernelILj1024ELj64ELj8192ELj137ELj64EllfEEvT5_PKS1_S3_NS_24const_host_device_scalarIT6_EEPKT4_S3_PKS5_S9_S3_SB_S6_S9_S3_SB_S9_S3_PS5_21rocsparse_index_base_SD_SD_SD_bbb.kd
    .uniform_work_group_size: 1
    .uses_dynamic_stack: false
    .vgpr_count:     23
    .vgpr_spill_count: 0
    .wavefront_size: 32
  - .args:
      - .offset:         0
        .size:           8
        .value_kind:     by_value
      - .actual_access:  read_only
        .address_space:  global
        .offset:         8
        .size:           8
        .value_kind:     global_buffer
      - .actual_access:  read_only
        .address_space:  global
        .offset:         16
        .size:           8
        .value_kind:     global_buffer
      - .offset:         24
        .size:           8
        .value_kind:     by_value
      - .actual_access:  read_only
        .address_space:  global
        .offset:         32
        .size:           8
        .value_kind:     global_buffer
      - .actual_access:  read_only
        .address_space:  global
        .offset:         40
        .size:           8
        .value_kind:     global_buffer
      - .actual_access:  read_only
        .address_space:  global
        .offset:         48
        .size:           8
        .value_kind:     global_buffer
      - .actual_access:  read_only
        .address_space:  global
        .offset:         56
        .size:           8
        .value_kind:     global_buffer
      - .actual_access:  read_only
        .address_space:  global
        .offset:         64
        .size:           8
        .value_kind:     global_buffer
      - .actual_access:  read_only
        .address_space:  global
        .offset:         72
        .size:           8
        .value_kind:     global_buffer
      - .offset:         80
        .size:           8
        .value_kind:     by_value
      - .actual_access:  read_only
        .address_space:  global
        .offset:         88
        .size:           8
        .value_kind:     global_buffer
      - .actual_access:  read_only
        .address_space:  global
        .offset:         96
        .size:           8
        .value_kind:     global_buffer
      - .actual_access:  read_only
        .address_space:  global
        .offset:         104
        .size:           8
        .value_kind:     global_buffer
      - .actual_access:  read_only
        .address_space:  global
        .offset:         112
        .size:           8
        .value_kind:     global_buffer
      - .actual_access:  read_only
        .address_space:  global
        .offset:         120
        .size:           8
        .value_kind:     global_buffer
      - .actual_access:  write_only
        .address_space:  global
        .offset:         128
        .size:           8
        .value_kind:     global_buffer
      - .offset:         136
        .size:           4
        .value_kind:     by_value
      - .offset:         140
        .size:           4
        .value_kind:     by_value
      - .offset:         144
        .size:           4
        .value_kind:     by_value
      - .offset:         148
        .size:           4
        .value_kind:     by_value
      - .offset:         152
        .size:           1
        .value_kind:     by_value
      - .offset:         153
        .size:           1
        .value_kind:     by_value
      - .offset:         154
        .size:           1
        .value_kind:     by_value
    .group_segment_fixed_size: 0
    .kernarg_segment_align: 8
    .kernarg_segment_size: 156
    .language:       OpenCL C
    .language_version:
      - 2
      - 0
    .max_flat_workgroup_size: 1024
    .name:           _ZN9rocsparseL41csrgemm_numeric_fill_block_per_row_kernelILj1024ELj64ELj16384ELj137ELj32EllfEEvT5_PKS1_S3_NS_24const_host_device_scalarIT6_EEPKT4_S3_PKS5_S9_S3_SB_S6_S9_S3_SB_S9_S3_PS5_21rocsparse_index_base_SD_SD_SD_bbb
    .private_segment_fixed_size: 0
    .sgpr_count:     78
    .sgpr_spill_count: 0
    .symbol:         _ZN9rocsparseL41csrgemm_numeric_fill_block_per_row_kernelILj1024ELj64ELj16384ELj137ELj32EllfEEvT5_PKS1_S3_NS_24const_host_device_scalarIT6_EEPKT4_S3_PKS5_S9_S3_SB_S6_S9_S3_SB_S9_S3_PS5_21rocsparse_index_base_SD_SD_SD_bbb.kd
    .uniform_work_group_size: 1
    .uses_dynamic_stack: false
    .vgpr_count:     23
    .vgpr_spill_count: 0
    .wavefront_size: 32
  - .args:
      - .offset:         0
        .size:           8
        .value_kind:     by_value
      - .actual_access:  read_only
        .address_space:  global
        .offset:         8
        .size:           8
        .value_kind:     global_buffer
      - .actual_access:  read_only
        .address_space:  global
        .offset:         16
        .size:           8
        .value_kind:     global_buffer
      - .offset:         24
        .size:           8
        .value_kind:     by_value
      - .actual_access:  read_only
        .address_space:  global
        .offset:         32
        .size:           8
        .value_kind:     global_buffer
      - .actual_access:  read_only
        .address_space:  global
        .offset:         40
        .size:           8
        .value_kind:     global_buffer
      - .actual_access:  read_only
        .address_space:  global
        .offset:         48
        .size:           8
        .value_kind:     global_buffer
      - .actual_access:  read_only
        .address_space:  global
        .offset:         56
        .size:           8
        .value_kind:     global_buffer
      - .actual_access:  read_only
        .address_space:  global
        .offset:         64
        .size:           8
        .value_kind:     global_buffer
      - .actual_access:  read_only
        .address_space:  global
        .offset:         72
        .size:           8
        .value_kind:     global_buffer
      - .offset:         80
        .size:           8
        .value_kind:     by_value
      - .actual_access:  read_only
        .address_space:  global
        .offset:         88
        .size:           8
        .value_kind:     global_buffer
      - .actual_access:  read_only
        .address_space:  global
        .offset:         96
        .size:           8
        .value_kind:     global_buffer
      - .actual_access:  read_only
        .address_space:  global
        .offset:         104
        .size:           8
        .value_kind:     global_buffer
      - .actual_access:  read_only
        .address_space:  global
        .offset:         112
        .size:           8
        .value_kind:     global_buffer
      - .actual_access:  read_only
        .address_space:  global
        .offset:         120
        .size:           8
        .value_kind:     global_buffer
      - .actual_access:  write_only
        .address_space:  global
        .offset:         128
        .size:           8
        .value_kind:     global_buffer
      - .offset:         136
        .size:           4
        .value_kind:     by_value
      - .offset:         140
        .size:           4
        .value_kind:     by_value
      - .offset:         144
        .size:           4
        .value_kind:     by_value
      - .offset:         148
        .size:           4
        .value_kind:     by_value
      - .offset:         152
        .size:           1
        .value_kind:     by_value
      - .offset:         153
        .size:           1
        .value_kind:     by_value
      - .offset:         154
        .size:           1
        .value_kind:     by_value
    .group_segment_fixed_size: 0
    .kernarg_segment_align: 8
    .kernarg_segment_size: 156
    .language:       OpenCL C
    .language_version:
      - 2
      - 0
    .max_flat_workgroup_size: 1024
    .name:           _ZN9rocsparseL41csrgemm_numeric_fill_block_per_row_kernelILj1024ELj64ELj16384ELj137ELj64EllfEEvT5_PKS1_S3_NS_24const_host_device_scalarIT6_EEPKT4_S3_PKS5_S9_S3_SB_S6_S9_S3_SB_S9_S3_PS5_21rocsparse_index_base_SD_SD_SD_bbb
    .private_segment_fixed_size: 0
    .sgpr_count:     49
    .sgpr_spill_count: 0
    .symbol:         _ZN9rocsparseL41csrgemm_numeric_fill_block_per_row_kernelILj1024ELj64ELj16384ELj137ELj64EllfEEvT5_PKS1_S3_NS_24const_host_device_scalarIT6_EEPKT4_S3_PKS5_S9_S3_SB_S6_S9_S3_SB_S9_S3_PS5_21rocsparse_index_base_SD_SD_SD_bbb.kd
    .uniform_work_group_size: 1
    .uses_dynamic_stack: false
    .vgpr_count:     24
    .vgpr_spill_count: 0
    .wavefront_size: 32
  - .args:
      - .offset:         0
        .size:           8
        .value_kind:     by_value
      - .actual_access:  read_only
        .address_space:  global
        .offset:         8
        .size:           8
        .value_kind:     global_buffer
      - .actual_access:  read_only
        .address_space:  global
        .offset:         16
        .size:           8
        .value_kind:     global_buffer
      - .offset:         24
        .size:           8
        .value_kind:     by_value
      - .actual_access:  read_only
        .address_space:  global
        .offset:         32
        .size:           8
        .value_kind:     global_buffer
      - .actual_access:  read_only
        .address_space:  global
        .offset:         40
        .size:           8
        .value_kind:     global_buffer
      - .actual_access:  read_only
        .address_space:  global
        .offset:         48
        .size:           8
        .value_kind:     global_buffer
      - .actual_access:  read_only
        .address_space:  global
        .offset:         56
        .size:           8
        .value_kind:     global_buffer
      - .actual_access:  read_only
        .address_space:  global
        .offset:         64
        .size:           8
        .value_kind:     global_buffer
      - .actual_access:  read_only
        .address_space:  global
        .offset:         72
        .size:           8
        .value_kind:     global_buffer
      - .offset:         80
        .size:           8
        .value_kind:     by_value
      - .actual_access:  read_only
        .address_space:  global
        .offset:         88
        .size:           8
        .value_kind:     global_buffer
      - .actual_access:  read_only
        .address_space:  global
        .offset:         96
        .size:           8
        .value_kind:     global_buffer
      - .actual_access:  read_only
        .address_space:  global
        .offset:         104
        .size:           8
        .value_kind:     global_buffer
      - .actual_access:  read_only
        .address_space:  global
        .offset:         112
        .size:           8
        .value_kind:     global_buffer
      - .actual_access:  read_only
        .address_space:  global
        .offset:         120
        .size:           8
        .value_kind:     global_buffer
      - .actual_access:  write_only
        .address_space:  global
        .offset:         128
        .size:           8
        .value_kind:     global_buffer
      - .offset:         136
        .size:           4
        .value_kind:     by_value
      - .offset:         140
        .size:           4
        .value_kind:     by_value
      - .offset:         144
        .size:           4
        .value_kind:     by_value
      - .offset:         148
        .size:           4
        .value_kind:     by_value
      - .offset:         152
        .size:           1
        .value_kind:     by_value
      - .offset:         153
        .size:           1
        .value_kind:     by_value
      - .offset:         154
        .size:           1
        .value_kind:     by_value
    .group_segment_fixed_size: 0
    .kernarg_segment_align: 8
    .kernarg_segment_size: 156
    .language:       OpenCL C
    .language_version:
      - 2
      - 0
    .max_flat_workgroup_size: 1024
    .name:           _ZN9rocsparseL41csrgemm_numeric_fill_block_per_row_kernelILj1024ELj64ELj32768ELj137ELj32EllfEEvT5_PKS1_S3_NS_24const_host_device_scalarIT6_EEPKT4_S3_PKS5_S9_S3_SB_S6_S9_S3_SB_S9_S3_PS5_21rocsparse_index_base_SD_SD_SD_bbb
    .private_segment_fixed_size: 0
    .sgpr_count:     78
    .sgpr_spill_count: 0
    .symbol:         _ZN9rocsparseL41csrgemm_numeric_fill_block_per_row_kernelILj1024ELj64ELj32768ELj137ELj32EllfEEvT5_PKS1_S3_NS_24const_host_device_scalarIT6_EEPKT4_S3_PKS5_S9_S3_SB_S6_S9_S3_SB_S9_S3_PS5_21rocsparse_index_base_SD_SD_SD_bbb.kd
    .uniform_work_group_size: 1
    .uses_dynamic_stack: false
    .vgpr_count:     23
    .vgpr_spill_count: 0
    .wavefront_size: 32
  - .args:
      - .offset:         0
        .size:           8
        .value_kind:     by_value
      - .actual_access:  read_only
        .address_space:  global
        .offset:         8
        .size:           8
        .value_kind:     global_buffer
      - .actual_access:  read_only
        .address_space:  global
        .offset:         16
        .size:           8
        .value_kind:     global_buffer
      - .offset:         24
        .size:           8
        .value_kind:     by_value
      - .actual_access:  read_only
        .address_space:  global
        .offset:         32
        .size:           8
        .value_kind:     global_buffer
      - .actual_access:  read_only
        .address_space:  global
        .offset:         40
        .size:           8
        .value_kind:     global_buffer
      - .actual_access:  read_only
        .address_space:  global
        .offset:         48
        .size:           8
        .value_kind:     global_buffer
      - .actual_access:  read_only
        .address_space:  global
        .offset:         56
        .size:           8
        .value_kind:     global_buffer
      - .actual_access:  read_only
        .address_space:  global
        .offset:         64
        .size:           8
        .value_kind:     global_buffer
      - .actual_access:  read_only
        .address_space:  global
        .offset:         72
        .size:           8
        .value_kind:     global_buffer
      - .offset:         80
        .size:           8
        .value_kind:     by_value
      - .actual_access:  read_only
        .address_space:  global
        .offset:         88
        .size:           8
        .value_kind:     global_buffer
      - .actual_access:  read_only
        .address_space:  global
        .offset:         96
        .size:           8
        .value_kind:     global_buffer
      - .actual_access:  read_only
        .address_space:  global
        .offset:         104
        .size:           8
        .value_kind:     global_buffer
      - .actual_access:  read_only
        .address_space:  global
        .offset:         112
        .size:           8
        .value_kind:     global_buffer
      - .actual_access:  read_only
        .address_space:  global
        .offset:         120
        .size:           8
        .value_kind:     global_buffer
      - .actual_access:  write_only
        .address_space:  global
        .offset:         128
        .size:           8
        .value_kind:     global_buffer
      - .offset:         136
        .size:           4
        .value_kind:     by_value
      - .offset:         140
        .size:           4
        .value_kind:     by_value
      - .offset:         144
        .size:           4
        .value_kind:     by_value
      - .offset:         148
        .size:           4
        .value_kind:     by_value
      - .offset:         152
        .size:           1
        .value_kind:     by_value
      - .offset:         153
        .size:           1
        .value_kind:     by_value
      - .offset:         154
        .size:           1
        .value_kind:     by_value
    .group_segment_fixed_size: 0
    .kernarg_segment_align: 8
    .kernarg_segment_size: 156
    .language:       OpenCL C
    .language_version:
      - 2
      - 0
    .max_flat_workgroup_size: 1024
    .name:           _ZN9rocsparseL41csrgemm_numeric_fill_block_per_row_kernelILj1024ELj64ELj32768ELj137ELj64EllfEEvT5_PKS1_S3_NS_24const_host_device_scalarIT6_EEPKT4_S3_PKS5_S9_S3_SB_S6_S9_S3_SB_S9_S3_PS5_21rocsparse_index_base_SD_SD_SD_bbb
    .private_segment_fixed_size: 0
    .sgpr_count:     49
    .sgpr_spill_count: 0
    .symbol:         _ZN9rocsparseL41csrgemm_numeric_fill_block_per_row_kernelILj1024ELj64ELj32768ELj137ELj64EllfEEvT5_PKS1_S3_NS_24const_host_device_scalarIT6_EEPKT4_S3_PKS5_S9_S3_SB_S6_S9_S3_SB_S9_S3_PS5_21rocsparse_index_base_SD_SD_SD_bbb.kd
    .uniform_work_group_size: 1
    .uses_dynamic_stack: false
    .vgpr_count:     24
    .vgpr_spill_count: 0
    .wavefront_size: 32
  - .args:
      - .offset:         0
        .size:           8
        .value_kind:     by_value
      - .actual_access:  read_only
        .address_space:  global
        .offset:         8
        .size:           8
        .value_kind:     global_buffer
      - .actual_access:  read_only
        .address_space:  global
        .offset:         16
        .size:           8
        .value_kind:     global_buffer
      - .offset:         24
        .size:           8
        .value_kind:     by_value
      - .actual_access:  read_only
        .address_space:  global
        .offset:         32
        .size:           8
        .value_kind:     global_buffer
      - .actual_access:  read_only
        .address_space:  global
        .offset:         40
        .size:           8
        .value_kind:     global_buffer
      - .actual_access:  read_only
        .address_space:  global
        .offset:         48
        .size:           8
        .value_kind:     global_buffer
      - .actual_access:  read_only
        .address_space:  global
        .offset:         56
        .size:           8
        .value_kind:     global_buffer
      - .actual_access:  read_only
        .address_space:  global
        .offset:         64
        .size:           8
        .value_kind:     global_buffer
      - .actual_access:  read_only
        .address_space:  global
        .offset:         72
        .size:           8
        .value_kind:     global_buffer
      - .offset:         80
        .size:           8
        .value_kind:     by_value
      - .actual_access:  read_only
        .address_space:  global
        .offset:         88
        .size:           8
        .value_kind:     global_buffer
      - .actual_access:  read_only
        .address_space:  global
        .offset:         96
        .size:           8
        .value_kind:     global_buffer
      - .actual_access:  read_only
        .address_space:  global
        .offset:         104
        .size:           8
        .value_kind:     global_buffer
      - .actual_access:  read_only
        .address_space:  global
        .offset:         112
        .size:           8
        .value_kind:     global_buffer
      - .actual_access:  read_only
        .address_space:  global
        .offset:         120
        .size:           8
        .value_kind:     global_buffer
      - .actual_access:  write_only
        .address_space:  global
        .offset:         128
        .size:           8
        .value_kind:     global_buffer
      - .address_space:  global
        .offset:         136
        .size:           8
        .value_kind:     global_buffer
      - .offset:         144
        .size:           4
        .value_kind:     by_value
      - .offset:         148
        .size:           4
        .value_kind:     by_value
      - .offset:         152
        .size:           4
        .value_kind:     by_value
      - .offset:         156
        .size:           4
        .value_kind:     by_value
      - .offset:         160
        .size:           1
        .value_kind:     by_value
      - .offset:         161
        .size:           1
        .value_kind:     by_value
      - .offset:         162
        .size:           1
        .value_kind:     by_value
    .group_segment_fixed_size: 10248
    .kernarg_segment_align: 8
    .kernarg_segment_size: 164
    .language:       OpenCL C
    .language_version:
      - 2
      - 0
    .max_flat_workgroup_size: 512
    .name:           _ZN9rocsparseL51csrgemm_numeric_fill_block_per_row_multipass_kernelILj512ELj16ELj2048ELj32EllfEEvT4_PKS1_S3_NS_24const_host_device_scalarIT5_EEPKT3_S3_PKS5_S9_S3_SB_S6_S9_S3_SB_S9_S3_PS5_PS7_21rocsparse_index_base_SE_SE_SE_bbb
    .private_segment_fixed_size: 0
    .sgpr_count:     66
    .sgpr_spill_count: 0
    .symbol:         _ZN9rocsparseL51csrgemm_numeric_fill_block_per_row_multipass_kernelILj512ELj16ELj2048ELj32EllfEEvT4_PKS1_S3_NS_24const_host_device_scalarIT5_EEPKT3_S3_PKS5_S9_S3_SB_S6_S9_S3_SB_S9_S3_PS5_PS7_21rocsparse_index_base_SE_SE_SE_bbb.kd
    .uniform_work_group_size: 1
    .uses_dynamic_stack: false
    .vgpr_count:     43
    .vgpr_spill_count: 0
    .wavefront_size: 32
  - .args:
      - .offset:         0
        .size:           8
        .value_kind:     by_value
      - .actual_access:  read_only
        .address_space:  global
        .offset:         8
        .size:           8
        .value_kind:     global_buffer
      - .actual_access:  read_only
        .address_space:  global
        .offset:         16
        .size:           8
        .value_kind:     global_buffer
      - .offset:         24
        .size:           8
        .value_kind:     by_value
      - .actual_access:  read_only
        .address_space:  global
        .offset:         32
        .size:           8
        .value_kind:     global_buffer
      - .actual_access:  read_only
        .address_space:  global
        .offset:         40
        .size:           8
        .value_kind:     global_buffer
      - .actual_access:  read_only
        .address_space:  global
        .offset:         48
        .size:           8
        .value_kind:     global_buffer
      - .actual_access:  read_only
        .address_space:  global
        .offset:         56
        .size:           8
        .value_kind:     global_buffer
      - .actual_access:  read_only
        .address_space:  global
        .offset:         64
        .size:           8
        .value_kind:     global_buffer
      - .actual_access:  read_only
        .address_space:  global
        .offset:         72
        .size:           8
        .value_kind:     global_buffer
      - .offset:         80
        .size:           8
        .value_kind:     by_value
      - .actual_access:  read_only
        .address_space:  global
        .offset:         88
        .size:           8
        .value_kind:     global_buffer
      - .actual_access:  read_only
        .address_space:  global
        .offset:         96
        .size:           8
        .value_kind:     global_buffer
      - .actual_access:  read_only
        .address_space:  global
        .offset:         104
        .size:           8
        .value_kind:     global_buffer
      - .actual_access:  read_only
        .address_space:  global
        .offset:         112
        .size:           8
        .value_kind:     global_buffer
      - .actual_access:  read_only
        .address_space:  global
        .offset:         120
        .size:           8
        .value_kind:     global_buffer
      - .actual_access:  write_only
        .address_space:  global
        .offset:         128
        .size:           8
        .value_kind:     global_buffer
      - .address_space:  global
        .offset:         136
        .size:           8
        .value_kind:     global_buffer
      - .offset:         144
        .size:           4
        .value_kind:     by_value
      - .offset:         148
        .size:           4
        .value_kind:     by_value
      - .offset:         152
        .size:           4
        .value_kind:     by_value
      - .offset:         156
        .size:           4
        .value_kind:     by_value
      - .offset:         160
        .size:           1
        .value_kind:     by_value
      - .offset:         161
        .size:           1
        .value_kind:     by_value
      - .offset:         162
        .size:           1
        .value_kind:     by_value
    .group_segment_fixed_size: 10248
    .kernarg_segment_align: 8
    .kernarg_segment_size: 164
    .language:       OpenCL C
    .language_version:
      - 2
      - 0
    .max_flat_workgroup_size: 512
    .name:           _ZN9rocsparseL51csrgemm_numeric_fill_block_per_row_multipass_kernelILj512ELj16ELj2048ELj64EllfEEvT4_PKS1_S3_NS_24const_host_device_scalarIT5_EEPKT3_S3_PKS5_S9_S3_SB_S6_S9_S3_SB_S9_S3_PS5_PS7_21rocsparse_index_base_SE_SE_SE_bbb
    .private_segment_fixed_size: 0
    .sgpr_count:     58
    .sgpr_spill_count: 0
    .symbol:         _ZN9rocsparseL51csrgemm_numeric_fill_block_per_row_multipass_kernelILj512ELj16ELj2048ELj64EllfEEvT4_PKS1_S3_NS_24const_host_device_scalarIT5_EEPKT3_S3_PKS5_S9_S3_SB_S6_S9_S3_SB_S9_S3_PS5_PS7_21rocsparse_index_base_SE_SE_SE_bbb.kd
    .uniform_work_group_size: 1
    .uses_dynamic_stack: false
    .vgpr_count:     43
    .vgpr_spill_count: 0
    .wavefront_size: 32
  - .args:
      - .offset:         0
        .size:           8
        .value_kind:     by_value
      - .offset:         8
        .size:           8
        .value_kind:     by_value
      - .actual_access:  read_only
        .address_space:  global
        .offset:         16
        .size:           8
        .value_kind:     global_buffer
      - .actual_access:  read_only
        .address_space:  global
        .offset:         24
        .size:           8
        .value_kind:     global_buffer
      - .offset:         32
        .size:           8
        .value_kind:     by_value
      - .actual_access:  read_only
        .address_space:  global
        .offset:         40
        .size:           8
        .value_kind:     global_buffer
      - .actual_access:  read_only
        .address_space:  global
        .offset:         48
        .size:           8
        .value_kind:     global_buffer
      - .actual_access:  read_only
        .address_space:  global
        .offset:         56
        .size:           8
        .value_kind:     global_buffer
      - .actual_access:  read_only
        .address_space:  global
        .offset:         64
        .size:           8
        .value_kind:     global_buffer
      - .actual_access:  read_only
        .address_space:  global
        .offset:         72
        .size:           8
        .value_kind:     global_buffer
      - .actual_access:  read_only
        .address_space:  global
        .offset:         80
        .size:           8
        .value_kind:     global_buffer
      - .offset:         88
        .size:           8
        .value_kind:     by_value
      - .actual_access:  read_only
        .address_space:  global
        .offset:         96
        .size:           8
        .value_kind:     global_buffer
      - .actual_access:  read_only
        .address_space:  global
        .offset:         104
        .size:           8
        .value_kind:     global_buffer
      - .actual_access:  read_only
        .address_space:  global
        .offset:         112
        .size:           8
        .value_kind:     global_buffer
      - .actual_access:  read_only
        .address_space:  global
        .offset:         120
        .size:           8
        .value_kind:     global_buffer
      - .actual_access:  read_only
        .address_space:  global
        .offset:         128
        .size:           8
        .value_kind:     global_buffer
      - .actual_access:  write_only
        .address_space:  global
        .offset:         136
        .size:           8
        .value_kind:     global_buffer
      - .offset:         144
        .size:           4
        .value_kind:     by_value
      - .offset:         148
        .size:           4
        .value_kind:     by_value
      - .offset:         152
        .size:           4
        .value_kind:     by_value
      - .offset:         156
        .size:           4
        .value_kind:     by_value
      - .offset:         160
        .size:           1
        .value_kind:     by_value
      - .offset:         161
        .size:           1
        .value_kind:     by_value
      - .offset:         162
        .size:           1
        .value_kind:     by_value
    .group_segment_fixed_size: 8192
    .kernarg_segment_align: 8
    .kernarg_segment_size: 164
    .language:       OpenCL C
    .language_version:
      - 2
      - 0
    .max_flat_workgroup_size: 256
    .name:           _ZN9rocsparseL38csrgemm_numeric_fill_wf_per_row_kernelILj256ELj8ELj16ELj137ElldEEvT4_S1_PKS1_S3_NS_24const_host_device_scalarIT5_EEPKT3_S3_PKS5_S9_S3_SB_S6_S9_S3_SB_S9_S3_PS5_21rocsparse_index_base_SD_SD_SD_bbb
    .private_segment_fixed_size: 0
    .sgpr_count:     43
    .sgpr_spill_count: 0
    .symbol:         _ZN9rocsparseL38csrgemm_numeric_fill_wf_per_row_kernelILj256ELj8ELj16ELj137ElldEEvT4_S1_PKS1_S3_NS_24const_host_device_scalarIT5_EEPKT3_S3_PKS5_S9_S3_SB_S6_S9_S3_SB_S9_S3_PS5_21rocsparse_index_base_SD_SD_SD_bbb.kd
    .uniform_work_group_size: 1
    .uses_dynamic_stack: false
    .vgpr_count:     32
    .vgpr_spill_count: 0
    .wavefront_size: 32
  - .args:
      - .offset:         0
        .size:           8
        .value_kind:     by_value
      - .offset:         8
        .size:           8
        .value_kind:     by_value
      - .actual_access:  read_only
        .address_space:  global
        .offset:         16
        .size:           8
        .value_kind:     global_buffer
      - .actual_access:  read_only
        .address_space:  global
        .offset:         24
        .size:           8
        .value_kind:     global_buffer
      - .offset:         32
        .size:           8
        .value_kind:     by_value
      - .actual_access:  read_only
        .address_space:  global
        .offset:         40
        .size:           8
        .value_kind:     global_buffer
      - .actual_access:  read_only
        .address_space:  global
        .offset:         48
        .size:           8
        .value_kind:     global_buffer
      - .actual_access:  read_only
        .address_space:  global
        .offset:         56
        .size:           8
        .value_kind:     global_buffer
      - .actual_access:  read_only
        .address_space:  global
        .offset:         64
        .size:           8
        .value_kind:     global_buffer
      - .actual_access:  read_only
        .address_space:  global
        .offset:         72
        .size:           8
        .value_kind:     global_buffer
      - .actual_access:  read_only
        .address_space:  global
        .offset:         80
        .size:           8
        .value_kind:     global_buffer
      - .offset:         88
        .size:           8
        .value_kind:     by_value
      - .actual_access:  read_only
        .address_space:  global
        .offset:         96
        .size:           8
        .value_kind:     global_buffer
      - .actual_access:  read_only
        .address_space:  global
        .offset:         104
        .size:           8
        .value_kind:     global_buffer
      - .actual_access:  read_only
        .address_space:  global
        .offset:         112
        .size:           8
        .value_kind:     global_buffer
      - .actual_access:  read_only
        .address_space:  global
        .offset:         120
        .size:           8
        .value_kind:     global_buffer
      - .actual_access:  read_only
        .address_space:  global
        .offset:         128
        .size:           8
        .value_kind:     global_buffer
      - .actual_access:  write_only
        .address_space:  global
        .offset:         136
        .size:           8
        .value_kind:     global_buffer
      - .offset:         144
        .size:           4
        .value_kind:     by_value
      - .offset:         148
        .size:           4
        .value_kind:     by_value
      - .offset:         152
        .size:           4
        .value_kind:     by_value
      - .offset:         156
        .size:           4
        .value_kind:     by_value
      - .offset:         160
        .size:           1
        .value_kind:     by_value
      - .offset:         161
        .size:           1
        .value_kind:     by_value
      - .offset:         162
        .size:           1
        .value_kind:     by_value
    .group_segment_fixed_size: 8192
    .kernarg_segment_align: 8
    .kernarg_segment_size: 164
    .language:       OpenCL C
    .language_version:
      - 2
      - 0
    .max_flat_workgroup_size: 256
    .name:           _ZN9rocsparseL38csrgemm_numeric_fill_wf_per_row_kernelILj256ELj16ELj32ELj137ElldEEvT4_S1_PKS1_S3_NS_24const_host_device_scalarIT5_EEPKT3_S3_PKS5_S9_S3_SB_S6_S9_S3_SB_S9_S3_PS5_21rocsparse_index_base_SD_SD_SD_bbb
    .private_segment_fixed_size: 0
    .sgpr_count:     43
    .sgpr_spill_count: 0
    .symbol:         _ZN9rocsparseL38csrgemm_numeric_fill_wf_per_row_kernelILj256ELj16ELj32ELj137ElldEEvT4_S1_PKS1_S3_NS_24const_host_device_scalarIT5_EEPKT3_S3_PKS5_S9_S3_SB_S6_S9_S3_SB_S9_S3_PS5_21rocsparse_index_base_SD_SD_SD_bbb.kd
    .uniform_work_group_size: 1
    .uses_dynamic_stack: false
    .vgpr_count:     32
    .vgpr_spill_count: 0
    .wavefront_size: 32
  - .args:
      - .offset:         0
        .size:           8
        .value_kind:     by_value
      - .actual_access:  read_only
        .address_space:  global
        .offset:         8
        .size:           8
        .value_kind:     global_buffer
      - .actual_access:  read_only
        .address_space:  global
        .offset:         16
        .size:           8
        .value_kind:     global_buffer
      - .offset:         24
        .size:           8
        .value_kind:     by_value
      - .actual_access:  read_only
        .address_space:  global
        .offset:         32
        .size:           8
        .value_kind:     global_buffer
      - .actual_access:  read_only
        .address_space:  global
        .offset:         40
        .size:           8
        .value_kind:     global_buffer
      - .actual_access:  read_only
        .address_space:  global
        .offset:         48
        .size:           8
        .value_kind:     global_buffer
      - .actual_access:  read_only
        .address_space:  global
        .offset:         56
        .size:           8
        .value_kind:     global_buffer
      - .actual_access:  read_only
        .address_space:  global
        .offset:         64
        .size:           8
        .value_kind:     global_buffer
      - .actual_access:  read_only
        .address_space:  global
        .offset:         72
        .size:           8
        .value_kind:     global_buffer
      - .offset:         80
        .size:           8
        .value_kind:     by_value
      - .actual_access:  read_only
        .address_space:  global
        .offset:         88
        .size:           8
        .value_kind:     global_buffer
      - .actual_access:  read_only
        .address_space:  global
        .offset:         96
        .size:           8
        .value_kind:     global_buffer
      - .actual_access:  read_only
        .address_space:  global
        .offset:         104
        .size:           8
        .value_kind:     global_buffer
      - .actual_access:  read_only
        .address_space:  global
        .offset:         112
        .size:           8
        .value_kind:     global_buffer
      - .actual_access:  read_only
        .address_space:  global
        .offset:         120
        .size:           8
        .value_kind:     global_buffer
      - .actual_access:  write_only
        .address_space:  global
        .offset:         128
        .size:           8
        .value_kind:     global_buffer
      - .offset:         136
        .size:           4
        .value_kind:     by_value
      - .offset:         140
        .size:           4
        .value_kind:     by_value
      - .offset:         144
        .size:           4
        .value_kind:     by_value
      - .offset:         148
        .size:           4
        .value_kind:     by_value
      - .offset:         152
        .size:           1
        .value_kind:     by_value
      - .offset:         153
        .size:           1
        .value_kind:     by_value
      - .offset:         154
        .size:           1
        .value_kind:     by_value
    .group_segment_fixed_size: 0
    .kernarg_segment_align: 8
    .kernarg_segment_size: 156
    .language:       OpenCL C
    .language_version:
      - 2
      - 0
    .max_flat_workgroup_size: 128
    .name:           _ZN9rocsparseL41csrgemm_numeric_fill_block_per_row_kernelILj128ELj16ELj256ELj137ELj32ElldEEvT5_PKS1_S3_NS_24const_host_device_scalarIT6_EEPKT4_S3_PKS5_S9_S3_SB_S6_S9_S3_SB_S9_S3_PS5_21rocsparse_index_base_SD_SD_SD_bbb
    .private_segment_fixed_size: 0
    .sgpr_count:     48
    .sgpr_spill_count: 0
    .symbol:         _ZN9rocsparseL41csrgemm_numeric_fill_block_per_row_kernelILj128ELj16ELj256ELj137ELj32ElldEEvT5_PKS1_S3_NS_24const_host_device_scalarIT6_EEPKT4_S3_PKS5_S9_S3_SB_S6_S9_S3_SB_S9_S3_PS5_21rocsparse_index_base_SD_SD_SD_bbb.kd
    .uniform_work_group_size: 1
    .uses_dynamic_stack: false
    .vgpr_count:     28
    .vgpr_spill_count: 0
    .wavefront_size: 32
  - .args:
      - .offset:         0
        .size:           8
        .value_kind:     by_value
      - .actual_access:  read_only
        .address_space:  global
        .offset:         8
        .size:           8
        .value_kind:     global_buffer
      - .actual_access:  read_only
        .address_space:  global
        .offset:         16
        .size:           8
        .value_kind:     global_buffer
      - .offset:         24
        .size:           8
        .value_kind:     by_value
      - .actual_access:  read_only
        .address_space:  global
        .offset:         32
        .size:           8
        .value_kind:     global_buffer
      - .actual_access:  read_only
        .address_space:  global
        .offset:         40
        .size:           8
        .value_kind:     global_buffer
      - .actual_access:  read_only
        .address_space:  global
        .offset:         48
        .size:           8
        .value_kind:     global_buffer
      - .actual_access:  read_only
        .address_space:  global
        .offset:         56
        .size:           8
        .value_kind:     global_buffer
      - .actual_access:  read_only
        .address_space:  global
        .offset:         64
        .size:           8
        .value_kind:     global_buffer
      - .actual_access:  read_only
        .address_space:  global
        .offset:         72
        .size:           8
        .value_kind:     global_buffer
      - .offset:         80
        .size:           8
        .value_kind:     by_value
      - .actual_access:  read_only
        .address_space:  global
        .offset:         88
        .size:           8
        .value_kind:     global_buffer
      - .actual_access:  read_only
        .address_space:  global
        .offset:         96
        .size:           8
        .value_kind:     global_buffer
      - .actual_access:  read_only
        .address_space:  global
        .offset:         104
        .size:           8
        .value_kind:     global_buffer
      - .actual_access:  read_only
        .address_space:  global
        .offset:         112
        .size:           8
        .value_kind:     global_buffer
      - .actual_access:  read_only
        .address_space:  global
        .offset:         120
        .size:           8
        .value_kind:     global_buffer
      - .actual_access:  write_only
        .address_space:  global
        .offset:         128
        .size:           8
        .value_kind:     global_buffer
      - .offset:         136
        .size:           4
        .value_kind:     by_value
      - .offset:         140
        .size:           4
        .value_kind:     by_value
      - .offset:         144
        .size:           4
        .value_kind:     by_value
      - .offset:         148
        .size:           4
        .value_kind:     by_value
      - .offset:         152
        .size:           1
        .value_kind:     by_value
      - .offset:         153
        .size:           1
        .value_kind:     by_value
      - .offset:         154
        .size:           1
        .value_kind:     by_value
    .group_segment_fixed_size: 0
    .kernarg_segment_align: 8
    .kernarg_segment_size: 156
    .language:       OpenCL C
    .language_version:
      - 2
      - 0
    .max_flat_workgroup_size: 128
    .name:           _ZN9rocsparseL41csrgemm_numeric_fill_block_per_row_kernelILj128ELj16ELj256ELj137ELj64ElldEEvT5_PKS1_S3_NS_24const_host_device_scalarIT6_EEPKT4_S3_PKS5_S9_S3_SB_S6_S9_S3_SB_S9_S3_PS5_21rocsparse_index_base_SD_SD_SD_bbb
    .private_segment_fixed_size: 0
    .sgpr_count:     48
    .sgpr_spill_count: 0
    .symbol:         _ZN9rocsparseL41csrgemm_numeric_fill_block_per_row_kernelILj128ELj16ELj256ELj137ELj64ElldEEvT5_PKS1_S3_NS_24const_host_device_scalarIT6_EEPKT4_S3_PKS5_S9_S3_SB_S6_S9_S3_SB_S9_S3_PS5_21rocsparse_index_base_SD_SD_SD_bbb.kd
    .uniform_work_group_size: 1
    .uses_dynamic_stack: false
    .vgpr_count:     28
    .vgpr_spill_count: 0
    .wavefront_size: 32
  - .args:
      - .offset:         0
        .size:           8
        .value_kind:     by_value
      - .actual_access:  read_only
        .address_space:  global
        .offset:         8
        .size:           8
        .value_kind:     global_buffer
      - .actual_access:  read_only
        .address_space:  global
        .offset:         16
        .size:           8
        .value_kind:     global_buffer
      - .offset:         24
        .size:           8
        .value_kind:     by_value
      - .actual_access:  read_only
        .address_space:  global
        .offset:         32
        .size:           8
        .value_kind:     global_buffer
      - .actual_access:  read_only
        .address_space:  global
        .offset:         40
        .size:           8
        .value_kind:     global_buffer
      - .actual_access:  read_only
        .address_space:  global
        .offset:         48
        .size:           8
        .value_kind:     global_buffer
      - .actual_access:  read_only
        .address_space:  global
        .offset:         56
        .size:           8
        .value_kind:     global_buffer
      - .actual_access:  read_only
        .address_space:  global
        .offset:         64
        .size:           8
        .value_kind:     global_buffer
      - .actual_access:  read_only
        .address_space:  global
        .offset:         72
        .size:           8
        .value_kind:     global_buffer
      - .offset:         80
        .size:           8
        .value_kind:     by_value
      - .actual_access:  read_only
        .address_space:  global
        .offset:         88
        .size:           8
        .value_kind:     global_buffer
      - .actual_access:  read_only
        .address_space:  global
        .offset:         96
        .size:           8
        .value_kind:     global_buffer
      - .actual_access:  read_only
        .address_space:  global
        .offset:         104
        .size:           8
        .value_kind:     global_buffer
      - .actual_access:  read_only
        .address_space:  global
        .offset:         112
        .size:           8
        .value_kind:     global_buffer
      - .actual_access:  read_only
        .address_space:  global
        .offset:         120
        .size:           8
        .value_kind:     global_buffer
      - .actual_access:  write_only
        .address_space:  global
        .offset:         128
        .size:           8
        .value_kind:     global_buffer
      - .offset:         136
        .size:           4
        .value_kind:     by_value
      - .offset:         140
        .size:           4
        .value_kind:     by_value
      - .offset:         144
        .size:           4
        .value_kind:     by_value
      - .offset:         148
        .size:           4
        .value_kind:     by_value
      - .offset:         152
        .size:           1
        .value_kind:     by_value
      - .offset:         153
        .size:           1
        .value_kind:     by_value
      - .offset:         154
        .size:           1
        .value_kind:     by_value
    .group_segment_fixed_size: 0
    .kernarg_segment_align: 8
    .kernarg_segment_size: 156
    .language:       OpenCL C
    .language_version:
      - 2
      - 0
    .max_flat_workgroup_size: 256
    .name:           _ZN9rocsparseL41csrgemm_numeric_fill_block_per_row_kernelILj256ELj32ELj512ELj137ELj32ElldEEvT5_PKS1_S3_NS_24const_host_device_scalarIT6_EEPKT4_S3_PKS5_S9_S3_SB_S6_S9_S3_SB_S9_S3_PS5_21rocsparse_index_base_SD_SD_SD_bbb
    .private_segment_fixed_size: 0
    .sgpr_count:     48
    .sgpr_spill_count: 0
    .symbol:         _ZN9rocsparseL41csrgemm_numeric_fill_block_per_row_kernelILj256ELj32ELj512ELj137ELj32ElldEEvT5_PKS1_S3_NS_24const_host_device_scalarIT6_EEPKT4_S3_PKS5_S9_S3_SB_S6_S9_S3_SB_S9_S3_PS5_21rocsparse_index_base_SD_SD_SD_bbb.kd
    .uniform_work_group_size: 1
    .uses_dynamic_stack: false
    .vgpr_count:     30
    .vgpr_spill_count: 0
    .wavefront_size: 32
  - .args:
      - .offset:         0
        .size:           8
        .value_kind:     by_value
      - .actual_access:  read_only
        .address_space:  global
        .offset:         8
        .size:           8
        .value_kind:     global_buffer
      - .actual_access:  read_only
        .address_space:  global
        .offset:         16
        .size:           8
        .value_kind:     global_buffer
      - .offset:         24
        .size:           8
        .value_kind:     by_value
      - .actual_access:  read_only
        .address_space:  global
        .offset:         32
        .size:           8
        .value_kind:     global_buffer
      - .actual_access:  read_only
        .address_space:  global
        .offset:         40
        .size:           8
        .value_kind:     global_buffer
      - .actual_access:  read_only
        .address_space:  global
        .offset:         48
        .size:           8
        .value_kind:     global_buffer
      - .actual_access:  read_only
        .address_space:  global
        .offset:         56
        .size:           8
        .value_kind:     global_buffer
      - .actual_access:  read_only
        .address_space:  global
        .offset:         64
        .size:           8
        .value_kind:     global_buffer
      - .actual_access:  read_only
        .address_space:  global
        .offset:         72
        .size:           8
        .value_kind:     global_buffer
      - .offset:         80
        .size:           8
        .value_kind:     by_value
      - .actual_access:  read_only
        .address_space:  global
        .offset:         88
        .size:           8
        .value_kind:     global_buffer
      - .actual_access:  read_only
        .address_space:  global
        .offset:         96
        .size:           8
        .value_kind:     global_buffer
      - .actual_access:  read_only
        .address_space:  global
        .offset:         104
        .size:           8
        .value_kind:     global_buffer
      - .actual_access:  read_only
        .address_space:  global
        .offset:         112
        .size:           8
        .value_kind:     global_buffer
      - .actual_access:  read_only
        .address_space:  global
        .offset:         120
        .size:           8
        .value_kind:     global_buffer
      - .actual_access:  write_only
        .address_space:  global
        .offset:         128
        .size:           8
        .value_kind:     global_buffer
      - .offset:         136
        .size:           4
        .value_kind:     by_value
      - .offset:         140
        .size:           4
        .value_kind:     by_value
      - .offset:         144
        .size:           4
        .value_kind:     by_value
      - .offset:         148
        .size:           4
        .value_kind:     by_value
      - .offset:         152
        .size:           1
        .value_kind:     by_value
      - .offset:         153
        .size:           1
        .value_kind:     by_value
      - .offset:         154
        .size:           1
        .value_kind:     by_value
    .group_segment_fixed_size: 0
    .kernarg_segment_align: 8
    .kernarg_segment_size: 156
    .language:       OpenCL C
    .language_version:
      - 2
      - 0
    .max_flat_workgroup_size: 256
    .name:           _ZN9rocsparseL41csrgemm_numeric_fill_block_per_row_kernelILj256ELj32ELj512ELj137ELj64ElldEEvT5_PKS1_S3_NS_24const_host_device_scalarIT6_EEPKT4_S3_PKS5_S9_S3_SB_S6_S9_S3_SB_S9_S3_PS5_21rocsparse_index_base_SD_SD_SD_bbb
    .private_segment_fixed_size: 0
    .sgpr_count:     48
    .sgpr_spill_count: 0
    .symbol:         _ZN9rocsparseL41csrgemm_numeric_fill_block_per_row_kernelILj256ELj32ELj512ELj137ELj64ElldEEvT5_PKS1_S3_NS_24const_host_device_scalarIT6_EEPKT4_S3_PKS5_S9_S3_SB_S6_S9_S3_SB_S9_S3_PS5_21rocsparse_index_base_SD_SD_SD_bbb.kd
    .uniform_work_group_size: 1
    .uses_dynamic_stack: false
    .vgpr_count:     28
    .vgpr_spill_count: 0
    .wavefront_size: 32
  - .args:
      - .offset:         0
        .size:           8
        .value_kind:     by_value
      - .actual_access:  read_only
        .address_space:  global
        .offset:         8
        .size:           8
        .value_kind:     global_buffer
      - .actual_access:  read_only
        .address_space:  global
        .offset:         16
        .size:           8
        .value_kind:     global_buffer
      - .offset:         24
        .size:           8
        .value_kind:     by_value
      - .actual_access:  read_only
        .address_space:  global
        .offset:         32
        .size:           8
        .value_kind:     global_buffer
      - .actual_access:  read_only
        .address_space:  global
        .offset:         40
        .size:           8
        .value_kind:     global_buffer
      - .actual_access:  read_only
        .address_space:  global
        .offset:         48
        .size:           8
        .value_kind:     global_buffer
      - .actual_access:  read_only
        .address_space:  global
        .offset:         56
        .size:           8
        .value_kind:     global_buffer
      - .actual_access:  read_only
        .address_space:  global
        .offset:         64
        .size:           8
        .value_kind:     global_buffer
      - .actual_access:  read_only
        .address_space:  global
        .offset:         72
        .size:           8
        .value_kind:     global_buffer
      - .offset:         80
        .size:           8
        .value_kind:     by_value
      - .actual_access:  read_only
        .address_space:  global
        .offset:         88
        .size:           8
        .value_kind:     global_buffer
      - .actual_access:  read_only
        .address_space:  global
        .offset:         96
        .size:           8
        .value_kind:     global_buffer
      - .actual_access:  read_only
        .address_space:  global
        .offset:         104
        .size:           8
        .value_kind:     global_buffer
      - .actual_access:  read_only
        .address_space:  global
        .offset:         112
        .size:           8
        .value_kind:     global_buffer
      - .actual_access:  read_only
        .address_space:  global
        .offset:         120
        .size:           8
        .value_kind:     global_buffer
      - .actual_access:  write_only
        .address_space:  global
        .offset:         128
        .size:           8
        .value_kind:     global_buffer
      - .offset:         136
        .size:           4
        .value_kind:     by_value
      - .offset:         140
        .size:           4
        .value_kind:     by_value
      - .offset:         144
        .size:           4
        .value_kind:     by_value
      - .offset:         148
        .size:           4
        .value_kind:     by_value
      - .offset:         152
        .size:           1
        .value_kind:     by_value
      - .offset:         153
        .size:           1
        .value_kind:     by_value
      - .offset:         154
        .size:           1
        .value_kind:     by_value
    .group_segment_fixed_size: 0
    .kernarg_segment_align: 8
    .kernarg_segment_size: 156
    .language:       OpenCL C
    .language_version:
      - 2
      - 0
    .max_flat_workgroup_size: 512
    .name:           _ZN9rocsparseL41csrgemm_numeric_fill_block_per_row_kernelILj512ELj32ELj1024ELj137ELj32ElldEEvT5_PKS1_S3_NS_24const_host_device_scalarIT6_EEPKT4_S3_PKS5_S9_S3_SB_S6_S9_S3_SB_S9_S3_PS5_21rocsparse_index_base_SD_SD_SD_bbb
    .private_segment_fixed_size: 0
    .sgpr_count:     47
    .sgpr_spill_count: 0
    .symbol:         _ZN9rocsparseL41csrgemm_numeric_fill_block_per_row_kernelILj512ELj32ELj1024ELj137ELj32ElldEEvT5_PKS1_S3_NS_24const_host_device_scalarIT6_EEPKT4_S3_PKS5_S9_S3_SB_S6_S9_S3_SB_S9_S3_PS5_21rocsparse_index_base_SD_SD_SD_bbb.kd
    .uniform_work_group_size: 1
    .uses_dynamic_stack: false
    .vgpr_count:     30
    .vgpr_spill_count: 0
    .wavefront_size: 32
  - .args:
      - .offset:         0
        .size:           8
        .value_kind:     by_value
      - .actual_access:  read_only
        .address_space:  global
        .offset:         8
        .size:           8
        .value_kind:     global_buffer
      - .actual_access:  read_only
        .address_space:  global
        .offset:         16
        .size:           8
        .value_kind:     global_buffer
      - .offset:         24
        .size:           8
        .value_kind:     by_value
      - .actual_access:  read_only
        .address_space:  global
        .offset:         32
        .size:           8
        .value_kind:     global_buffer
      - .actual_access:  read_only
        .address_space:  global
        .offset:         40
        .size:           8
        .value_kind:     global_buffer
      - .actual_access:  read_only
        .address_space:  global
        .offset:         48
        .size:           8
        .value_kind:     global_buffer
      - .actual_access:  read_only
        .address_space:  global
        .offset:         56
        .size:           8
        .value_kind:     global_buffer
      - .actual_access:  read_only
        .address_space:  global
        .offset:         64
        .size:           8
        .value_kind:     global_buffer
      - .actual_access:  read_only
        .address_space:  global
        .offset:         72
        .size:           8
        .value_kind:     global_buffer
      - .offset:         80
        .size:           8
        .value_kind:     by_value
      - .actual_access:  read_only
        .address_space:  global
        .offset:         88
        .size:           8
        .value_kind:     global_buffer
      - .actual_access:  read_only
        .address_space:  global
        .offset:         96
        .size:           8
        .value_kind:     global_buffer
      - .actual_access:  read_only
        .address_space:  global
        .offset:         104
        .size:           8
        .value_kind:     global_buffer
      - .actual_access:  read_only
        .address_space:  global
        .offset:         112
        .size:           8
        .value_kind:     global_buffer
      - .actual_access:  read_only
        .address_space:  global
        .offset:         120
        .size:           8
        .value_kind:     global_buffer
      - .actual_access:  write_only
        .address_space:  global
        .offset:         128
        .size:           8
        .value_kind:     global_buffer
      - .offset:         136
        .size:           4
        .value_kind:     by_value
      - .offset:         140
        .size:           4
        .value_kind:     by_value
      - .offset:         144
        .size:           4
        .value_kind:     by_value
      - .offset:         148
        .size:           4
        .value_kind:     by_value
      - .offset:         152
        .size:           1
        .value_kind:     by_value
      - .offset:         153
        .size:           1
        .value_kind:     by_value
      - .offset:         154
        .size:           1
        .value_kind:     by_value
    .group_segment_fixed_size: 0
    .kernarg_segment_align: 8
    .kernarg_segment_size: 156
    .language:       OpenCL C
    .language_version:
      - 2
      - 0
    .max_flat_workgroup_size: 512
    .name:           _ZN9rocsparseL41csrgemm_numeric_fill_block_per_row_kernelILj512ELj32ELj1024ELj137ELj64ElldEEvT5_PKS1_S3_NS_24const_host_device_scalarIT6_EEPKT4_S3_PKS5_S9_S3_SB_S6_S9_S3_SB_S9_S3_PS5_21rocsparse_index_base_SD_SD_SD_bbb
    .private_segment_fixed_size: 0
    .sgpr_count:     47
    .sgpr_spill_count: 0
    .symbol:         _ZN9rocsparseL41csrgemm_numeric_fill_block_per_row_kernelILj512ELj32ELj1024ELj137ELj64ElldEEvT5_PKS1_S3_NS_24const_host_device_scalarIT6_EEPKT4_S3_PKS5_S9_S3_SB_S6_S9_S3_SB_S9_S3_PS5_21rocsparse_index_base_SD_SD_SD_bbb.kd
    .uniform_work_group_size: 1
    .uses_dynamic_stack: false
    .vgpr_count:     28
    .vgpr_spill_count: 0
    .wavefront_size: 32
  - .args:
      - .offset:         0
        .size:           8
        .value_kind:     by_value
      - .actual_access:  read_only
        .address_space:  global
        .offset:         8
        .size:           8
        .value_kind:     global_buffer
      - .actual_access:  read_only
        .address_space:  global
        .offset:         16
        .size:           8
        .value_kind:     global_buffer
      - .offset:         24
        .size:           8
        .value_kind:     by_value
      - .actual_access:  read_only
        .address_space:  global
        .offset:         32
        .size:           8
        .value_kind:     global_buffer
      - .actual_access:  read_only
        .address_space:  global
        .offset:         40
        .size:           8
        .value_kind:     global_buffer
      - .actual_access:  read_only
        .address_space:  global
        .offset:         48
        .size:           8
        .value_kind:     global_buffer
      - .actual_access:  read_only
        .address_space:  global
        .offset:         56
        .size:           8
        .value_kind:     global_buffer
      - .actual_access:  read_only
        .address_space:  global
        .offset:         64
        .size:           8
        .value_kind:     global_buffer
      - .actual_access:  read_only
        .address_space:  global
        .offset:         72
        .size:           8
        .value_kind:     global_buffer
      - .offset:         80
        .size:           8
        .value_kind:     by_value
      - .actual_access:  read_only
        .address_space:  global
        .offset:         88
        .size:           8
        .value_kind:     global_buffer
      - .actual_access:  read_only
        .address_space:  global
        .offset:         96
        .size:           8
        .value_kind:     global_buffer
      - .actual_access:  read_only
        .address_space:  global
        .offset:         104
        .size:           8
        .value_kind:     global_buffer
      - .actual_access:  read_only
        .address_space:  global
        .offset:         112
        .size:           8
        .value_kind:     global_buffer
      - .actual_access:  read_only
        .address_space:  global
        .offset:         120
        .size:           8
        .value_kind:     global_buffer
      - .actual_access:  write_only
        .address_space:  global
        .offset:         128
        .size:           8
        .value_kind:     global_buffer
      - .offset:         136
        .size:           4
        .value_kind:     by_value
      - .offset:         140
        .size:           4
        .value_kind:     by_value
      - .offset:         144
        .size:           4
        .value_kind:     by_value
      - .offset:         148
        .size:           4
        .value_kind:     by_value
      - .offset:         152
        .size:           1
        .value_kind:     by_value
      - .offset:         153
        .size:           1
        .value_kind:     by_value
      - .offset:         154
        .size:           1
        .value_kind:     by_value
    .group_segment_fixed_size: 0
    .kernarg_segment_align: 8
    .kernarg_segment_size: 156
    .language:       OpenCL C
    .language_version:
      - 2
      - 0
    .max_flat_workgroup_size: 1024
    .name:           _ZN9rocsparseL41csrgemm_numeric_fill_block_per_row_kernelILj1024ELj32ELj2048ELj137ELj32ElldEEvT5_PKS1_S3_NS_24const_host_device_scalarIT6_EEPKT4_S3_PKS5_S9_S3_SB_S6_S9_S3_SB_S9_S3_PS5_21rocsparse_index_base_SD_SD_SD_bbb
    .private_segment_fixed_size: 0
    .sgpr_count:     54
    .sgpr_spill_count: 0
    .symbol:         _ZN9rocsparseL41csrgemm_numeric_fill_block_per_row_kernelILj1024ELj32ELj2048ELj137ELj32ElldEEvT5_PKS1_S3_NS_24const_host_device_scalarIT6_EEPKT4_S3_PKS5_S9_S3_SB_S6_S9_S3_SB_S9_S3_PS5_21rocsparse_index_base_SD_SD_SD_bbb.kd
    .uniform_work_group_size: 1
    .uses_dynamic_stack: false
    .vgpr_count:     30
    .vgpr_spill_count: 0
    .wavefront_size: 32
  - .args:
      - .offset:         0
        .size:           8
        .value_kind:     by_value
      - .actual_access:  read_only
        .address_space:  global
        .offset:         8
        .size:           8
        .value_kind:     global_buffer
      - .actual_access:  read_only
        .address_space:  global
        .offset:         16
        .size:           8
        .value_kind:     global_buffer
      - .offset:         24
        .size:           8
        .value_kind:     by_value
      - .actual_access:  read_only
        .address_space:  global
        .offset:         32
        .size:           8
        .value_kind:     global_buffer
      - .actual_access:  read_only
        .address_space:  global
        .offset:         40
        .size:           8
        .value_kind:     global_buffer
      - .actual_access:  read_only
        .address_space:  global
        .offset:         48
        .size:           8
        .value_kind:     global_buffer
      - .actual_access:  read_only
        .address_space:  global
        .offset:         56
        .size:           8
        .value_kind:     global_buffer
      - .actual_access:  read_only
        .address_space:  global
        .offset:         64
        .size:           8
        .value_kind:     global_buffer
      - .actual_access:  read_only
        .address_space:  global
        .offset:         72
        .size:           8
        .value_kind:     global_buffer
      - .offset:         80
        .size:           8
        .value_kind:     by_value
      - .actual_access:  read_only
        .address_space:  global
        .offset:         88
        .size:           8
        .value_kind:     global_buffer
      - .actual_access:  read_only
        .address_space:  global
        .offset:         96
        .size:           8
        .value_kind:     global_buffer
      - .actual_access:  read_only
        .address_space:  global
        .offset:         104
        .size:           8
        .value_kind:     global_buffer
      - .actual_access:  read_only
        .address_space:  global
        .offset:         112
        .size:           8
        .value_kind:     global_buffer
      - .actual_access:  read_only
        .address_space:  global
        .offset:         120
        .size:           8
        .value_kind:     global_buffer
      - .actual_access:  write_only
        .address_space:  global
        .offset:         128
        .size:           8
        .value_kind:     global_buffer
      - .offset:         136
        .size:           4
        .value_kind:     by_value
      - .offset:         140
        .size:           4
        .value_kind:     by_value
      - .offset:         144
        .size:           4
        .value_kind:     by_value
      - .offset:         148
        .size:           4
        .value_kind:     by_value
      - .offset:         152
        .size:           1
        .value_kind:     by_value
      - .offset:         153
        .size:           1
        .value_kind:     by_value
      - .offset:         154
        .size:           1
        .value_kind:     by_value
    .group_segment_fixed_size: 0
    .kernarg_segment_align: 8
    .kernarg_segment_size: 156
    .language:       OpenCL C
    .language_version:
      - 2
      - 0
    .max_flat_workgroup_size: 1024
    .name:           _ZN9rocsparseL41csrgemm_numeric_fill_block_per_row_kernelILj1024ELj32ELj2048ELj137ELj64ElldEEvT5_PKS1_S3_NS_24const_host_device_scalarIT6_EEPKT4_S3_PKS5_S9_S3_SB_S6_S9_S3_SB_S9_S3_PS5_21rocsparse_index_base_SD_SD_SD_bbb
    .private_segment_fixed_size: 0
    .sgpr_count:     47
    .sgpr_spill_count: 0
    .symbol:         _ZN9rocsparseL41csrgemm_numeric_fill_block_per_row_kernelILj1024ELj32ELj2048ELj137ELj64ElldEEvT5_PKS1_S3_NS_24const_host_device_scalarIT6_EEPKT4_S3_PKS5_S9_S3_SB_S6_S9_S3_SB_S9_S3_PS5_21rocsparse_index_base_SD_SD_SD_bbb.kd
    .uniform_work_group_size: 1
    .uses_dynamic_stack: false
    .vgpr_count:     28
    .vgpr_spill_count: 0
    .wavefront_size: 32
  - .args:
      - .offset:         0
        .size:           8
        .value_kind:     by_value
      - .actual_access:  read_only
        .address_space:  global
        .offset:         8
        .size:           8
        .value_kind:     global_buffer
      - .actual_access:  read_only
        .address_space:  global
        .offset:         16
        .size:           8
        .value_kind:     global_buffer
      - .offset:         24
        .size:           8
        .value_kind:     by_value
      - .actual_access:  read_only
        .address_space:  global
        .offset:         32
        .size:           8
        .value_kind:     global_buffer
      - .actual_access:  read_only
        .address_space:  global
        .offset:         40
        .size:           8
        .value_kind:     global_buffer
      - .actual_access:  read_only
        .address_space:  global
        .offset:         48
        .size:           8
        .value_kind:     global_buffer
      - .actual_access:  read_only
        .address_space:  global
        .offset:         56
        .size:           8
        .value_kind:     global_buffer
      - .actual_access:  read_only
        .address_space:  global
        .offset:         64
        .size:           8
        .value_kind:     global_buffer
      - .actual_access:  read_only
        .address_space:  global
        .offset:         72
        .size:           8
        .value_kind:     global_buffer
      - .offset:         80
        .size:           8
        .value_kind:     by_value
      - .actual_access:  read_only
        .address_space:  global
        .offset:         88
        .size:           8
        .value_kind:     global_buffer
      - .actual_access:  read_only
        .address_space:  global
        .offset:         96
        .size:           8
        .value_kind:     global_buffer
      - .actual_access:  read_only
        .address_space:  global
        .offset:         104
        .size:           8
        .value_kind:     global_buffer
      - .actual_access:  read_only
        .address_space:  global
        .offset:         112
        .size:           8
        .value_kind:     global_buffer
      - .actual_access:  read_only
        .address_space:  global
        .offset:         120
        .size:           8
        .value_kind:     global_buffer
      - .actual_access:  write_only
        .address_space:  global
        .offset:         128
        .size:           8
        .value_kind:     global_buffer
      - .offset:         136
        .size:           4
        .value_kind:     by_value
      - .offset:         140
        .size:           4
        .value_kind:     by_value
      - .offset:         144
        .size:           4
        .value_kind:     by_value
      - .offset:         148
        .size:           4
        .value_kind:     by_value
      - .offset:         152
        .size:           1
        .value_kind:     by_value
      - .offset:         153
        .size:           1
        .value_kind:     by_value
      - .offset:         154
        .size:           1
        .value_kind:     by_value
    .group_segment_fixed_size: 0
    .kernarg_segment_align: 8
    .kernarg_segment_size: 156
    .language:       OpenCL C
    .language_version:
      - 2
      - 0
    .max_flat_workgroup_size: 1024
    .name:           _ZN9rocsparseL41csrgemm_numeric_fill_block_per_row_kernelILj1024ELj64ELj4096ELj137ELj32ElldEEvT5_PKS1_S3_NS_24const_host_device_scalarIT6_EEPKT4_S3_PKS5_S9_S3_SB_S6_S9_S3_SB_S9_S3_PS5_21rocsparse_index_base_SD_SD_SD_bbb
    .private_segment_fixed_size: 0
    .sgpr_count:     78
    .sgpr_spill_count: 0
    .symbol:         _ZN9rocsparseL41csrgemm_numeric_fill_block_per_row_kernelILj1024ELj64ELj4096ELj137ELj32ElldEEvT5_PKS1_S3_NS_24const_host_device_scalarIT6_EEPKT4_S3_PKS5_S9_S3_SB_S6_S9_S3_SB_S9_S3_PS5_21rocsparse_index_base_SD_SD_SD_bbb.kd
    .uniform_work_group_size: 1
    .uses_dynamic_stack: false
    .vgpr_count:     28
    .vgpr_spill_count: 0
    .wavefront_size: 32
  - .args:
      - .offset:         0
        .size:           8
        .value_kind:     by_value
      - .actual_access:  read_only
        .address_space:  global
        .offset:         8
        .size:           8
        .value_kind:     global_buffer
      - .actual_access:  read_only
        .address_space:  global
        .offset:         16
        .size:           8
        .value_kind:     global_buffer
      - .offset:         24
        .size:           8
        .value_kind:     by_value
      - .actual_access:  read_only
        .address_space:  global
        .offset:         32
        .size:           8
        .value_kind:     global_buffer
      - .actual_access:  read_only
        .address_space:  global
        .offset:         40
        .size:           8
        .value_kind:     global_buffer
      - .actual_access:  read_only
        .address_space:  global
        .offset:         48
        .size:           8
        .value_kind:     global_buffer
      - .actual_access:  read_only
        .address_space:  global
        .offset:         56
        .size:           8
        .value_kind:     global_buffer
      - .actual_access:  read_only
        .address_space:  global
        .offset:         64
        .size:           8
        .value_kind:     global_buffer
      - .actual_access:  read_only
        .address_space:  global
        .offset:         72
        .size:           8
        .value_kind:     global_buffer
      - .offset:         80
        .size:           8
        .value_kind:     by_value
      - .actual_access:  read_only
        .address_space:  global
        .offset:         88
        .size:           8
        .value_kind:     global_buffer
      - .actual_access:  read_only
        .address_space:  global
        .offset:         96
        .size:           8
        .value_kind:     global_buffer
      - .actual_access:  read_only
        .address_space:  global
        .offset:         104
        .size:           8
        .value_kind:     global_buffer
      - .actual_access:  read_only
        .address_space:  global
        .offset:         112
        .size:           8
        .value_kind:     global_buffer
      - .actual_access:  read_only
        .address_space:  global
        .offset:         120
        .size:           8
        .value_kind:     global_buffer
      - .actual_access:  write_only
        .address_space:  global
        .offset:         128
        .size:           8
        .value_kind:     global_buffer
      - .offset:         136
        .size:           4
        .value_kind:     by_value
      - .offset:         140
        .size:           4
        .value_kind:     by_value
      - .offset:         144
        .size:           4
        .value_kind:     by_value
      - .offset:         148
        .size:           4
        .value_kind:     by_value
      - .offset:         152
        .size:           1
        .value_kind:     by_value
      - .offset:         153
        .size:           1
        .value_kind:     by_value
      - .offset:         154
        .size:           1
        .value_kind:     by_value
    .group_segment_fixed_size: 0
    .kernarg_segment_align: 8
    .kernarg_segment_size: 156
    .language:       OpenCL C
    .language_version:
      - 2
      - 0
    .max_flat_workgroup_size: 1024
    .name:           _ZN9rocsparseL41csrgemm_numeric_fill_block_per_row_kernelILj1024ELj64ELj4096ELj137ELj64ElldEEvT5_PKS1_S3_NS_24const_host_device_scalarIT6_EEPKT4_S3_PKS5_S9_S3_SB_S6_S9_S3_SB_S9_S3_PS5_21rocsparse_index_base_SD_SD_SD_bbb
    .private_segment_fixed_size: 0
    .sgpr_count:     47
    .sgpr_spill_count: 0
    .symbol:         _ZN9rocsparseL41csrgemm_numeric_fill_block_per_row_kernelILj1024ELj64ELj4096ELj137ELj64ElldEEvT5_PKS1_S3_NS_24const_host_device_scalarIT6_EEPKT4_S3_PKS5_S9_S3_SB_S6_S9_S3_SB_S9_S3_PS5_21rocsparse_index_base_SD_SD_SD_bbb.kd
    .uniform_work_group_size: 1
    .uses_dynamic_stack: false
    .vgpr_count:     30
    .vgpr_spill_count: 0
    .wavefront_size: 32
  - .args:
      - .offset:         0
        .size:           8
        .value_kind:     by_value
      - .actual_access:  read_only
        .address_space:  global
        .offset:         8
        .size:           8
        .value_kind:     global_buffer
      - .actual_access:  read_only
        .address_space:  global
        .offset:         16
        .size:           8
        .value_kind:     global_buffer
      - .offset:         24
        .size:           8
        .value_kind:     by_value
      - .actual_access:  read_only
        .address_space:  global
        .offset:         32
        .size:           8
        .value_kind:     global_buffer
      - .actual_access:  read_only
        .address_space:  global
        .offset:         40
        .size:           8
        .value_kind:     global_buffer
      - .actual_access:  read_only
        .address_space:  global
        .offset:         48
        .size:           8
        .value_kind:     global_buffer
      - .actual_access:  read_only
        .address_space:  global
        .offset:         56
        .size:           8
        .value_kind:     global_buffer
      - .actual_access:  read_only
        .address_space:  global
        .offset:         64
        .size:           8
        .value_kind:     global_buffer
      - .actual_access:  read_only
        .address_space:  global
        .offset:         72
        .size:           8
        .value_kind:     global_buffer
      - .offset:         80
        .size:           8
        .value_kind:     by_value
      - .actual_access:  read_only
        .address_space:  global
        .offset:         88
        .size:           8
        .value_kind:     global_buffer
      - .actual_access:  read_only
        .address_space:  global
        .offset:         96
        .size:           8
        .value_kind:     global_buffer
      - .actual_access:  read_only
        .address_space:  global
        .offset:         104
        .size:           8
        .value_kind:     global_buffer
      - .actual_access:  read_only
        .address_space:  global
        .offset:         112
        .size:           8
        .value_kind:     global_buffer
      - .actual_access:  read_only
        .address_space:  global
        .offset:         120
        .size:           8
        .value_kind:     global_buffer
      - .actual_access:  write_only
        .address_space:  global
        .offset:         128
        .size:           8
        .value_kind:     global_buffer
      - .offset:         136
        .size:           4
        .value_kind:     by_value
      - .offset:         140
        .size:           4
        .value_kind:     by_value
      - .offset:         144
        .size:           4
        .value_kind:     by_value
      - .offset:         148
        .size:           4
        .value_kind:     by_value
      - .offset:         152
        .size:           1
        .value_kind:     by_value
      - .offset:         153
        .size:           1
        .value_kind:     by_value
      - .offset:         154
        .size:           1
        .value_kind:     by_value
    .group_segment_fixed_size: 0
    .kernarg_segment_align: 8
    .kernarg_segment_size: 156
    .language:       OpenCL C
    .language_version:
      - 2
      - 0
    .max_flat_workgroup_size: 1024
    .name:           _ZN9rocsparseL41csrgemm_numeric_fill_block_per_row_kernelILj1024ELj64ELj8192ELj137ELj32ElldEEvT5_PKS1_S3_NS_24const_host_device_scalarIT6_EEPKT4_S3_PKS5_S9_S3_SB_S6_S9_S3_SB_S9_S3_PS5_21rocsparse_index_base_SD_SD_SD_bbb
    .private_segment_fixed_size: 0
    .sgpr_count:     78
    .sgpr_spill_count: 0
    .symbol:         _ZN9rocsparseL41csrgemm_numeric_fill_block_per_row_kernelILj1024ELj64ELj8192ELj137ELj32ElldEEvT5_PKS1_S3_NS_24const_host_device_scalarIT6_EEPKT4_S3_PKS5_S9_S3_SB_S6_S9_S3_SB_S9_S3_PS5_21rocsparse_index_base_SD_SD_SD_bbb.kd
    .uniform_work_group_size: 1
    .uses_dynamic_stack: false
    .vgpr_count:     27
    .vgpr_spill_count: 0
    .wavefront_size: 32
  - .args:
      - .offset:         0
        .size:           8
        .value_kind:     by_value
      - .actual_access:  read_only
        .address_space:  global
        .offset:         8
        .size:           8
        .value_kind:     global_buffer
      - .actual_access:  read_only
        .address_space:  global
        .offset:         16
        .size:           8
        .value_kind:     global_buffer
      - .offset:         24
        .size:           8
        .value_kind:     by_value
      - .actual_access:  read_only
        .address_space:  global
        .offset:         32
        .size:           8
        .value_kind:     global_buffer
      - .actual_access:  read_only
        .address_space:  global
        .offset:         40
        .size:           8
        .value_kind:     global_buffer
      - .actual_access:  read_only
        .address_space:  global
        .offset:         48
        .size:           8
        .value_kind:     global_buffer
      - .actual_access:  read_only
        .address_space:  global
        .offset:         56
        .size:           8
        .value_kind:     global_buffer
      - .actual_access:  read_only
        .address_space:  global
        .offset:         64
        .size:           8
        .value_kind:     global_buffer
      - .actual_access:  read_only
        .address_space:  global
        .offset:         72
        .size:           8
        .value_kind:     global_buffer
      - .offset:         80
        .size:           8
        .value_kind:     by_value
      - .actual_access:  read_only
        .address_space:  global
        .offset:         88
        .size:           8
        .value_kind:     global_buffer
      - .actual_access:  read_only
        .address_space:  global
        .offset:         96
        .size:           8
        .value_kind:     global_buffer
      - .actual_access:  read_only
        .address_space:  global
        .offset:         104
        .size:           8
        .value_kind:     global_buffer
      - .actual_access:  read_only
        .address_space:  global
        .offset:         112
        .size:           8
        .value_kind:     global_buffer
      - .actual_access:  read_only
        .address_space:  global
        .offset:         120
        .size:           8
        .value_kind:     global_buffer
      - .actual_access:  write_only
        .address_space:  global
        .offset:         128
        .size:           8
        .value_kind:     global_buffer
      - .offset:         136
        .size:           4
        .value_kind:     by_value
      - .offset:         140
        .size:           4
        .value_kind:     by_value
      - .offset:         144
        .size:           4
        .value_kind:     by_value
      - .offset:         148
        .size:           4
        .value_kind:     by_value
      - .offset:         152
        .size:           1
        .value_kind:     by_value
      - .offset:         153
        .size:           1
        .value_kind:     by_value
      - .offset:         154
        .size:           1
        .value_kind:     by_value
    .group_segment_fixed_size: 0
    .kernarg_segment_align: 8
    .kernarg_segment_size: 156
    .language:       OpenCL C
    .language_version:
      - 2
      - 0
    .max_flat_workgroup_size: 1024
    .name:           _ZN9rocsparseL41csrgemm_numeric_fill_block_per_row_kernelILj1024ELj64ELj8192ELj137ELj64ElldEEvT5_PKS1_S3_NS_24const_host_device_scalarIT6_EEPKT4_S3_PKS5_S9_S3_SB_S6_S9_S3_SB_S9_S3_PS5_21rocsparse_index_base_SD_SD_SD_bbb
    .private_segment_fixed_size: 0
    .sgpr_count:     46
    .sgpr_spill_count: 0
    .symbol:         _ZN9rocsparseL41csrgemm_numeric_fill_block_per_row_kernelILj1024ELj64ELj8192ELj137ELj64ElldEEvT5_PKS1_S3_NS_24const_host_device_scalarIT6_EEPKT4_S3_PKS5_S9_S3_SB_S6_S9_S3_SB_S9_S3_PS5_21rocsparse_index_base_SD_SD_SD_bbb.kd
    .uniform_work_group_size: 1
    .uses_dynamic_stack: false
    .vgpr_count:     29
    .vgpr_spill_count: 0
    .wavefront_size: 32
  - .args:
      - .offset:         0
        .size:           8
        .value_kind:     by_value
      - .actual_access:  read_only
        .address_space:  global
        .offset:         8
        .size:           8
        .value_kind:     global_buffer
      - .actual_access:  read_only
        .address_space:  global
        .offset:         16
        .size:           8
        .value_kind:     global_buffer
      - .offset:         24
        .size:           8
        .value_kind:     by_value
      - .actual_access:  read_only
        .address_space:  global
        .offset:         32
        .size:           8
        .value_kind:     global_buffer
      - .actual_access:  read_only
        .address_space:  global
        .offset:         40
        .size:           8
        .value_kind:     global_buffer
      - .actual_access:  read_only
        .address_space:  global
        .offset:         48
        .size:           8
        .value_kind:     global_buffer
      - .actual_access:  read_only
        .address_space:  global
        .offset:         56
        .size:           8
        .value_kind:     global_buffer
      - .actual_access:  read_only
        .address_space:  global
        .offset:         64
        .size:           8
        .value_kind:     global_buffer
      - .actual_access:  read_only
        .address_space:  global
        .offset:         72
        .size:           8
        .value_kind:     global_buffer
      - .offset:         80
        .size:           8
        .value_kind:     by_value
      - .actual_access:  read_only
        .address_space:  global
        .offset:         88
        .size:           8
        .value_kind:     global_buffer
      - .actual_access:  read_only
        .address_space:  global
        .offset:         96
        .size:           8
        .value_kind:     global_buffer
      - .actual_access:  read_only
        .address_space:  global
        .offset:         104
        .size:           8
        .value_kind:     global_buffer
      - .actual_access:  read_only
        .address_space:  global
        .offset:         112
        .size:           8
        .value_kind:     global_buffer
      - .actual_access:  read_only
        .address_space:  global
        .offset:         120
        .size:           8
        .value_kind:     global_buffer
      - .actual_access:  write_only
        .address_space:  global
        .offset:         128
        .size:           8
        .value_kind:     global_buffer
      - .offset:         136
        .size:           4
        .value_kind:     by_value
      - .offset:         140
        .size:           4
        .value_kind:     by_value
      - .offset:         144
        .size:           4
        .value_kind:     by_value
      - .offset:         148
        .size:           4
        .value_kind:     by_value
      - .offset:         152
        .size:           1
        .value_kind:     by_value
      - .offset:         153
        .size:           1
        .value_kind:     by_value
      - .offset:         154
        .size:           1
        .value_kind:     by_value
    .group_segment_fixed_size: 0
    .kernarg_segment_align: 8
    .kernarg_segment_size: 156
    .language:       OpenCL C
    .language_version:
      - 2
      - 0
    .max_flat_workgroup_size: 1024
    .name:           _ZN9rocsparseL41csrgemm_numeric_fill_block_per_row_kernelILj1024ELj64ELj16384ELj137ELj32ElldEEvT5_PKS1_S3_NS_24const_host_device_scalarIT6_EEPKT4_S3_PKS5_S9_S3_SB_S6_S9_S3_SB_S9_S3_PS5_21rocsparse_index_base_SD_SD_SD_bbb
    .private_segment_fixed_size: 0
    .sgpr_count:     78
    .sgpr_spill_count: 0
    .symbol:         _ZN9rocsparseL41csrgemm_numeric_fill_block_per_row_kernelILj1024ELj64ELj16384ELj137ELj32ElldEEvT5_PKS1_S3_NS_24const_host_device_scalarIT6_EEPKT4_S3_PKS5_S9_S3_SB_S6_S9_S3_SB_S9_S3_PS5_21rocsparse_index_base_SD_SD_SD_bbb.kd
    .uniform_work_group_size: 1
    .uses_dynamic_stack: false
    .vgpr_count:     28
    .vgpr_spill_count: 0
    .wavefront_size: 32
  - .args:
      - .offset:         0
        .size:           8
        .value_kind:     by_value
      - .actual_access:  read_only
        .address_space:  global
        .offset:         8
        .size:           8
        .value_kind:     global_buffer
      - .actual_access:  read_only
        .address_space:  global
        .offset:         16
        .size:           8
        .value_kind:     global_buffer
      - .offset:         24
        .size:           8
        .value_kind:     by_value
      - .actual_access:  read_only
        .address_space:  global
        .offset:         32
        .size:           8
        .value_kind:     global_buffer
      - .actual_access:  read_only
        .address_space:  global
        .offset:         40
        .size:           8
        .value_kind:     global_buffer
      - .actual_access:  read_only
        .address_space:  global
        .offset:         48
        .size:           8
        .value_kind:     global_buffer
      - .actual_access:  read_only
        .address_space:  global
        .offset:         56
        .size:           8
        .value_kind:     global_buffer
      - .actual_access:  read_only
        .address_space:  global
        .offset:         64
        .size:           8
        .value_kind:     global_buffer
      - .actual_access:  read_only
        .address_space:  global
        .offset:         72
        .size:           8
        .value_kind:     global_buffer
      - .offset:         80
        .size:           8
        .value_kind:     by_value
      - .actual_access:  read_only
        .address_space:  global
        .offset:         88
        .size:           8
        .value_kind:     global_buffer
      - .actual_access:  read_only
        .address_space:  global
        .offset:         96
        .size:           8
        .value_kind:     global_buffer
      - .actual_access:  read_only
        .address_space:  global
        .offset:         104
        .size:           8
        .value_kind:     global_buffer
      - .actual_access:  read_only
        .address_space:  global
        .offset:         112
        .size:           8
        .value_kind:     global_buffer
      - .actual_access:  read_only
        .address_space:  global
        .offset:         120
        .size:           8
        .value_kind:     global_buffer
      - .actual_access:  write_only
        .address_space:  global
        .offset:         128
        .size:           8
        .value_kind:     global_buffer
      - .offset:         136
        .size:           4
        .value_kind:     by_value
      - .offset:         140
        .size:           4
        .value_kind:     by_value
      - .offset:         144
        .size:           4
        .value_kind:     by_value
      - .offset:         148
        .size:           4
        .value_kind:     by_value
      - .offset:         152
        .size:           1
        .value_kind:     by_value
      - .offset:         153
        .size:           1
        .value_kind:     by_value
      - .offset:         154
        .size:           1
        .value_kind:     by_value
    .group_segment_fixed_size: 0
    .kernarg_segment_align: 8
    .kernarg_segment_size: 156
    .language:       OpenCL C
    .language_version:
      - 2
      - 0
    .max_flat_workgroup_size: 1024
    .name:           _ZN9rocsparseL41csrgemm_numeric_fill_block_per_row_kernelILj1024ELj64ELj16384ELj137ELj64ElldEEvT5_PKS1_S3_NS_24const_host_device_scalarIT6_EEPKT4_S3_PKS5_S9_S3_SB_S6_S9_S3_SB_S9_S3_PS5_21rocsparse_index_base_SD_SD_SD_bbb
    .private_segment_fixed_size: 0
    .sgpr_count:     47
    .sgpr_spill_count: 0
    .symbol:         _ZN9rocsparseL41csrgemm_numeric_fill_block_per_row_kernelILj1024ELj64ELj16384ELj137ELj64ElldEEvT5_PKS1_S3_NS_24const_host_device_scalarIT6_EEPKT4_S3_PKS5_S9_S3_SB_S6_S9_S3_SB_S9_S3_PS5_21rocsparse_index_base_SD_SD_SD_bbb.kd
    .uniform_work_group_size: 1
    .uses_dynamic_stack: false
    .vgpr_count:     30
    .vgpr_spill_count: 0
    .wavefront_size: 32
  - .args:
      - .offset:         0
        .size:           8
        .value_kind:     by_value
      - .actual_access:  read_only
        .address_space:  global
        .offset:         8
        .size:           8
        .value_kind:     global_buffer
      - .actual_access:  read_only
        .address_space:  global
        .offset:         16
        .size:           8
        .value_kind:     global_buffer
      - .offset:         24
        .size:           8
        .value_kind:     by_value
      - .actual_access:  read_only
        .address_space:  global
        .offset:         32
        .size:           8
        .value_kind:     global_buffer
      - .actual_access:  read_only
        .address_space:  global
        .offset:         40
        .size:           8
        .value_kind:     global_buffer
      - .actual_access:  read_only
        .address_space:  global
        .offset:         48
        .size:           8
        .value_kind:     global_buffer
      - .actual_access:  read_only
        .address_space:  global
        .offset:         56
        .size:           8
        .value_kind:     global_buffer
      - .actual_access:  read_only
        .address_space:  global
        .offset:         64
        .size:           8
        .value_kind:     global_buffer
      - .actual_access:  read_only
        .address_space:  global
        .offset:         72
        .size:           8
        .value_kind:     global_buffer
      - .offset:         80
        .size:           8
        .value_kind:     by_value
      - .actual_access:  read_only
        .address_space:  global
        .offset:         88
        .size:           8
        .value_kind:     global_buffer
      - .actual_access:  read_only
        .address_space:  global
        .offset:         96
        .size:           8
        .value_kind:     global_buffer
      - .actual_access:  read_only
        .address_space:  global
        .offset:         104
        .size:           8
        .value_kind:     global_buffer
      - .actual_access:  read_only
        .address_space:  global
        .offset:         112
        .size:           8
        .value_kind:     global_buffer
      - .actual_access:  read_only
        .address_space:  global
        .offset:         120
        .size:           8
        .value_kind:     global_buffer
      - .actual_access:  write_only
        .address_space:  global
        .offset:         128
        .size:           8
        .value_kind:     global_buffer
      - .offset:         136
        .size:           4
        .value_kind:     by_value
      - .offset:         140
        .size:           4
        .value_kind:     by_value
      - .offset:         144
        .size:           4
        .value_kind:     by_value
      - .offset:         148
        .size:           4
        .value_kind:     by_value
      - .offset:         152
        .size:           1
        .value_kind:     by_value
      - .offset:         153
        .size:           1
        .value_kind:     by_value
      - .offset:         154
        .size:           1
        .value_kind:     by_value
    .group_segment_fixed_size: 0
    .kernarg_segment_align: 8
    .kernarg_segment_size: 156
    .language:       OpenCL C
    .language_version:
      - 2
      - 0
    .max_flat_workgroup_size: 1024
    .name:           _ZN9rocsparseL41csrgemm_numeric_fill_block_per_row_kernelILj1024ELj64ELj32768ELj137ELj32ElldEEvT5_PKS1_S3_NS_24const_host_device_scalarIT6_EEPKT4_S3_PKS5_S9_S3_SB_S6_S9_S3_SB_S9_S3_PS5_21rocsparse_index_base_SD_SD_SD_bbb
    .private_segment_fixed_size: 0
    .sgpr_count:     78
    .sgpr_spill_count: 0
    .symbol:         _ZN9rocsparseL41csrgemm_numeric_fill_block_per_row_kernelILj1024ELj64ELj32768ELj137ELj32ElldEEvT5_PKS1_S3_NS_24const_host_device_scalarIT6_EEPKT4_S3_PKS5_S9_S3_SB_S6_S9_S3_SB_S9_S3_PS5_21rocsparse_index_base_SD_SD_SD_bbb.kd
    .uniform_work_group_size: 1
    .uses_dynamic_stack: false
    .vgpr_count:     28
    .vgpr_spill_count: 0
    .wavefront_size: 32
  - .args:
      - .offset:         0
        .size:           8
        .value_kind:     by_value
      - .actual_access:  read_only
        .address_space:  global
        .offset:         8
        .size:           8
        .value_kind:     global_buffer
      - .actual_access:  read_only
        .address_space:  global
        .offset:         16
        .size:           8
        .value_kind:     global_buffer
      - .offset:         24
        .size:           8
        .value_kind:     by_value
      - .actual_access:  read_only
        .address_space:  global
        .offset:         32
        .size:           8
        .value_kind:     global_buffer
      - .actual_access:  read_only
        .address_space:  global
        .offset:         40
        .size:           8
        .value_kind:     global_buffer
      - .actual_access:  read_only
        .address_space:  global
        .offset:         48
        .size:           8
        .value_kind:     global_buffer
      - .actual_access:  read_only
        .address_space:  global
        .offset:         56
        .size:           8
        .value_kind:     global_buffer
      - .actual_access:  read_only
        .address_space:  global
        .offset:         64
        .size:           8
        .value_kind:     global_buffer
      - .actual_access:  read_only
        .address_space:  global
        .offset:         72
        .size:           8
        .value_kind:     global_buffer
      - .offset:         80
        .size:           8
        .value_kind:     by_value
      - .actual_access:  read_only
        .address_space:  global
        .offset:         88
        .size:           8
        .value_kind:     global_buffer
      - .actual_access:  read_only
        .address_space:  global
        .offset:         96
        .size:           8
        .value_kind:     global_buffer
      - .actual_access:  read_only
        .address_space:  global
        .offset:         104
        .size:           8
        .value_kind:     global_buffer
      - .actual_access:  read_only
        .address_space:  global
        .offset:         112
        .size:           8
        .value_kind:     global_buffer
      - .actual_access:  read_only
        .address_space:  global
        .offset:         120
        .size:           8
        .value_kind:     global_buffer
      - .actual_access:  write_only
        .address_space:  global
        .offset:         128
        .size:           8
        .value_kind:     global_buffer
      - .offset:         136
        .size:           4
        .value_kind:     by_value
      - .offset:         140
        .size:           4
        .value_kind:     by_value
      - .offset:         144
        .size:           4
        .value_kind:     by_value
      - .offset:         148
        .size:           4
        .value_kind:     by_value
      - .offset:         152
        .size:           1
        .value_kind:     by_value
      - .offset:         153
        .size:           1
        .value_kind:     by_value
      - .offset:         154
        .size:           1
        .value_kind:     by_value
    .group_segment_fixed_size: 0
    .kernarg_segment_align: 8
    .kernarg_segment_size: 156
    .language:       OpenCL C
    .language_version:
      - 2
      - 0
    .max_flat_workgroup_size: 1024
    .name:           _ZN9rocsparseL41csrgemm_numeric_fill_block_per_row_kernelILj1024ELj64ELj32768ELj137ELj64ElldEEvT5_PKS1_S3_NS_24const_host_device_scalarIT6_EEPKT4_S3_PKS5_S9_S3_SB_S6_S9_S3_SB_S9_S3_PS5_21rocsparse_index_base_SD_SD_SD_bbb
    .private_segment_fixed_size: 0
    .sgpr_count:     47
    .sgpr_spill_count: 0
    .symbol:         _ZN9rocsparseL41csrgemm_numeric_fill_block_per_row_kernelILj1024ELj64ELj32768ELj137ELj64ElldEEvT5_PKS1_S3_NS_24const_host_device_scalarIT6_EEPKT4_S3_PKS5_S9_S3_SB_S6_S9_S3_SB_S9_S3_PS5_21rocsparse_index_base_SD_SD_SD_bbb.kd
    .uniform_work_group_size: 1
    .uses_dynamic_stack: false
    .vgpr_count:     30
    .vgpr_spill_count: 0
    .wavefront_size: 32
  - .args:
      - .offset:         0
        .size:           8
        .value_kind:     by_value
      - .actual_access:  read_only
        .address_space:  global
        .offset:         8
        .size:           8
        .value_kind:     global_buffer
      - .actual_access:  read_only
        .address_space:  global
        .offset:         16
        .size:           8
        .value_kind:     global_buffer
      - .offset:         24
        .size:           8
        .value_kind:     by_value
      - .actual_access:  read_only
        .address_space:  global
        .offset:         32
        .size:           8
        .value_kind:     global_buffer
      - .actual_access:  read_only
        .address_space:  global
        .offset:         40
        .size:           8
        .value_kind:     global_buffer
      - .actual_access:  read_only
        .address_space:  global
        .offset:         48
        .size:           8
        .value_kind:     global_buffer
      - .actual_access:  read_only
        .address_space:  global
        .offset:         56
        .size:           8
        .value_kind:     global_buffer
      - .actual_access:  read_only
        .address_space:  global
        .offset:         64
        .size:           8
        .value_kind:     global_buffer
      - .actual_access:  read_only
        .address_space:  global
        .offset:         72
        .size:           8
        .value_kind:     global_buffer
      - .offset:         80
        .size:           8
        .value_kind:     by_value
      - .actual_access:  read_only
        .address_space:  global
        .offset:         88
        .size:           8
        .value_kind:     global_buffer
      - .actual_access:  read_only
        .address_space:  global
        .offset:         96
        .size:           8
        .value_kind:     global_buffer
      - .actual_access:  read_only
        .address_space:  global
        .offset:         104
        .size:           8
        .value_kind:     global_buffer
      - .actual_access:  read_only
        .address_space:  global
        .offset:         112
        .size:           8
        .value_kind:     global_buffer
      - .actual_access:  read_only
        .address_space:  global
        .offset:         120
        .size:           8
        .value_kind:     global_buffer
      - .actual_access:  write_only
        .address_space:  global
        .offset:         128
        .size:           8
        .value_kind:     global_buffer
      - .address_space:  global
        .offset:         136
        .size:           8
        .value_kind:     global_buffer
      - .offset:         144
        .size:           4
        .value_kind:     by_value
      - .offset:         148
        .size:           4
        .value_kind:     by_value
      - .offset:         152
        .size:           4
        .value_kind:     by_value
      - .offset:         156
        .size:           4
        .value_kind:     by_value
      - .offset:         160
        .size:           1
        .value_kind:     by_value
      - .offset:         161
        .size:           1
        .value_kind:     by_value
      - .offset:         162
        .size:           1
        .value_kind:     by_value
    .group_segment_fixed_size: 18440
    .kernarg_segment_align: 8
    .kernarg_segment_size: 164
    .language:       OpenCL C
    .language_version:
      - 2
      - 0
    .max_flat_workgroup_size: 512
    .name:           _ZN9rocsparseL51csrgemm_numeric_fill_block_per_row_multipass_kernelILj512ELj16ELj2048ELj32ElldEEvT4_PKS1_S3_NS_24const_host_device_scalarIT5_EEPKT3_S3_PKS5_S9_S3_SB_S6_S9_S3_SB_S9_S3_PS5_PS7_21rocsparse_index_base_SE_SE_SE_bbb
    .private_segment_fixed_size: 0
    .sgpr_count:     63
    .sgpr_spill_count: 0
    .symbol:         _ZN9rocsparseL51csrgemm_numeric_fill_block_per_row_multipass_kernelILj512ELj16ELj2048ELj32ElldEEvT4_PKS1_S3_NS_24const_host_device_scalarIT5_EEPKT3_S3_PKS5_S9_S3_SB_S6_S9_S3_SB_S9_S3_PS5_PS7_21rocsparse_index_base_SE_SE_SE_bbb.kd
    .uniform_work_group_size: 1
    .uses_dynamic_stack: false
    .vgpr_count:     51
    .vgpr_spill_count: 0
    .wavefront_size: 32
  - .args:
      - .offset:         0
        .size:           8
        .value_kind:     by_value
      - .actual_access:  read_only
        .address_space:  global
        .offset:         8
        .size:           8
        .value_kind:     global_buffer
      - .actual_access:  read_only
        .address_space:  global
        .offset:         16
        .size:           8
        .value_kind:     global_buffer
      - .offset:         24
        .size:           8
        .value_kind:     by_value
      - .actual_access:  read_only
        .address_space:  global
        .offset:         32
        .size:           8
        .value_kind:     global_buffer
      - .actual_access:  read_only
        .address_space:  global
        .offset:         40
        .size:           8
        .value_kind:     global_buffer
      - .actual_access:  read_only
        .address_space:  global
        .offset:         48
        .size:           8
        .value_kind:     global_buffer
      - .actual_access:  read_only
        .address_space:  global
        .offset:         56
        .size:           8
        .value_kind:     global_buffer
      - .actual_access:  read_only
        .address_space:  global
        .offset:         64
        .size:           8
        .value_kind:     global_buffer
      - .actual_access:  read_only
        .address_space:  global
        .offset:         72
        .size:           8
        .value_kind:     global_buffer
      - .offset:         80
        .size:           8
        .value_kind:     by_value
      - .actual_access:  read_only
        .address_space:  global
        .offset:         88
        .size:           8
        .value_kind:     global_buffer
      - .actual_access:  read_only
        .address_space:  global
        .offset:         96
        .size:           8
        .value_kind:     global_buffer
      - .actual_access:  read_only
        .address_space:  global
        .offset:         104
        .size:           8
        .value_kind:     global_buffer
      - .actual_access:  read_only
        .address_space:  global
        .offset:         112
        .size:           8
        .value_kind:     global_buffer
      - .actual_access:  read_only
        .address_space:  global
        .offset:         120
        .size:           8
        .value_kind:     global_buffer
      - .actual_access:  write_only
        .address_space:  global
        .offset:         128
        .size:           8
        .value_kind:     global_buffer
      - .address_space:  global
        .offset:         136
        .size:           8
        .value_kind:     global_buffer
      - .offset:         144
        .size:           4
        .value_kind:     by_value
      - .offset:         148
        .size:           4
        .value_kind:     by_value
      - .offset:         152
        .size:           4
        .value_kind:     by_value
      - .offset:         156
        .size:           4
        .value_kind:     by_value
      - .offset:         160
        .size:           1
        .value_kind:     by_value
      - .offset:         161
        .size:           1
        .value_kind:     by_value
      - .offset:         162
        .size:           1
        .value_kind:     by_value
    .group_segment_fixed_size: 18440
    .kernarg_segment_align: 8
    .kernarg_segment_size: 164
    .language:       OpenCL C
    .language_version:
      - 2
      - 0
    .max_flat_workgroup_size: 512
    .name:           _ZN9rocsparseL51csrgemm_numeric_fill_block_per_row_multipass_kernelILj512ELj16ELj2048ELj64ElldEEvT4_PKS1_S3_NS_24const_host_device_scalarIT5_EEPKT3_S3_PKS5_S9_S3_SB_S6_S9_S3_SB_S9_S3_PS5_PS7_21rocsparse_index_base_SE_SE_SE_bbb
    .private_segment_fixed_size: 0
    .sgpr_count:     55
    .sgpr_spill_count: 0
    .symbol:         _ZN9rocsparseL51csrgemm_numeric_fill_block_per_row_multipass_kernelILj512ELj16ELj2048ELj64ElldEEvT4_PKS1_S3_NS_24const_host_device_scalarIT5_EEPKT3_S3_PKS5_S9_S3_SB_S6_S9_S3_SB_S9_S3_PS5_PS7_21rocsparse_index_base_SE_SE_SE_bbb.kd
    .uniform_work_group_size: 1
    .uses_dynamic_stack: false
    .vgpr_count:     51
    .vgpr_spill_count: 0
    .wavefront_size: 32
  - .args:
      - .offset:         0
        .size:           8
        .value_kind:     by_value
      - .offset:         8
        .size:           8
        .value_kind:     by_value
      - .actual_access:  read_only
        .address_space:  global
        .offset:         16
        .size:           8
        .value_kind:     global_buffer
      - .actual_access:  read_only
        .address_space:  global
        .offset:         24
        .size:           8
        .value_kind:     global_buffer
      - .offset:         32
        .size:           8
        .value_kind:     by_value
      - .actual_access:  read_only
        .address_space:  global
        .offset:         40
        .size:           8
        .value_kind:     global_buffer
      - .actual_access:  read_only
        .address_space:  global
        .offset:         48
        .size:           8
        .value_kind:     global_buffer
      - .actual_access:  read_only
        .address_space:  global
        .offset:         56
        .size:           8
        .value_kind:     global_buffer
      - .actual_access:  read_only
        .address_space:  global
        .offset:         64
        .size:           8
        .value_kind:     global_buffer
      - .actual_access:  read_only
        .address_space:  global
        .offset:         72
        .size:           8
        .value_kind:     global_buffer
      - .actual_access:  read_only
        .address_space:  global
        .offset:         80
        .size:           8
        .value_kind:     global_buffer
      - .offset:         88
        .size:           8
        .value_kind:     by_value
      - .actual_access:  read_only
        .address_space:  global
        .offset:         96
        .size:           8
        .value_kind:     global_buffer
      - .actual_access:  read_only
        .address_space:  global
        .offset:         104
        .size:           8
        .value_kind:     global_buffer
      - .actual_access:  read_only
        .address_space:  global
        .offset:         112
        .size:           8
        .value_kind:     global_buffer
      - .actual_access:  read_only
        .address_space:  global
        .offset:         120
        .size:           8
        .value_kind:     global_buffer
      - .actual_access:  read_only
        .address_space:  global
        .offset:         128
        .size:           8
        .value_kind:     global_buffer
      - .actual_access:  write_only
        .address_space:  global
        .offset:         136
        .size:           8
        .value_kind:     global_buffer
      - .offset:         144
        .size:           4
        .value_kind:     by_value
      - .offset:         148
        .size:           4
        .value_kind:     by_value
      - .offset:         152
        .size:           4
        .value_kind:     by_value
      - .offset:         156
        .size:           4
        .value_kind:     by_value
      - .offset:         160
        .size:           1
        .value_kind:     by_value
      - .offset:         161
        .size:           1
        .value_kind:     by_value
      - .offset:         162
        .size:           1
        .value_kind:     by_value
    .group_segment_fixed_size: 8192
    .kernarg_segment_align: 8
    .kernarg_segment_size: 164
    .language:       OpenCL C
    .language_version:
      - 2
      - 0
    .max_flat_workgroup_size: 256
    .name:           _ZN9rocsparseL38csrgemm_numeric_fill_wf_per_row_kernelILj256ELj8ELj16ELj137Ell21rocsparse_complex_numIfEEEvT4_S3_PKS3_S5_NS_24const_host_device_scalarIT5_EEPKT3_S5_PKS7_SB_S5_SD_S8_SB_S5_SD_SB_S5_PS7_21rocsparse_index_base_SF_SF_SF_bbb
    .private_segment_fixed_size: 0
    .sgpr_count:     47
    .sgpr_spill_count: 0
    .symbol:         _ZN9rocsparseL38csrgemm_numeric_fill_wf_per_row_kernelILj256ELj8ELj16ELj137Ell21rocsparse_complex_numIfEEEvT4_S3_PKS3_S5_NS_24const_host_device_scalarIT5_EEPKT3_S5_PKS7_SB_S5_SD_S8_SB_S5_SD_SB_S5_PS7_21rocsparse_index_base_SF_SF_SF_bbb.kd
    .uniform_work_group_size: 1
    .uses_dynamic_stack: false
    .vgpr_count:     28
    .vgpr_spill_count: 0
    .wavefront_size: 32
  - .args:
      - .offset:         0
        .size:           8
        .value_kind:     by_value
      - .offset:         8
        .size:           8
        .value_kind:     by_value
      - .actual_access:  read_only
        .address_space:  global
        .offset:         16
        .size:           8
        .value_kind:     global_buffer
      - .actual_access:  read_only
        .address_space:  global
        .offset:         24
        .size:           8
        .value_kind:     global_buffer
      - .offset:         32
        .size:           8
        .value_kind:     by_value
      - .actual_access:  read_only
        .address_space:  global
        .offset:         40
        .size:           8
        .value_kind:     global_buffer
      - .actual_access:  read_only
        .address_space:  global
        .offset:         48
        .size:           8
        .value_kind:     global_buffer
      - .actual_access:  read_only
        .address_space:  global
        .offset:         56
        .size:           8
        .value_kind:     global_buffer
      - .actual_access:  read_only
        .address_space:  global
        .offset:         64
        .size:           8
        .value_kind:     global_buffer
      - .actual_access:  read_only
        .address_space:  global
        .offset:         72
        .size:           8
        .value_kind:     global_buffer
      - .actual_access:  read_only
        .address_space:  global
        .offset:         80
        .size:           8
        .value_kind:     global_buffer
      - .offset:         88
        .size:           8
        .value_kind:     by_value
      - .actual_access:  read_only
        .address_space:  global
        .offset:         96
        .size:           8
        .value_kind:     global_buffer
      - .actual_access:  read_only
        .address_space:  global
        .offset:         104
        .size:           8
        .value_kind:     global_buffer
      - .actual_access:  read_only
        .address_space:  global
        .offset:         112
        .size:           8
        .value_kind:     global_buffer
      - .actual_access:  read_only
        .address_space:  global
        .offset:         120
        .size:           8
        .value_kind:     global_buffer
      - .actual_access:  read_only
        .address_space:  global
        .offset:         128
        .size:           8
        .value_kind:     global_buffer
      - .actual_access:  write_only
        .address_space:  global
        .offset:         136
        .size:           8
        .value_kind:     global_buffer
      - .offset:         144
        .size:           4
        .value_kind:     by_value
      - .offset:         148
        .size:           4
        .value_kind:     by_value
      - .offset:         152
        .size:           4
        .value_kind:     by_value
      - .offset:         156
        .size:           4
        .value_kind:     by_value
      - .offset:         160
        .size:           1
        .value_kind:     by_value
      - .offset:         161
        .size:           1
        .value_kind:     by_value
      - .offset:         162
        .size:           1
        .value_kind:     by_value
    .group_segment_fixed_size: 8192
    .kernarg_segment_align: 8
    .kernarg_segment_size: 164
    .language:       OpenCL C
    .language_version:
      - 2
      - 0
    .max_flat_workgroup_size: 256
    .name:           _ZN9rocsparseL38csrgemm_numeric_fill_wf_per_row_kernelILj256ELj16ELj32ELj137Ell21rocsparse_complex_numIfEEEvT4_S3_PKS3_S5_NS_24const_host_device_scalarIT5_EEPKT3_S5_PKS7_SB_S5_SD_S8_SB_S5_SD_SB_S5_PS7_21rocsparse_index_base_SF_SF_SF_bbb
    .private_segment_fixed_size: 0
    .sgpr_count:     47
    .sgpr_spill_count: 0
    .symbol:         _ZN9rocsparseL38csrgemm_numeric_fill_wf_per_row_kernelILj256ELj16ELj32ELj137Ell21rocsparse_complex_numIfEEEvT4_S3_PKS3_S5_NS_24const_host_device_scalarIT5_EEPKT3_S5_PKS7_SB_S5_SD_S8_SB_S5_SD_SB_S5_PS7_21rocsparse_index_base_SF_SF_SF_bbb.kd
    .uniform_work_group_size: 1
    .uses_dynamic_stack: false
    .vgpr_count:     28
    .vgpr_spill_count: 0
    .wavefront_size: 32
  - .args:
      - .offset:         0
        .size:           8
        .value_kind:     by_value
      - .actual_access:  read_only
        .address_space:  global
        .offset:         8
        .size:           8
        .value_kind:     global_buffer
      - .actual_access:  read_only
        .address_space:  global
        .offset:         16
        .size:           8
        .value_kind:     global_buffer
      - .offset:         24
        .size:           8
        .value_kind:     by_value
      - .actual_access:  read_only
        .address_space:  global
        .offset:         32
        .size:           8
        .value_kind:     global_buffer
      - .actual_access:  read_only
        .address_space:  global
        .offset:         40
        .size:           8
        .value_kind:     global_buffer
      - .actual_access:  read_only
        .address_space:  global
        .offset:         48
        .size:           8
        .value_kind:     global_buffer
      - .actual_access:  read_only
        .address_space:  global
        .offset:         56
        .size:           8
        .value_kind:     global_buffer
      - .actual_access:  read_only
        .address_space:  global
        .offset:         64
        .size:           8
        .value_kind:     global_buffer
      - .actual_access:  read_only
        .address_space:  global
        .offset:         72
        .size:           8
        .value_kind:     global_buffer
      - .offset:         80
        .size:           8
        .value_kind:     by_value
      - .actual_access:  read_only
        .address_space:  global
        .offset:         88
        .size:           8
        .value_kind:     global_buffer
      - .actual_access:  read_only
        .address_space:  global
        .offset:         96
        .size:           8
        .value_kind:     global_buffer
      - .actual_access:  read_only
        .address_space:  global
        .offset:         104
        .size:           8
        .value_kind:     global_buffer
      - .actual_access:  read_only
        .address_space:  global
        .offset:         112
        .size:           8
        .value_kind:     global_buffer
      - .actual_access:  read_only
        .address_space:  global
        .offset:         120
        .size:           8
        .value_kind:     global_buffer
      - .actual_access:  write_only
        .address_space:  global
        .offset:         128
        .size:           8
        .value_kind:     global_buffer
      - .offset:         136
        .size:           4
        .value_kind:     by_value
      - .offset:         140
        .size:           4
        .value_kind:     by_value
      - .offset:         144
        .size:           4
        .value_kind:     by_value
      - .offset:         148
        .size:           4
        .value_kind:     by_value
      - .offset:         152
        .size:           1
        .value_kind:     by_value
      - .offset:         153
        .size:           1
        .value_kind:     by_value
      - .offset:         154
        .size:           1
        .value_kind:     by_value
    .group_segment_fixed_size: 0
    .kernarg_segment_align: 8
    .kernarg_segment_size: 156
    .language:       OpenCL C
    .language_version:
      - 2
      - 0
    .max_flat_workgroup_size: 128
    .name:           _ZN9rocsparseL41csrgemm_numeric_fill_block_per_row_kernelILj128ELj16ELj256ELj137ELj32Ell21rocsparse_complex_numIfEEEvT5_PKS3_S5_NS_24const_host_device_scalarIT6_EEPKT4_S5_PKS7_SB_S5_SD_S8_SB_S5_SD_SB_S5_PS7_21rocsparse_index_base_SF_SF_SF_bbb
    .private_segment_fixed_size: 0
    .sgpr_count:     52
    .sgpr_spill_count: 0
    .symbol:         _ZN9rocsparseL41csrgemm_numeric_fill_block_per_row_kernelILj128ELj16ELj256ELj137ELj32Ell21rocsparse_complex_numIfEEEvT5_PKS3_S5_NS_24const_host_device_scalarIT6_EEPKT4_S5_PKS7_SB_S5_SD_S8_SB_S5_SD_SB_S5_PS7_21rocsparse_index_base_SF_SF_SF_bbb.kd
    .uniform_work_group_size: 1
    .uses_dynamic_stack: false
    .vgpr_count:     24
    .vgpr_spill_count: 0
    .wavefront_size: 32
  - .args:
      - .offset:         0
        .size:           8
        .value_kind:     by_value
      - .actual_access:  read_only
        .address_space:  global
        .offset:         8
        .size:           8
        .value_kind:     global_buffer
      - .actual_access:  read_only
        .address_space:  global
        .offset:         16
        .size:           8
        .value_kind:     global_buffer
      - .offset:         24
        .size:           8
        .value_kind:     by_value
      - .actual_access:  read_only
        .address_space:  global
        .offset:         32
        .size:           8
        .value_kind:     global_buffer
      - .actual_access:  read_only
        .address_space:  global
        .offset:         40
        .size:           8
        .value_kind:     global_buffer
      - .actual_access:  read_only
        .address_space:  global
        .offset:         48
        .size:           8
        .value_kind:     global_buffer
      - .actual_access:  read_only
        .address_space:  global
        .offset:         56
        .size:           8
        .value_kind:     global_buffer
      - .actual_access:  read_only
        .address_space:  global
        .offset:         64
        .size:           8
        .value_kind:     global_buffer
      - .actual_access:  read_only
        .address_space:  global
        .offset:         72
        .size:           8
        .value_kind:     global_buffer
      - .offset:         80
        .size:           8
        .value_kind:     by_value
      - .actual_access:  read_only
        .address_space:  global
        .offset:         88
        .size:           8
        .value_kind:     global_buffer
      - .actual_access:  read_only
        .address_space:  global
        .offset:         96
        .size:           8
        .value_kind:     global_buffer
      - .actual_access:  read_only
        .address_space:  global
        .offset:         104
        .size:           8
        .value_kind:     global_buffer
      - .actual_access:  read_only
        .address_space:  global
        .offset:         112
        .size:           8
        .value_kind:     global_buffer
      - .actual_access:  read_only
        .address_space:  global
        .offset:         120
        .size:           8
        .value_kind:     global_buffer
      - .actual_access:  write_only
        .address_space:  global
        .offset:         128
        .size:           8
        .value_kind:     global_buffer
      - .offset:         136
        .size:           4
        .value_kind:     by_value
      - .offset:         140
        .size:           4
        .value_kind:     by_value
      - .offset:         144
        .size:           4
        .value_kind:     by_value
      - .offset:         148
        .size:           4
        .value_kind:     by_value
      - .offset:         152
        .size:           1
        .value_kind:     by_value
      - .offset:         153
        .size:           1
        .value_kind:     by_value
      - .offset:         154
        .size:           1
        .value_kind:     by_value
    .group_segment_fixed_size: 0
    .kernarg_segment_align: 8
    .kernarg_segment_size: 156
    .language:       OpenCL C
    .language_version:
      - 2
      - 0
    .max_flat_workgroup_size: 128
    .name:           _ZN9rocsparseL41csrgemm_numeric_fill_block_per_row_kernelILj128ELj16ELj256ELj137ELj64Ell21rocsparse_complex_numIfEEEvT5_PKS3_S5_NS_24const_host_device_scalarIT6_EEPKT4_S5_PKS7_SB_S5_SD_S8_SB_S5_SD_SB_S5_PS7_21rocsparse_index_base_SF_SF_SF_bbb
    .private_segment_fixed_size: 0
    .sgpr_count:     52
    .sgpr_spill_count: 0
    .symbol:         _ZN9rocsparseL41csrgemm_numeric_fill_block_per_row_kernelILj128ELj16ELj256ELj137ELj64Ell21rocsparse_complex_numIfEEEvT5_PKS3_S5_NS_24const_host_device_scalarIT6_EEPKT4_S5_PKS7_SB_S5_SD_S8_SB_S5_SD_SB_S5_PS7_21rocsparse_index_base_SF_SF_SF_bbb.kd
    .uniform_work_group_size: 1
    .uses_dynamic_stack: false
    .vgpr_count:     24
    .vgpr_spill_count: 0
    .wavefront_size: 32
  - .args:
      - .offset:         0
        .size:           8
        .value_kind:     by_value
      - .actual_access:  read_only
        .address_space:  global
        .offset:         8
        .size:           8
        .value_kind:     global_buffer
      - .actual_access:  read_only
        .address_space:  global
        .offset:         16
        .size:           8
        .value_kind:     global_buffer
      - .offset:         24
        .size:           8
        .value_kind:     by_value
      - .actual_access:  read_only
        .address_space:  global
        .offset:         32
        .size:           8
        .value_kind:     global_buffer
      - .actual_access:  read_only
        .address_space:  global
        .offset:         40
        .size:           8
        .value_kind:     global_buffer
      - .actual_access:  read_only
        .address_space:  global
        .offset:         48
        .size:           8
        .value_kind:     global_buffer
      - .actual_access:  read_only
        .address_space:  global
        .offset:         56
        .size:           8
        .value_kind:     global_buffer
      - .actual_access:  read_only
        .address_space:  global
        .offset:         64
        .size:           8
        .value_kind:     global_buffer
      - .actual_access:  read_only
        .address_space:  global
        .offset:         72
        .size:           8
        .value_kind:     global_buffer
      - .offset:         80
        .size:           8
        .value_kind:     by_value
      - .actual_access:  read_only
        .address_space:  global
        .offset:         88
        .size:           8
        .value_kind:     global_buffer
      - .actual_access:  read_only
        .address_space:  global
        .offset:         96
        .size:           8
        .value_kind:     global_buffer
      - .actual_access:  read_only
        .address_space:  global
        .offset:         104
        .size:           8
        .value_kind:     global_buffer
      - .actual_access:  read_only
        .address_space:  global
        .offset:         112
        .size:           8
        .value_kind:     global_buffer
      - .actual_access:  read_only
        .address_space:  global
        .offset:         120
        .size:           8
        .value_kind:     global_buffer
      - .actual_access:  write_only
        .address_space:  global
        .offset:         128
        .size:           8
        .value_kind:     global_buffer
      - .offset:         136
        .size:           4
        .value_kind:     by_value
      - .offset:         140
        .size:           4
        .value_kind:     by_value
      - .offset:         144
        .size:           4
        .value_kind:     by_value
      - .offset:         148
        .size:           4
        .value_kind:     by_value
      - .offset:         152
        .size:           1
        .value_kind:     by_value
      - .offset:         153
        .size:           1
        .value_kind:     by_value
      - .offset:         154
        .size:           1
        .value_kind:     by_value
    .group_segment_fixed_size: 0
    .kernarg_segment_align: 8
    .kernarg_segment_size: 156
    .language:       OpenCL C
    .language_version:
      - 2
      - 0
    .max_flat_workgroup_size: 256
    .name:           _ZN9rocsparseL41csrgemm_numeric_fill_block_per_row_kernelILj256ELj32ELj512ELj137ELj32Ell21rocsparse_complex_numIfEEEvT5_PKS3_S5_NS_24const_host_device_scalarIT6_EEPKT4_S5_PKS7_SB_S5_SD_S8_SB_S5_SD_SB_S5_PS7_21rocsparse_index_base_SF_SF_SF_bbb
    .private_segment_fixed_size: 0
    .sgpr_count:     52
    .sgpr_spill_count: 0
    .symbol:         _ZN9rocsparseL41csrgemm_numeric_fill_block_per_row_kernelILj256ELj32ELj512ELj137ELj32Ell21rocsparse_complex_numIfEEEvT5_PKS3_S5_NS_24const_host_device_scalarIT6_EEPKT4_S5_PKS7_SB_S5_SD_S8_SB_S5_SD_SB_S5_PS7_21rocsparse_index_base_SF_SF_SF_bbb.kd
    .uniform_work_group_size: 1
    .uses_dynamic_stack: false
    .vgpr_count:     25
    .vgpr_spill_count: 0
    .wavefront_size: 32
  - .args:
      - .offset:         0
        .size:           8
        .value_kind:     by_value
      - .actual_access:  read_only
        .address_space:  global
        .offset:         8
        .size:           8
        .value_kind:     global_buffer
      - .actual_access:  read_only
        .address_space:  global
        .offset:         16
        .size:           8
        .value_kind:     global_buffer
      - .offset:         24
        .size:           8
        .value_kind:     by_value
      - .actual_access:  read_only
        .address_space:  global
        .offset:         32
        .size:           8
        .value_kind:     global_buffer
      - .actual_access:  read_only
        .address_space:  global
        .offset:         40
        .size:           8
        .value_kind:     global_buffer
      - .actual_access:  read_only
        .address_space:  global
        .offset:         48
        .size:           8
        .value_kind:     global_buffer
      - .actual_access:  read_only
        .address_space:  global
        .offset:         56
        .size:           8
        .value_kind:     global_buffer
      - .actual_access:  read_only
        .address_space:  global
        .offset:         64
        .size:           8
        .value_kind:     global_buffer
      - .actual_access:  read_only
        .address_space:  global
        .offset:         72
        .size:           8
        .value_kind:     global_buffer
      - .offset:         80
        .size:           8
        .value_kind:     by_value
      - .actual_access:  read_only
        .address_space:  global
        .offset:         88
        .size:           8
        .value_kind:     global_buffer
      - .actual_access:  read_only
        .address_space:  global
        .offset:         96
        .size:           8
        .value_kind:     global_buffer
      - .actual_access:  read_only
        .address_space:  global
        .offset:         104
        .size:           8
        .value_kind:     global_buffer
      - .actual_access:  read_only
        .address_space:  global
        .offset:         112
        .size:           8
        .value_kind:     global_buffer
      - .actual_access:  read_only
        .address_space:  global
        .offset:         120
        .size:           8
        .value_kind:     global_buffer
      - .actual_access:  write_only
        .address_space:  global
        .offset:         128
        .size:           8
        .value_kind:     global_buffer
      - .offset:         136
        .size:           4
        .value_kind:     by_value
      - .offset:         140
        .size:           4
        .value_kind:     by_value
      - .offset:         144
        .size:           4
        .value_kind:     by_value
      - .offset:         148
        .size:           4
        .value_kind:     by_value
      - .offset:         152
        .size:           1
        .value_kind:     by_value
      - .offset:         153
        .size:           1
        .value_kind:     by_value
      - .offset:         154
        .size:           1
        .value_kind:     by_value
    .group_segment_fixed_size: 0
    .kernarg_segment_align: 8
    .kernarg_segment_size: 156
    .language:       OpenCL C
    .language_version:
      - 2
      - 0
    .max_flat_workgroup_size: 256
    .name:           _ZN9rocsparseL41csrgemm_numeric_fill_block_per_row_kernelILj256ELj32ELj512ELj137ELj64Ell21rocsparse_complex_numIfEEEvT5_PKS3_S5_NS_24const_host_device_scalarIT6_EEPKT4_S5_PKS7_SB_S5_SD_S8_SB_S5_SD_SB_S5_PS7_21rocsparse_index_base_SF_SF_SF_bbb
    .private_segment_fixed_size: 0
    .sgpr_count:     52
    .sgpr_spill_count: 0
    .symbol:         _ZN9rocsparseL41csrgemm_numeric_fill_block_per_row_kernelILj256ELj32ELj512ELj137ELj64Ell21rocsparse_complex_numIfEEEvT5_PKS3_S5_NS_24const_host_device_scalarIT6_EEPKT4_S5_PKS7_SB_S5_SD_S8_SB_S5_SD_SB_S5_PS7_21rocsparse_index_base_SF_SF_SF_bbb.kd
    .uniform_work_group_size: 1
    .uses_dynamic_stack: false
    .vgpr_count:     24
    .vgpr_spill_count: 0
    .wavefront_size: 32
  - .args:
      - .offset:         0
        .size:           8
        .value_kind:     by_value
      - .actual_access:  read_only
        .address_space:  global
        .offset:         8
        .size:           8
        .value_kind:     global_buffer
      - .actual_access:  read_only
        .address_space:  global
        .offset:         16
        .size:           8
        .value_kind:     global_buffer
      - .offset:         24
        .size:           8
        .value_kind:     by_value
      - .actual_access:  read_only
        .address_space:  global
        .offset:         32
        .size:           8
        .value_kind:     global_buffer
      - .actual_access:  read_only
        .address_space:  global
        .offset:         40
        .size:           8
        .value_kind:     global_buffer
      - .actual_access:  read_only
        .address_space:  global
        .offset:         48
        .size:           8
        .value_kind:     global_buffer
      - .actual_access:  read_only
        .address_space:  global
        .offset:         56
        .size:           8
        .value_kind:     global_buffer
      - .actual_access:  read_only
        .address_space:  global
        .offset:         64
        .size:           8
        .value_kind:     global_buffer
      - .actual_access:  read_only
        .address_space:  global
        .offset:         72
        .size:           8
        .value_kind:     global_buffer
      - .offset:         80
        .size:           8
        .value_kind:     by_value
      - .actual_access:  read_only
        .address_space:  global
        .offset:         88
        .size:           8
        .value_kind:     global_buffer
      - .actual_access:  read_only
        .address_space:  global
        .offset:         96
        .size:           8
        .value_kind:     global_buffer
      - .actual_access:  read_only
        .address_space:  global
        .offset:         104
        .size:           8
        .value_kind:     global_buffer
      - .actual_access:  read_only
        .address_space:  global
        .offset:         112
        .size:           8
        .value_kind:     global_buffer
      - .actual_access:  read_only
        .address_space:  global
        .offset:         120
        .size:           8
        .value_kind:     global_buffer
      - .actual_access:  write_only
        .address_space:  global
        .offset:         128
        .size:           8
        .value_kind:     global_buffer
      - .offset:         136
        .size:           4
        .value_kind:     by_value
      - .offset:         140
        .size:           4
        .value_kind:     by_value
      - .offset:         144
        .size:           4
        .value_kind:     by_value
      - .offset:         148
        .size:           4
        .value_kind:     by_value
      - .offset:         152
        .size:           1
        .value_kind:     by_value
      - .offset:         153
        .size:           1
        .value_kind:     by_value
      - .offset:         154
        .size:           1
        .value_kind:     by_value
    .group_segment_fixed_size: 0
    .kernarg_segment_align: 8
    .kernarg_segment_size: 156
    .language:       OpenCL C
    .language_version:
      - 2
      - 0
    .max_flat_workgroup_size: 512
    .name:           _ZN9rocsparseL41csrgemm_numeric_fill_block_per_row_kernelILj512ELj32ELj1024ELj137ELj32Ell21rocsparse_complex_numIfEEEvT5_PKS3_S5_NS_24const_host_device_scalarIT6_EEPKT4_S5_PKS7_SB_S5_SD_S8_SB_S5_SD_SB_S5_PS7_21rocsparse_index_base_SF_SF_SF_bbb
    .private_segment_fixed_size: 0
    .sgpr_count:     51
    .sgpr_spill_count: 0
    .symbol:         _ZN9rocsparseL41csrgemm_numeric_fill_block_per_row_kernelILj512ELj32ELj1024ELj137ELj32Ell21rocsparse_complex_numIfEEEvT5_PKS3_S5_NS_24const_host_device_scalarIT6_EEPKT4_S5_PKS7_SB_S5_SD_S8_SB_S5_SD_SB_S5_PS7_21rocsparse_index_base_SF_SF_SF_bbb.kd
    .uniform_work_group_size: 1
    .uses_dynamic_stack: false
    .vgpr_count:     25
    .vgpr_spill_count: 0
    .wavefront_size: 32
  - .args:
      - .offset:         0
        .size:           8
        .value_kind:     by_value
      - .actual_access:  read_only
        .address_space:  global
        .offset:         8
        .size:           8
        .value_kind:     global_buffer
      - .actual_access:  read_only
        .address_space:  global
        .offset:         16
        .size:           8
        .value_kind:     global_buffer
      - .offset:         24
        .size:           8
        .value_kind:     by_value
      - .actual_access:  read_only
        .address_space:  global
        .offset:         32
        .size:           8
        .value_kind:     global_buffer
      - .actual_access:  read_only
        .address_space:  global
        .offset:         40
        .size:           8
        .value_kind:     global_buffer
      - .actual_access:  read_only
        .address_space:  global
        .offset:         48
        .size:           8
        .value_kind:     global_buffer
      - .actual_access:  read_only
        .address_space:  global
        .offset:         56
        .size:           8
        .value_kind:     global_buffer
      - .actual_access:  read_only
        .address_space:  global
        .offset:         64
        .size:           8
        .value_kind:     global_buffer
      - .actual_access:  read_only
        .address_space:  global
        .offset:         72
        .size:           8
        .value_kind:     global_buffer
      - .offset:         80
        .size:           8
        .value_kind:     by_value
      - .actual_access:  read_only
        .address_space:  global
        .offset:         88
        .size:           8
        .value_kind:     global_buffer
      - .actual_access:  read_only
        .address_space:  global
        .offset:         96
        .size:           8
        .value_kind:     global_buffer
      - .actual_access:  read_only
        .address_space:  global
        .offset:         104
        .size:           8
        .value_kind:     global_buffer
      - .actual_access:  read_only
        .address_space:  global
        .offset:         112
        .size:           8
        .value_kind:     global_buffer
      - .actual_access:  read_only
        .address_space:  global
        .offset:         120
        .size:           8
        .value_kind:     global_buffer
      - .actual_access:  write_only
        .address_space:  global
        .offset:         128
        .size:           8
        .value_kind:     global_buffer
      - .offset:         136
        .size:           4
        .value_kind:     by_value
      - .offset:         140
        .size:           4
        .value_kind:     by_value
      - .offset:         144
        .size:           4
        .value_kind:     by_value
      - .offset:         148
        .size:           4
        .value_kind:     by_value
      - .offset:         152
        .size:           1
        .value_kind:     by_value
      - .offset:         153
        .size:           1
        .value_kind:     by_value
      - .offset:         154
        .size:           1
        .value_kind:     by_value
    .group_segment_fixed_size: 0
    .kernarg_segment_align: 8
    .kernarg_segment_size: 156
    .language:       OpenCL C
    .language_version:
      - 2
      - 0
    .max_flat_workgroup_size: 512
    .name:           _ZN9rocsparseL41csrgemm_numeric_fill_block_per_row_kernelILj512ELj32ELj1024ELj137ELj64Ell21rocsparse_complex_numIfEEEvT5_PKS3_S5_NS_24const_host_device_scalarIT6_EEPKT4_S5_PKS7_SB_S5_SD_S8_SB_S5_SD_SB_S5_PS7_21rocsparse_index_base_SF_SF_SF_bbb
    .private_segment_fixed_size: 0
    .sgpr_count:     51
    .sgpr_spill_count: 0
    .symbol:         _ZN9rocsparseL41csrgemm_numeric_fill_block_per_row_kernelILj512ELj32ELj1024ELj137ELj64Ell21rocsparse_complex_numIfEEEvT5_PKS3_S5_NS_24const_host_device_scalarIT6_EEPKT4_S5_PKS7_SB_S5_SD_S8_SB_S5_SD_SB_S5_PS7_21rocsparse_index_base_SF_SF_SF_bbb.kd
    .uniform_work_group_size: 1
    .uses_dynamic_stack: false
    .vgpr_count:     24
    .vgpr_spill_count: 0
    .wavefront_size: 32
  - .args:
      - .offset:         0
        .size:           8
        .value_kind:     by_value
      - .actual_access:  read_only
        .address_space:  global
        .offset:         8
        .size:           8
        .value_kind:     global_buffer
      - .actual_access:  read_only
        .address_space:  global
        .offset:         16
        .size:           8
        .value_kind:     global_buffer
      - .offset:         24
        .size:           8
        .value_kind:     by_value
      - .actual_access:  read_only
        .address_space:  global
        .offset:         32
        .size:           8
        .value_kind:     global_buffer
      - .actual_access:  read_only
        .address_space:  global
        .offset:         40
        .size:           8
        .value_kind:     global_buffer
      - .actual_access:  read_only
        .address_space:  global
        .offset:         48
        .size:           8
        .value_kind:     global_buffer
      - .actual_access:  read_only
        .address_space:  global
        .offset:         56
        .size:           8
        .value_kind:     global_buffer
      - .actual_access:  read_only
        .address_space:  global
        .offset:         64
        .size:           8
        .value_kind:     global_buffer
      - .actual_access:  read_only
        .address_space:  global
        .offset:         72
        .size:           8
        .value_kind:     global_buffer
      - .offset:         80
        .size:           8
        .value_kind:     by_value
      - .actual_access:  read_only
        .address_space:  global
        .offset:         88
        .size:           8
        .value_kind:     global_buffer
      - .actual_access:  read_only
        .address_space:  global
        .offset:         96
        .size:           8
        .value_kind:     global_buffer
      - .actual_access:  read_only
        .address_space:  global
        .offset:         104
        .size:           8
        .value_kind:     global_buffer
      - .actual_access:  read_only
        .address_space:  global
        .offset:         112
        .size:           8
        .value_kind:     global_buffer
      - .actual_access:  read_only
        .address_space:  global
        .offset:         120
        .size:           8
        .value_kind:     global_buffer
      - .actual_access:  write_only
        .address_space:  global
        .offset:         128
        .size:           8
        .value_kind:     global_buffer
      - .offset:         136
        .size:           4
        .value_kind:     by_value
      - .offset:         140
        .size:           4
        .value_kind:     by_value
      - .offset:         144
        .size:           4
        .value_kind:     by_value
      - .offset:         148
        .size:           4
        .value_kind:     by_value
      - .offset:         152
        .size:           1
        .value_kind:     by_value
      - .offset:         153
        .size:           1
        .value_kind:     by_value
      - .offset:         154
        .size:           1
        .value_kind:     by_value
    .group_segment_fixed_size: 0
    .kernarg_segment_align: 8
    .kernarg_segment_size: 156
    .language:       OpenCL C
    .language_version:
      - 2
      - 0
    .max_flat_workgroup_size: 1024
    .name:           _ZN9rocsparseL41csrgemm_numeric_fill_block_per_row_kernelILj1024ELj32ELj2048ELj137ELj32Ell21rocsparse_complex_numIfEEEvT5_PKS3_S5_NS_24const_host_device_scalarIT6_EEPKT4_S5_PKS7_SB_S5_SD_S8_SB_S5_SD_SB_S5_PS7_21rocsparse_index_base_SF_SF_SF_bbb
    .private_segment_fixed_size: 0
    .sgpr_count:     54
    .sgpr_spill_count: 0
    .symbol:         _ZN9rocsparseL41csrgemm_numeric_fill_block_per_row_kernelILj1024ELj32ELj2048ELj137ELj32Ell21rocsparse_complex_numIfEEEvT5_PKS3_S5_NS_24const_host_device_scalarIT6_EEPKT4_S5_PKS7_SB_S5_SD_S8_SB_S5_SD_SB_S5_PS7_21rocsparse_index_base_SF_SF_SF_bbb.kd
    .uniform_work_group_size: 1
    .uses_dynamic_stack: false
    .vgpr_count:     25
    .vgpr_spill_count: 0
    .wavefront_size: 32
  - .args:
      - .offset:         0
        .size:           8
        .value_kind:     by_value
      - .actual_access:  read_only
        .address_space:  global
        .offset:         8
        .size:           8
        .value_kind:     global_buffer
      - .actual_access:  read_only
        .address_space:  global
        .offset:         16
        .size:           8
        .value_kind:     global_buffer
      - .offset:         24
        .size:           8
        .value_kind:     by_value
      - .actual_access:  read_only
        .address_space:  global
        .offset:         32
        .size:           8
        .value_kind:     global_buffer
      - .actual_access:  read_only
        .address_space:  global
        .offset:         40
        .size:           8
        .value_kind:     global_buffer
      - .actual_access:  read_only
        .address_space:  global
        .offset:         48
        .size:           8
        .value_kind:     global_buffer
      - .actual_access:  read_only
        .address_space:  global
        .offset:         56
        .size:           8
        .value_kind:     global_buffer
      - .actual_access:  read_only
        .address_space:  global
        .offset:         64
        .size:           8
        .value_kind:     global_buffer
      - .actual_access:  read_only
        .address_space:  global
        .offset:         72
        .size:           8
        .value_kind:     global_buffer
      - .offset:         80
        .size:           8
        .value_kind:     by_value
      - .actual_access:  read_only
        .address_space:  global
        .offset:         88
        .size:           8
        .value_kind:     global_buffer
      - .actual_access:  read_only
        .address_space:  global
        .offset:         96
        .size:           8
        .value_kind:     global_buffer
      - .actual_access:  read_only
        .address_space:  global
        .offset:         104
        .size:           8
        .value_kind:     global_buffer
      - .actual_access:  read_only
        .address_space:  global
        .offset:         112
        .size:           8
        .value_kind:     global_buffer
      - .actual_access:  read_only
        .address_space:  global
        .offset:         120
        .size:           8
        .value_kind:     global_buffer
      - .actual_access:  write_only
        .address_space:  global
        .offset:         128
        .size:           8
        .value_kind:     global_buffer
      - .offset:         136
        .size:           4
        .value_kind:     by_value
      - .offset:         140
        .size:           4
        .value_kind:     by_value
      - .offset:         144
        .size:           4
        .value_kind:     by_value
      - .offset:         148
        .size:           4
        .value_kind:     by_value
      - .offset:         152
        .size:           1
        .value_kind:     by_value
      - .offset:         153
        .size:           1
        .value_kind:     by_value
      - .offset:         154
        .size:           1
        .value_kind:     by_value
    .group_segment_fixed_size: 0
    .kernarg_segment_align: 8
    .kernarg_segment_size: 156
    .language:       OpenCL C
    .language_version:
      - 2
      - 0
    .max_flat_workgroup_size: 1024
    .name:           _ZN9rocsparseL41csrgemm_numeric_fill_block_per_row_kernelILj1024ELj32ELj2048ELj137ELj64Ell21rocsparse_complex_numIfEEEvT5_PKS3_S5_NS_24const_host_device_scalarIT6_EEPKT4_S5_PKS7_SB_S5_SD_S8_SB_S5_SD_SB_S5_PS7_21rocsparse_index_base_SF_SF_SF_bbb
    .private_segment_fixed_size: 0
    .sgpr_count:     51
    .sgpr_spill_count: 0
    .symbol:         _ZN9rocsparseL41csrgemm_numeric_fill_block_per_row_kernelILj1024ELj32ELj2048ELj137ELj64Ell21rocsparse_complex_numIfEEEvT5_PKS3_S5_NS_24const_host_device_scalarIT6_EEPKT4_S5_PKS7_SB_S5_SD_S8_SB_S5_SD_SB_S5_PS7_21rocsparse_index_base_SF_SF_SF_bbb.kd
    .uniform_work_group_size: 1
    .uses_dynamic_stack: false
    .vgpr_count:     24
    .vgpr_spill_count: 0
    .wavefront_size: 32
  - .args:
      - .offset:         0
        .size:           8
        .value_kind:     by_value
      - .actual_access:  read_only
        .address_space:  global
        .offset:         8
        .size:           8
        .value_kind:     global_buffer
      - .actual_access:  read_only
        .address_space:  global
        .offset:         16
        .size:           8
        .value_kind:     global_buffer
      - .offset:         24
        .size:           8
        .value_kind:     by_value
      - .actual_access:  read_only
        .address_space:  global
        .offset:         32
        .size:           8
        .value_kind:     global_buffer
      - .actual_access:  read_only
        .address_space:  global
        .offset:         40
        .size:           8
        .value_kind:     global_buffer
      - .actual_access:  read_only
        .address_space:  global
        .offset:         48
        .size:           8
        .value_kind:     global_buffer
      - .actual_access:  read_only
        .address_space:  global
        .offset:         56
        .size:           8
        .value_kind:     global_buffer
      - .actual_access:  read_only
        .address_space:  global
        .offset:         64
        .size:           8
        .value_kind:     global_buffer
      - .actual_access:  read_only
        .address_space:  global
        .offset:         72
        .size:           8
        .value_kind:     global_buffer
      - .offset:         80
        .size:           8
        .value_kind:     by_value
      - .actual_access:  read_only
        .address_space:  global
        .offset:         88
        .size:           8
        .value_kind:     global_buffer
      - .actual_access:  read_only
        .address_space:  global
        .offset:         96
        .size:           8
        .value_kind:     global_buffer
      - .actual_access:  read_only
        .address_space:  global
        .offset:         104
        .size:           8
        .value_kind:     global_buffer
      - .actual_access:  read_only
        .address_space:  global
        .offset:         112
        .size:           8
        .value_kind:     global_buffer
      - .actual_access:  read_only
        .address_space:  global
        .offset:         120
        .size:           8
        .value_kind:     global_buffer
      - .actual_access:  write_only
        .address_space:  global
        .offset:         128
        .size:           8
        .value_kind:     global_buffer
      - .offset:         136
        .size:           4
        .value_kind:     by_value
      - .offset:         140
        .size:           4
        .value_kind:     by_value
      - .offset:         144
        .size:           4
        .value_kind:     by_value
      - .offset:         148
        .size:           4
        .value_kind:     by_value
      - .offset:         152
        .size:           1
        .value_kind:     by_value
      - .offset:         153
        .size:           1
        .value_kind:     by_value
      - .offset:         154
        .size:           1
        .value_kind:     by_value
    .group_segment_fixed_size: 0
    .kernarg_segment_align: 8
    .kernarg_segment_size: 156
    .language:       OpenCL C
    .language_version:
      - 2
      - 0
    .max_flat_workgroup_size: 1024
    .name:           _ZN9rocsparseL41csrgemm_numeric_fill_block_per_row_kernelILj1024ELj64ELj4096ELj137ELj32Ell21rocsparse_complex_numIfEEEvT5_PKS3_S5_NS_24const_host_device_scalarIT6_EEPKT4_S5_PKS7_SB_S5_SD_S8_SB_S5_SD_SB_S5_PS7_21rocsparse_index_base_SF_SF_SF_bbb
    .private_segment_fixed_size: 0
    .sgpr_count:     78
    .sgpr_spill_count: 0
    .symbol:         _ZN9rocsparseL41csrgemm_numeric_fill_block_per_row_kernelILj1024ELj64ELj4096ELj137ELj32Ell21rocsparse_complex_numIfEEEvT5_PKS3_S5_NS_24const_host_device_scalarIT6_EEPKT4_S5_PKS7_SB_S5_SD_S8_SB_S5_SD_SB_S5_PS7_21rocsparse_index_base_SF_SF_SF_bbb.kd
    .uniform_work_group_size: 1
    .uses_dynamic_stack: false
    .vgpr_count:     24
    .vgpr_spill_count: 0
    .wavefront_size: 32
  - .args:
      - .offset:         0
        .size:           8
        .value_kind:     by_value
      - .actual_access:  read_only
        .address_space:  global
        .offset:         8
        .size:           8
        .value_kind:     global_buffer
      - .actual_access:  read_only
        .address_space:  global
        .offset:         16
        .size:           8
        .value_kind:     global_buffer
      - .offset:         24
        .size:           8
        .value_kind:     by_value
      - .actual_access:  read_only
        .address_space:  global
        .offset:         32
        .size:           8
        .value_kind:     global_buffer
      - .actual_access:  read_only
        .address_space:  global
        .offset:         40
        .size:           8
        .value_kind:     global_buffer
      - .actual_access:  read_only
        .address_space:  global
        .offset:         48
        .size:           8
        .value_kind:     global_buffer
      - .actual_access:  read_only
        .address_space:  global
        .offset:         56
        .size:           8
        .value_kind:     global_buffer
      - .actual_access:  read_only
        .address_space:  global
        .offset:         64
        .size:           8
        .value_kind:     global_buffer
      - .actual_access:  read_only
        .address_space:  global
        .offset:         72
        .size:           8
        .value_kind:     global_buffer
      - .offset:         80
        .size:           8
        .value_kind:     by_value
      - .actual_access:  read_only
        .address_space:  global
        .offset:         88
        .size:           8
        .value_kind:     global_buffer
      - .actual_access:  read_only
        .address_space:  global
        .offset:         96
        .size:           8
        .value_kind:     global_buffer
      - .actual_access:  read_only
        .address_space:  global
        .offset:         104
        .size:           8
        .value_kind:     global_buffer
      - .actual_access:  read_only
        .address_space:  global
        .offset:         112
        .size:           8
        .value_kind:     global_buffer
      - .actual_access:  read_only
        .address_space:  global
        .offset:         120
        .size:           8
        .value_kind:     global_buffer
      - .actual_access:  write_only
        .address_space:  global
        .offset:         128
        .size:           8
        .value_kind:     global_buffer
      - .offset:         136
        .size:           4
        .value_kind:     by_value
      - .offset:         140
        .size:           4
        .value_kind:     by_value
      - .offset:         144
        .size:           4
        .value_kind:     by_value
      - .offset:         148
        .size:           4
        .value_kind:     by_value
      - .offset:         152
        .size:           1
        .value_kind:     by_value
      - .offset:         153
        .size:           1
        .value_kind:     by_value
      - .offset:         154
        .size:           1
        .value_kind:     by_value
    .group_segment_fixed_size: 0
    .kernarg_segment_align: 8
    .kernarg_segment_size: 156
    .language:       OpenCL C
    .language_version:
      - 2
      - 0
    .max_flat_workgroup_size: 1024
    .name:           _ZN9rocsparseL41csrgemm_numeric_fill_block_per_row_kernelILj1024ELj64ELj4096ELj137ELj64Ell21rocsparse_complex_numIfEEEvT5_PKS3_S5_NS_24const_host_device_scalarIT6_EEPKT4_S5_PKS7_SB_S5_SD_S8_SB_S5_SD_SB_S5_PS7_21rocsparse_index_base_SF_SF_SF_bbb
    .private_segment_fixed_size: 0
    .sgpr_count:     51
    .sgpr_spill_count: 0
    .symbol:         _ZN9rocsparseL41csrgemm_numeric_fill_block_per_row_kernelILj1024ELj64ELj4096ELj137ELj64Ell21rocsparse_complex_numIfEEEvT5_PKS3_S5_NS_24const_host_device_scalarIT6_EEPKT4_S5_PKS7_SB_S5_SD_S8_SB_S5_SD_SB_S5_PS7_21rocsparse_index_base_SF_SF_SF_bbb.kd
    .uniform_work_group_size: 1
    .uses_dynamic_stack: false
    .vgpr_count:     25
    .vgpr_spill_count: 0
    .wavefront_size: 32
  - .args:
      - .offset:         0
        .size:           8
        .value_kind:     by_value
      - .actual_access:  read_only
        .address_space:  global
        .offset:         8
        .size:           8
        .value_kind:     global_buffer
      - .actual_access:  read_only
        .address_space:  global
        .offset:         16
        .size:           8
        .value_kind:     global_buffer
      - .offset:         24
        .size:           8
        .value_kind:     by_value
      - .actual_access:  read_only
        .address_space:  global
        .offset:         32
        .size:           8
        .value_kind:     global_buffer
      - .actual_access:  read_only
        .address_space:  global
        .offset:         40
        .size:           8
        .value_kind:     global_buffer
      - .actual_access:  read_only
        .address_space:  global
        .offset:         48
        .size:           8
        .value_kind:     global_buffer
      - .actual_access:  read_only
        .address_space:  global
        .offset:         56
        .size:           8
        .value_kind:     global_buffer
      - .actual_access:  read_only
        .address_space:  global
        .offset:         64
        .size:           8
        .value_kind:     global_buffer
      - .actual_access:  read_only
        .address_space:  global
        .offset:         72
        .size:           8
        .value_kind:     global_buffer
      - .offset:         80
        .size:           8
        .value_kind:     by_value
      - .actual_access:  read_only
        .address_space:  global
        .offset:         88
        .size:           8
        .value_kind:     global_buffer
      - .actual_access:  read_only
        .address_space:  global
        .offset:         96
        .size:           8
        .value_kind:     global_buffer
      - .actual_access:  read_only
        .address_space:  global
        .offset:         104
        .size:           8
        .value_kind:     global_buffer
      - .actual_access:  read_only
        .address_space:  global
        .offset:         112
        .size:           8
        .value_kind:     global_buffer
      - .actual_access:  read_only
        .address_space:  global
        .offset:         120
        .size:           8
        .value_kind:     global_buffer
      - .actual_access:  write_only
        .address_space:  global
        .offset:         128
        .size:           8
        .value_kind:     global_buffer
      - .offset:         136
        .size:           4
        .value_kind:     by_value
      - .offset:         140
        .size:           4
        .value_kind:     by_value
      - .offset:         144
        .size:           4
        .value_kind:     by_value
      - .offset:         148
        .size:           4
        .value_kind:     by_value
      - .offset:         152
        .size:           1
        .value_kind:     by_value
      - .offset:         153
        .size:           1
        .value_kind:     by_value
      - .offset:         154
        .size:           1
        .value_kind:     by_value
    .group_segment_fixed_size: 0
    .kernarg_segment_align: 8
    .kernarg_segment_size: 156
    .language:       OpenCL C
    .language_version:
      - 2
      - 0
    .max_flat_workgroup_size: 1024
    .name:           _ZN9rocsparseL41csrgemm_numeric_fill_block_per_row_kernelILj1024ELj64ELj8192ELj137ELj32Ell21rocsparse_complex_numIfEEEvT5_PKS3_S5_NS_24const_host_device_scalarIT6_EEPKT4_S5_PKS7_SB_S5_SD_S8_SB_S5_SD_SB_S5_PS7_21rocsparse_index_base_SF_SF_SF_bbb
    .private_segment_fixed_size: 0
    .sgpr_count:     78
    .sgpr_spill_count: 0
    .symbol:         _ZN9rocsparseL41csrgemm_numeric_fill_block_per_row_kernelILj1024ELj64ELj8192ELj137ELj32Ell21rocsparse_complex_numIfEEEvT5_PKS3_S5_NS_24const_host_device_scalarIT6_EEPKT4_S5_PKS7_SB_S5_SD_S8_SB_S5_SD_SB_S5_PS7_21rocsparse_index_base_SF_SF_SF_bbb.kd
    .uniform_work_group_size: 1
    .uses_dynamic_stack: false
    .vgpr_count:     27
    .vgpr_spill_count: 0
    .wavefront_size: 32
  - .args:
      - .offset:         0
        .size:           8
        .value_kind:     by_value
      - .actual_access:  read_only
        .address_space:  global
        .offset:         8
        .size:           8
        .value_kind:     global_buffer
      - .actual_access:  read_only
        .address_space:  global
        .offset:         16
        .size:           8
        .value_kind:     global_buffer
      - .offset:         24
        .size:           8
        .value_kind:     by_value
      - .actual_access:  read_only
        .address_space:  global
        .offset:         32
        .size:           8
        .value_kind:     global_buffer
      - .actual_access:  read_only
        .address_space:  global
        .offset:         40
        .size:           8
        .value_kind:     global_buffer
      - .actual_access:  read_only
        .address_space:  global
        .offset:         48
        .size:           8
        .value_kind:     global_buffer
      - .actual_access:  read_only
        .address_space:  global
        .offset:         56
        .size:           8
        .value_kind:     global_buffer
      - .actual_access:  read_only
        .address_space:  global
        .offset:         64
        .size:           8
        .value_kind:     global_buffer
      - .actual_access:  read_only
        .address_space:  global
        .offset:         72
        .size:           8
        .value_kind:     global_buffer
      - .offset:         80
        .size:           8
        .value_kind:     by_value
      - .actual_access:  read_only
        .address_space:  global
        .offset:         88
        .size:           8
        .value_kind:     global_buffer
      - .actual_access:  read_only
        .address_space:  global
        .offset:         96
        .size:           8
        .value_kind:     global_buffer
      - .actual_access:  read_only
        .address_space:  global
        .offset:         104
        .size:           8
        .value_kind:     global_buffer
      - .actual_access:  read_only
        .address_space:  global
        .offset:         112
        .size:           8
        .value_kind:     global_buffer
      - .actual_access:  read_only
        .address_space:  global
        .offset:         120
        .size:           8
        .value_kind:     global_buffer
      - .actual_access:  write_only
        .address_space:  global
        .offset:         128
        .size:           8
        .value_kind:     global_buffer
      - .offset:         136
        .size:           4
        .value_kind:     by_value
      - .offset:         140
        .size:           4
        .value_kind:     by_value
      - .offset:         144
        .size:           4
        .value_kind:     by_value
      - .offset:         148
        .size:           4
        .value_kind:     by_value
      - .offset:         152
        .size:           1
        .value_kind:     by_value
      - .offset:         153
        .size:           1
        .value_kind:     by_value
      - .offset:         154
        .size:           1
        .value_kind:     by_value
    .group_segment_fixed_size: 0
    .kernarg_segment_align: 8
    .kernarg_segment_size: 156
    .language:       OpenCL C
    .language_version:
      - 2
      - 0
    .max_flat_workgroup_size: 1024
    .name:           _ZN9rocsparseL41csrgemm_numeric_fill_block_per_row_kernelILj1024ELj64ELj8192ELj137ELj64Ell21rocsparse_complex_numIfEEEvT5_PKS3_S5_NS_24const_host_device_scalarIT6_EEPKT4_S5_PKS7_SB_S5_SD_S8_SB_S5_SD_SB_S5_PS7_21rocsparse_index_base_SF_SF_SF_bbb
    .private_segment_fixed_size: 0
    .sgpr_count:     51
    .sgpr_spill_count: 0
    .symbol:         _ZN9rocsparseL41csrgemm_numeric_fill_block_per_row_kernelILj1024ELj64ELj8192ELj137ELj64Ell21rocsparse_complex_numIfEEEvT5_PKS3_S5_NS_24const_host_device_scalarIT6_EEPKT4_S5_PKS7_SB_S5_SD_S8_SB_S5_SD_SB_S5_PS7_21rocsparse_index_base_SF_SF_SF_bbb.kd
    .uniform_work_group_size: 1
    .uses_dynamic_stack: false
    .vgpr_count:     27
    .vgpr_spill_count: 0
    .wavefront_size: 32
  - .args:
      - .offset:         0
        .size:           8
        .value_kind:     by_value
      - .actual_access:  read_only
        .address_space:  global
        .offset:         8
        .size:           8
        .value_kind:     global_buffer
      - .actual_access:  read_only
        .address_space:  global
        .offset:         16
        .size:           8
        .value_kind:     global_buffer
      - .offset:         24
        .size:           8
        .value_kind:     by_value
      - .actual_access:  read_only
        .address_space:  global
        .offset:         32
        .size:           8
        .value_kind:     global_buffer
      - .actual_access:  read_only
        .address_space:  global
        .offset:         40
        .size:           8
        .value_kind:     global_buffer
      - .actual_access:  read_only
        .address_space:  global
        .offset:         48
        .size:           8
        .value_kind:     global_buffer
      - .actual_access:  read_only
        .address_space:  global
        .offset:         56
        .size:           8
        .value_kind:     global_buffer
      - .actual_access:  read_only
        .address_space:  global
        .offset:         64
        .size:           8
        .value_kind:     global_buffer
      - .actual_access:  read_only
        .address_space:  global
        .offset:         72
        .size:           8
        .value_kind:     global_buffer
      - .offset:         80
        .size:           8
        .value_kind:     by_value
      - .actual_access:  read_only
        .address_space:  global
        .offset:         88
        .size:           8
        .value_kind:     global_buffer
      - .actual_access:  read_only
        .address_space:  global
        .offset:         96
        .size:           8
        .value_kind:     global_buffer
      - .actual_access:  read_only
        .address_space:  global
        .offset:         104
        .size:           8
        .value_kind:     global_buffer
      - .actual_access:  read_only
        .address_space:  global
        .offset:         112
        .size:           8
        .value_kind:     global_buffer
      - .actual_access:  read_only
        .address_space:  global
        .offset:         120
        .size:           8
        .value_kind:     global_buffer
      - .actual_access:  write_only
        .address_space:  global
        .offset:         128
        .size:           8
        .value_kind:     global_buffer
      - .offset:         136
        .size:           4
        .value_kind:     by_value
      - .offset:         140
        .size:           4
        .value_kind:     by_value
      - .offset:         144
        .size:           4
        .value_kind:     by_value
      - .offset:         148
        .size:           4
        .value_kind:     by_value
      - .offset:         152
        .size:           1
        .value_kind:     by_value
      - .offset:         153
        .size:           1
        .value_kind:     by_value
      - .offset:         154
        .size:           1
        .value_kind:     by_value
    .group_segment_fixed_size: 0
    .kernarg_segment_align: 8
    .kernarg_segment_size: 156
    .language:       OpenCL C
    .language_version:
      - 2
      - 0
    .max_flat_workgroup_size: 1024
    .name:           _ZN9rocsparseL41csrgemm_numeric_fill_block_per_row_kernelILj1024ELj64ELj16384ELj137ELj32Ell21rocsparse_complex_numIfEEEvT5_PKS3_S5_NS_24const_host_device_scalarIT6_EEPKT4_S5_PKS7_SB_S5_SD_S8_SB_S5_SD_SB_S5_PS7_21rocsparse_index_base_SF_SF_SF_bbb
    .private_segment_fixed_size: 0
    .sgpr_count:     78
    .sgpr_spill_count: 0
    .symbol:         _ZN9rocsparseL41csrgemm_numeric_fill_block_per_row_kernelILj1024ELj64ELj16384ELj137ELj32Ell21rocsparse_complex_numIfEEEvT5_PKS3_S5_NS_24const_host_device_scalarIT6_EEPKT4_S5_PKS7_SB_S5_SD_S8_SB_S5_SD_SB_S5_PS7_21rocsparse_index_base_SF_SF_SF_bbb.kd
    .uniform_work_group_size: 1
    .uses_dynamic_stack: false
    .vgpr_count:     24
    .vgpr_spill_count: 0
    .wavefront_size: 32
  - .args:
      - .offset:         0
        .size:           8
        .value_kind:     by_value
      - .actual_access:  read_only
        .address_space:  global
        .offset:         8
        .size:           8
        .value_kind:     global_buffer
      - .actual_access:  read_only
        .address_space:  global
        .offset:         16
        .size:           8
        .value_kind:     global_buffer
      - .offset:         24
        .size:           8
        .value_kind:     by_value
      - .actual_access:  read_only
        .address_space:  global
        .offset:         32
        .size:           8
        .value_kind:     global_buffer
      - .actual_access:  read_only
        .address_space:  global
        .offset:         40
        .size:           8
        .value_kind:     global_buffer
      - .actual_access:  read_only
        .address_space:  global
        .offset:         48
        .size:           8
        .value_kind:     global_buffer
      - .actual_access:  read_only
        .address_space:  global
        .offset:         56
        .size:           8
        .value_kind:     global_buffer
      - .actual_access:  read_only
        .address_space:  global
        .offset:         64
        .size:           8
        .value_kind:     global_buffer
      - .actual_access:  read_only
        .address_space:  global
        .offset:         72
        .size:           8
        .value_kind:     global_buffer
      - .offset:         80
        .size:           8
        .value_kind:     by_value
      - .actual_access:  read_only
        .address_space:  global
        .offset:         88
        .size:           8
        .value_kind:     global_buffer
      - .actual_access:  read_only
        .address_space:  global
        .offset:         96
        .size:           8
        .value_kind:     global_buffer
      - .actual_access:  read_only
        .address_space:  global
        .offset:         104
        .size:           8
        .value_kind:     global_buffer
      - .actual_access:  read_only
        .address_space:  global
        .offset:         112
        .size:           8
        .value_kind:     global_buffer
      - .actual_access:  read_only
        .address_space:  global
        .offset:         120
        .size:           8
        .value_kind:     global_buffer
      - .actual_access:  write_only
        .address_space:  global
        .offset:         128
        .size:           8
        .value_kind:     global_buffer
      - .offset:         136
        .size:           4
        .value_kind:     by_value
      - .offset:         140
        .size:           4
        .value_kind:     by_value
      - .offset:         144
        .size:           4
        .value_kind:     by_value
      - .offset:         148
        .size:           4
        .value_kind:     by_value
      - .offset:         152
        .size:           1
        .value_kind:     by_value
      - .offset:         153
        .size:           1
        .value_kind:     by_value
      - .offset:         154
        .size:           1
        .value_kind:     by_value
    .group_segment_fixed_size: 0
    .kernarg_segment_align: 8
    .kernarg_segment_size: 156
    .language:       OpenCL C
    .language_version:
      - 2
      - 0
    .max_flat_workgroup_size: 1024
    .name:           _ZN9rocsparseL41csrgemm_numeric_fill_block_per_row_kernelILj1024ELj64ELj16384ELj137ELj64Ell21rocsparse_complex_numIfEEEvT5_PKS3_S5_NS_24const_host_device_scalarIT6_EEPKT4_S5_PKS7_SB_S5_SD_S8_SB_S5_SD_SB_S5_PS7_21rocsparse_index_base_SF_SF_SF_bbb
    .private_segment_fixed_size: 0
    .sgpr_count:     51
    .sgpr_spill_count: 0
    .symbol:         _ZN9rocsparseL41csrgemm_numeric_fill_block_per_row_kernelILj1024ELj64ELj16384ELj137ELj64Ell21rocsparse_complex_numIfEEEvT5_PKS3_S5_NS_24const_host_device_scalarIT6_EEPKT4_S5_PKS7_SB_S5_SD_S8_SB_S5_SD_SB_S5_PS7_21rocsparse_index_base_SF_SF_SF_bbb.kd
    .uniform_work_group_size: 1
    .uses_dynamic_stack: false
    .vgpr_count:     25
    .vgpr_spill_count: 0
    .wavefront_size: 32
  - .args:
      - .offset:         0
        .size:           8
        .value_kind:     by_value
      - .actual_access:  read_only
        .address_space:  global
        .offset:         8
        .size:           8
        .value_kind:     global_buffer
      - .actual_access:  read_only
        .address_space:  global
        .offset:         16
        .size:           8
        .value_kind:     global_buffer
      - .offset:         24
        .size:           8
        .value_kind:     by_value
      - .actual_access:  read_only
        .address_space:  global
        .offset:         32
        .size:           8
        .value_kind:     global_buffer
      - .actual_access:  read_only
        .address_space:  global
        .offset:         40
        .size:           8
        .value_kind:     global_buffer
      - .actual_access:  read_only
        .address_space:  global
        .offset:         48
        .size:           8
        .value_kind:     global_buffer
      - .actual_access:  read_only
        .address_space:  global
        .offset:         56
        .size:           8
        .value_kind:     global_buffer
      - .actual_access:  read_only
        .address_space:  global
        .offset:         64
        .size:           8
        .value_kind:     global_buffer
      - .actual_access:  read_only
        .address_space:  global
        .offset:         72
        .size:           8
        .value_kind:     global_buffer
      - .offset:         80
        .size:           8
        .value_kind:     by_value
      - .actual_access:  read_only
        .address_space:  global
        .offset:         88
        .size:           8
        .value_kind:     global_buffer
      - .actual_access:  read_only
        .address_space:  global
        .offset:         96
        .size:           8
        .value_kind:     global_buffer
      - .actual_access:  read_only
        .address_space:  global
        .offset:         104
        .size:           8
        .value_kind:     global_buffer
      - .actual_access:  read_only
        .address_space:  global
        .offset:         112
        .size:           8
        .value_kind:     global_buffer
      - .actual_access:  read_only
        .address_space:  global
        .offset:         120
        .size:           8
        .value_kind:     global_buffer
      - .actual_access:  write_only
        .address_space:  global
        .offset:         128
        .size:           8
        .value_kind:     global_buffer
      - .offset:         136
        .size:           4
        .value_kind:     by_value
      - .offset:         140
        .size:           4
        .value_kind:     by_value
      - .offset:         144
        .size:           4
        .value_kind:     by_value
      - .offset:         148
        .size:           4
        .value_kind:     by_value
      - .offset:         152
        .size:           1
        .value_kind:     by_value
      - .offset:         153
        .size:           1
        .value_kind:     by_value
      - .offset:         154
        .size:           1
        .value_kind:     by_value
    .group_segment_fixed_size: 0
    .kernarg_segment_align: 8
    .kernarg_segment_size: 156
    .language:       OpenCL C
    .language_version:
      - 2
      - 0
    .max_flat_workgroup_size: 1024
    .name:           _ZN9rocsparseL41csrgemm_numeric_fill_block_per_row_kernelILj1024ELj64ELj32768ELj137ELj32Ell21rocsparse_complex_numIfEEEvT5_PKS3_S5_NS_24const_host_device_scalarIT6_EEPKT4_S5_PKS7_SB_S5_SD_S8_SB_S5_SD_SB_S5_PS7_21rocsparse_index_base_SF_SF_SF_bbb
    .private_segment_fixed_size: 0
    .sgpr_count:     78
    .sgpr_spill_count: 0
    .symbol:         _ZN9rocsparseL41csrgemm_numeric_fill_block_per_row_kernelILj1024ELj64ELj32768ELj137ELj32Ell21rocsparse_complex_numIfEEEvT5_PKS3_S5_NS_24const_host_device_scalarIT6_EEPKT4_S5_PKS7_SB_S5_SD_S8_SB_S5_SD_SB_S5_PS7_21rocsparse_index_base_SF_SF_SF_bbb.kd
    .uniform_work_group_size: 1
    .uses_dynamic_stack: false
    .vgpr_count:     24
    .vgpr_spill_count: 0
    .wavefront_size: 32
  - .args:
      - .offset:         0
        .size:           8
        .value_kind:     by_value
      - .actual_access:  read_only
        .address_space:  global
        .offset:         8
        .size:           8
        .value_kind:     global_buffer
      - .actual_access:  read_only
        .address_space:  global
        .offset:         16
        .size:           8
        .value_kind:     global_buffer
      - .offset:         24
        .size:           8
        .value_kind:     by_value
      - .actual_access:  read_only
        .address_space:  global
        .offset:         32
        .size:           8
        .value_kind:     global_buffer
      - .actual_access:  read_only
        .address_space:  global
        .offset:         40
        .size:           8
        .value_kind:     global_buffer
      - .actual_access:  read_only
        .address_space:  global
        .offset:         48
        .size:           8
        .value_kind:     global_buffer
      - .actual_access:  read_only
        .address_space:  global
        .offset:         56
        .size:           8
        .value_kind:     global_buffer
      - .actual_access:  read_only
        .address_space:  global
        .offset:         64
        .size:           8
        .value_kind:     global_buffer
      - .actual_access:  read_only
        .address_space:  global
        .offset:         72
        .size:           8
        .value_kind:     global_buffer
      - .offset:         80
        .size:           8
        .value_kind:     by_value
      - .actual_access:  read_only
        .address_space:  global
        .offset:         88
        .size:           8
        .value_kind:     global_buffer
      - .actual_access:  read_only
        .address_space:  global
        .offset:         96
        .size:           8
        .value_kind:     global_buffer
      - .actual_access:  read_only
        .address_space:  global
        .offset:         104
        .size:           8
        .value_kind:     global_buffer
      - .actual_access:  read_only
        .address_space:  global
        .offset:         112
        .size:           8
        .value_kind:     global_buffer
      - .actual_access:  read_only
        .address_space:  global
        .offset:         120
        .size:           8
        .value_kind:     global_buffer
      - .actual_access:  write_only
        .address_space:  global
        .offset:         128
        .size:           8
        .value_kind:     global_buffer
      - .offset:         136
        .size:           4
        .value_kind:     by_value
      - .offset:         140
        .size:           4
        .value_kind:     by_value
      - .offset:         144
        .size:           4
        .value_kind:     by_value
      - .offset:         148
        .size:           4
        .value_kind:     by_value
      - .offset:         152
        .size:           1
        .value_kind:     by_value
      - .offset:         153
        .size:           1
        .value_kind:     by_value
      - .offset:         154
        .size:           1
        .value_kind:     by_value
    .group_segment_fixed_size: 0
    .kernarg_segment_align: 8
    .kernarg_segment_size: 156
    .language:       OpenCL C
    .language_version:
      - 2
      - 0
    .max_flat_workgroup_size: 1024
    .name:           _ZN9rocsparseL41csrgemm_numeric_fill_block_per_row_kernelILj1024ELj64ELj32768ELj137ELj64Ell21rocsparse_complex_numIfEEEvT5_PKS3_S5_NS_24const_host_device_scalarIT6_EEPKT4_S5_PKS7_SB_S5_SD_S8_SB_S5_SD_SB_S5_PS7_21rocsparse_index_base_SF_SF_SF_bbb
    .private_segment_fixed_size: 0
    .sgpr_count:     51
    .sgpr_spill_count: 0
    .symbol:         _ZN9rocsparseL41csrgemm_numeric_fill_block_per_row_kernelILj1024ELj64ELj32768ELj137ELj64Ell21rocsparse_complex_numIfEEEvT5_PKS3_S5_NS_24const_host_device_scalarIT6_EEPKT4_S5_PKS7_SB_S5_SD_S8_SB_S5_SD_SB_S5_PS7_21rocsparse_index_base_SF_SF_SF_bbb.kd
    .uniform_work_group_size: 1
    .uses_dynamic_stack: false
    .vgpr_count:     25
    .vgpr_spill_count: 0
    .wavefront_size: 32
  - .args:
      - .offset:         0
        .size:           8
        .value_kind:     by_value
      - .actual_access:  read_only
        .address_space:  global
        .offset:         8
        .size:           8
        .value_kind:     global_buffer
      - .actual_access:  read_only
        .address_space:  global
        .offset:         16
        .size:           8
        .value_kind:     global_buffer
      - .offset:         24
        .size:           8
        .value_kind:     by_value
      - .actual_access:  read_only
        .address_space:  global
        .offset:         32
        .size:           8
        .value_kind:     global_buffer
      - .actual_access:  read_only
        .address_space:  global
        .offset:         40
        .size:           8
        .value_kind:     global_buffer
      - .actual_access:  read_only
        .address_space:  global
        .offset:         48
        .size:           8
        .value_kind:     global_buffer
      - .actual_access:  read_only
        .address_space:  global
        .offset:         56
        .size:           8
        .value_kind:     global_buffer
      - .actual_access:  read_only
        .address_space:  global
        .offset:         64
        .size:           8
        .value_kind:     global_buffer
      - .actual_access:  read_only
        .address_space:  global
        .offset:         72
        .size:           8
        .value_kind:     global_buffer
      - .offset:         80
        .size:           8
        .value_kind:     by_value
      - .actual_access:  read_only
        .address_space:  global
        .offset:         88
        .size:           8
        .value_kind:     global_buffer
      - .actual_access:  read_only
        .address_space:  global
        .offset:         96
        .size:           8
        .value_kind:     global_buffer
      - .actual_access:  read_only
        .address_space:  global
        .offset:         104
        .size:           8
        .value_kind:     global_buffer
      - .actual_access:  read_only
        .address_space:  global
        .offset:         112
        .size:           8
        .value_kind:     global_buffer
      - .actual_access:  read_only
        .address_space:  global
        .offset:         120
        .size:           8
        .value_kind:     global_buffer
      - .actual_access:  write_only
        .address_space:  global
        .offset:         128
        .size:           8
        .value_kind:     global_buffer
      - .address_space:  global
        .offset:         136
        .size:           8
        .value_kind:     global_buffer
      - .offset:         144
        .size:           4
        .value_kind:     by_value
      - .offset:         148
        .size:           4
        .value_kind:     by_value
      - .offset:         152
        .size:           4
        .value_kind:     by_value
      - .offset:         156
        .size:           4
        .value_kind:     by_value
      - .offset:         160
        .size:           1
        .value_kind:     by_value
      - .offset:         161
        .size:           1
        .value_kind:     by_value
      - .offset:         162
        .size:           1
        .value_kind:     by_value
    .group_segment_fixed_size: 18440
    .kernarg_segment_align: 8
    .kernarg_segment_size: 164
    .language:       OpenCL C
    .language_version:
      - 2
      - 0
    .max_flat_workgroup_size: 512
    .name:           _ZN9rocsparseL51csrgemm_numeric_fill_block_per_row_multipass_kernelILj512ELj16ELj2048ELj32Ell21rocsparse_complex_numIfEEEvT4_PKS3_S5_NS_24const_host_device_scalarIT5_EEPKT3_S5_PKS7_SB_S5_SD_S8_SB_S5_SD_SB_S5_PS7_PS9_21rocsparse_index_base_SG_SG_SG_bbb
    .private_segment_fixed_size: 0
    .sgpr_count:     70
    .sgpr_spill_count: 0
    .symbol:         _ZN9rocsparseL51csrgemm_numeric_fill_block_per_row_multipass_kernelILj512ELj16ELj2048ELj32Ell21rocsparse_complex_numIfEEEvT4_PKS3_S5_NS_24const_host_device_scalarIT5_EEPKT3_S5_PKS7_SB_S5_SD_S8_SB_S5_SD_SB_S5_PS7_PS9_21rocsparse_index_base_SG_SG_SG_bbb.kd
    .uniform_work_group_size: 1
    .uses_dynamic_stack: false
    .vgpr_count:     48
    .vgpr_spill_count: 0
    .wavefront_size: 32
  - .args:
      - .offset:         0
        .size:           8
        .value_kind:     by_value
      - .actual_access:  read_only
        .address_space:  global
        .offset:         8
        .size:           8
        .value_kind:     global_buffer
      - .actual_access:  read_only
        .address_space:  global
        .offset:         16
        .size:           8
        .value_kind:     global_buffer
      - .offset:         24
        .size:           8
        .value_kind:     by_value
      - .actual_access:  read_only
        .address_space:  global
        .offset:         32
        .size:           8
        .value_kind:     global_buffer
      - .actual_access:  read_only
        .address_space:  global
        .offset:         40
        .size:           8
        .value_kind:     global_buffer
      - .actual_access:  read_only
        .address_space:  global
        .offset:         48
        .size:           8
        .value_kind:     global_buffer
      - .actual_access:  read_only
        .address_space:  global
        .offset:         56
        .size:           8
        .value_kind:     global_buffer
      - .actual_access:  read_only
        .address_space:  global
        .offset:         64
        .size:           8
        .value_kind:     global_buffer
      - .actual_access:  read_only
        .address_space:  global
        .offset:         72
        .size:           8
        .value_kind:     global_buffer
      - .offset:         80
        .size:           8
        .value_kind:     by_value
      - .actual_access:  read_only
        .address_space:  global
        .offset:         88
        .size:           8
        .value_kind:     global_buffer
      - .actual_access:  read_only
        .address_space:  global
        .offset:         96
        .size:           8
        .value_kind:     global_buffer
      - .actual_access:  read_only
        .address_space:  global
        .offset:         104
        .size:           8
        .value_kind:     global_buffer
      - .actual_access:  read_only
        .address_space:  global
        .offset:         112
        .size:           8
        .value_kind:     global_buffer
      - .actual_access:  read_only
        .address_space:  global
        .offset:         120
        .size:           8
        .value_kind:     global_buffer
      - .actual_access:  write_only
        .address_space:  global
        .offset:         128
        .size:           8
        .value_kind:     global_buffer
      - .address_space:  global
        .offset:         136
        .size:           8
        .value_kind:     global_buffer
      - .offset:         144
        .size:           4
        .value_kind:     by_value
      - .offset:         148
        .size:           4
        .value_kind:     by_value
      - .offset:         152
        .size:           4
        .value_kind:     by_value
      - .offset:         156
        .size:           4
        .value_kind:     by_value
      - .offset:         160
        .size:           1
        .value_kind:     by_value
      - .offset:         161
        .size:           1
        .value_kind:     by_value
      - .offset:         162
        .size:           1
        .value_kind:     by_value
    .group_segment_fixed_size: 18440
    .kernarg_segment_align: 8
    .kernarg_segment_size: 164
    .language:       OpenCL C
    .language_version:
      - 2
      - 0
    .max_flat_workgroup_size: 512
    .name:           _ZN9rocsparseL51csrgemm_numeric_fill_block_per_row_multipass_kernelILj512ELj16ELj2048ELj64Ell21rocsparse_complex_numIfEEEvT4_PKS3_S5_NS_24const_host_device_scalarIT5_EEPKT3_S5_PKS7_SB_S5_SD_S8_SB_S5_SD_SB_S5_PS7_PS9_21rocsparse_index_base_SG_SG_SG_bbb
    .private_segment_fixed_size: 0
    .sgpr_count:     62
    .sgpr_spill_count: 0
    .symbol:         _ZN9rocsparseL51csrgemm_numeric_fill_block_per_row_multipass_kernelILj512ELj16ELj2048ELj64Ell21rocsparse_complex_numIfEEEvT4_PKS3_S5_NS_24const_host_device_scalarIT5_EEPKT3_S5_PKS7_SB_S5_SD_S8_SB_S5_SD_SB_S5_PS7_PS9_21rocsparse_index_base_SG_SG_SG_bbb.kd
    .uniform_work_group_size: 1
    .uses_dynamic_stack: false
    .vgpr_count:     48
    .vgpr_spill_count: 0
    .wavefront_size: 32
  - .args:
      - .offset:         0
        .size:           8
        .value_kind:     by_value
      - .offset:         8
        .size:           8
        .value_kind:     by_value
      - .actual_access:  read_only
        .address_space:  global
        .offset:         16
        .size:           8
        .value_kind:     global_buffer
      - .actual_access:  read_only
        .address_space:  global
        .offset:         24
        .size:           8
        .value_kind:     global_buffer
      - .offset:         32
        .size:           16
        .value_kind:     by_value
      - .actual_access:  read_only
        .address_space:  global
        .offset:         48
        .size:           8
        .value_kind:     global_buffer
      - .actual_access:  read_only
        .address_space:  global
        .offset:         56
        .size:           8
        .value_kind:     global_buffer
      - .actual_access:  read_only
        .address_space:  global
        .offset:         64
        .size:           8
        .value_kind:     global_buffer
      - .actual_access:  read_only
        .address_space:  global
        .offset:         72
        .size:           8
        .value_kind:     global_buffer
      - .actual_access:  read_only
        .address_space:  global
        .offset:         80
        .size:           8
        .value_kind:     global_buffer
      - .actual_access:  read_only
        .address_space:  global
        .offset:         88
        .size:           8
        .value_kind:     global_buffer
      - .offset:         96
        .size:           16
        .value_kind:     by_value
      - .actual_access:  read_only
        .address_space:  global
        .offset:         112
        .size:           8
        .value_kind:     global_buffer
      - .actual_access:  read_only
        .address_space:  global
        .offset:         120
        .size:           8
        .value_kind:     global_buffer
      - .actual_access:  read_only
        .address_space:  global
        .offset:         128
        .size:           8
        .value_kind:     global_buffer
      - .actual_access:  read_only
        .address_space:  global
        .offset:         136
        .size:           8
        .value_kind:     global_buffer
      - .actual_access:  read_only
        .address_space:  global
        .offset:         144
        .size:           8
        .value_kind:     global_buffer
      - .actual_access:  write_only
        .address_space:  global
        .offset:         152
        .size:           8
        .value_kind:     global_buffer
      - .offset:         160
        .size:           4
        .value_kind:     by_value
      - .offset:         164
        .size:           4
        .value_kind:     by_value
      - .offset:         168
        .size:           4
        .value_kind:     by_value
      - .offset:         172
        .size:           4
        .value_kind:     by_value
      - .offset:         176
        .size:           1
        .value_kind:     by_value
      - .offset:         177
        .size:           1
        .value_kind:     by_value
      - .offset:         178
        .size:           1
        .value_kind:     by_value
    .group_segment_fixed_size: 12288
    .kernarg_segment_align: 8
    .kernarg_segment_size: 180
    .language:       OpenCL C
    .language_version:
      - 2
      - 0
    .max_flat_workgroup_size: 256
    .name:           _ZN9rocsparseL38csrgemm_numeric_fill_wf_per_row_kernelILj256ELj8ELj16ELj137Ell21rocsparse_complex_numIdEEEvT4_S3_PKS3_S5_NS_24const_host_device_scalarIT5_EEPKT3_S5_PKS7_SB_S5_SD_S8_SB_S5_SD_SB_S5_PS7_21rocsparse_index_base_SF_SF_SF_bbb
    .private_segment_fixed_size: 24
    .sgpr_count:     43
    .sgpr_spill_count: 0
    .symbol:         _ZN9rocsparseL38csrgemm_numeric_fill_wf_per_row_kernelILj256ELj8ELj16ELj137Ell21rocsparse_complex_numIdEEEvT4_S3_PKS3_S5_NS_24const_host_device_scalarIT5_EEPKT3_S5_PKS7_SB_S5_SD_S8_SB_S5_SD_SB_S5_PS7_21rocsparse_index_base_SF_SF_SF_bbb.kd
    .uniform_work_group_size: 1
    .uses_dynamic_stack: false
    .vgpr_count:     41
    .vgpr_spill_count: 0
    .wavefront_size: 32
  - .args:
      - .offset:         0
        .size:           8
        .value_kind:     by_value
      - .offset:         8
        .size:           8
        .value_kind:     by_value
      - .actual_access:  read_only
        .address_space:  global
        .offset:         16
        .size:           8
        .value_kind:     global_buffer
      - .actual_access:  read_only
        .address_space:  global
        .offset:         24
        .size:           8
        .value_kind:     global_buffer
      - .offset:         32
        .size:           16
        .value_kind:     by_value
      - .actual_access:  read_only
        .address_space:  global
        .offset:         48
        .size:           8
        .value_kind:     global_buffer
      - .actual_access:  read_only
        .address_space:  global
        .offset:         56
        .size:           8
        .value_kind:     global_buffer
      - .actual_access:  read_only
        .address_space:  global
        .offset:         64
        .size:           8
        .value_kind:     global_buffer
      - .actual_access:  read_only
        .address_space:  global
        .offset:         72
        .size:           8
        .value_kind:     global_buffer
      - .actual_access:  read_only
        .address_space:  global
        .offset:         80
        .size:           8
        .value_kind:     global_buffer
      - .actual_access:  read_only
        .address_space:  global
        .offset:         88
        .size:           8
        .value_kind:     global_buffer
      - .offset:         96
        .size:           16
        .value_kind:     by_value
      - .actual_access:  read_only
        .address_space:  global
        .offset:         112
        .size:           8
        .value_kind:     global_buffer
      - .actual_access:  read_only
        .address_space:  global
        .offset:         120
        .size:           8
        .value_kind:     global_buffer
      - .actual_access:  read_only
        .address_space:  global
        .offset:         128
        .size:           8
        .value_kind:     global_buffer
      - .actual_access:  read_only
        .address_space:  global
        .offset:         136
        .size:           8
        .value_kind:     global_buffer
      - .actual_access:  read_only
        .address_space:  global
        .offset:         144
        .size:           8
        .value_kind:     global_buffer
      - .actual_access:  write_only
        .address_space:  global
        .offset:         152
        .size:           8
        .value_kind:     global_buffer
      - .offset:         160
        .size:           4
        .value_kind:     by_value
      - .offset:         164
        .size:           4
        .value_kind:     by_value
      - .offset:         168
        .size:           4
        .value_kind:     by_value
      - .offset:         172
        .size:           4
        .value_kind:     by_value
      - .offset:         176
        .size:           1
        .value_kind:     by_value
      - .offset:         177
        .size:           1
        .value_kind:     by_value
      - .offset:         178
        .size:           1
        .value_kind:     by_value
    .group_segment_fixed_size: 12288
    .kernarg_segment_align: 8
    .kernarg_segment_size: 180
    .language:       OpenCL C
    .language_version:
      - 2
      - 0
    .max_flat_workgroup_size: 256
    .name:           _ZN9rocsparseL38csrgemm_numeric_fill_wf_per_row_kernelILj256ELj16ELj32ELj137Ell21rocsparse_complex_numIdEEEvT4_S3_PKS3_S5_NS_24const_host_device_scalarIT5_EEPKT3_S5_PKS7_SB_S5_SD_S8_SB_S5_SD_SB_S5_PS7_21rocsparse_index_base_SF_SF_SF_bbb
    .private_segment_fixed_size: 24
    .sgpr_count:     43
    .sgpr_spill_count: 0
    .symbol:         _ZN9rocsparseL38csrgemm_numeric_fill_wf_per_row_kernelILj256ELj16ELj32ELj137Ell21rocsparse_complex_numIdEEEvT4_S3_PKS3_S5_NS_24const_host_device_scalarIT5_EEPKT3_S5_PKS7_SB_S5_SD_S8_SB_S5_SD_SB_S5_PS7_21rocsparse_index_base_SF_SF_SF_bbb.kd
    .uniform_work_group_size: 1
    .uses_dynamic_stack: false
    .vgpr_count:     41
    .vgpr_spill_count: 0
    .wavefront_size: 32
  - .args:
      - .offset:         0
        .size:           8
        .value_kind:     by_value
      - .actual_access:  read_only
        .address_space:  global
        .offset:         8
        .size:           8
        .value_kind:     global_buffer
      - .actual_access:  read_only
        .address_space:  global
        .offset:         16
        .size:           8
        .value_kind:     global_buffer
      - .offset:         24
        .size:           16
        .value_kind:     by_value
      - .actual_access:  read_only
        .address_space:  global
        .offset:         40
        .size:           8
        .value_kind:     global_buffer
      - .actual_access:  read_only
        .address_space:  global
        .offset:         48
        .size:           8
        .value_kind:     global_buffer
      - .actual_access:  read_only
        .address_space:  global
        .offset:         56
        .size:           8
        .value_kind:     global_buffer
      - .actual_access:  read_only
        .address_space:  global
        .offset:         64
        .size:           8
        .value_kind:     global_buffer
      - .actual_access:  read_only
        .address_space:  global
        .offset:         72
        .size:           8
        .value_kind:     global_buffer
      - .actual_access:  read_only
        .address_space:  global
        .offset:         80
        .size:           8
        .value_kind:     global_buffer
      - .offset:         88
        .size:           16
        .value_kind:     by_value
      - .actual_access:  read_only
        .address_space:  global
        .offset:         104
        .size:           8
        .value_kind:     global_buffer
      - .actual_access:  read_only
        .address_space:  global
        .offset:         112
        .size:           8
        .value_kind:     global_buffer
      - .actual_access:  read_only
        .address_space:  global
        .offset:         120
        .size:           8
        .value_kind:     global_buffer
      - .actual_access:  read_only
        .address_space:  global
        .offset:         128
        .size:           8
        .value_kind:     global_buffer
      - .actual_access:  read_only
        .address_space:  global
        .offset:         136
        .size:           8
        .value_kind:     global_buffer
      - .actual_access:  write_only
        .address_space:  global
        .offset:         144
        .size:           8
        .value_kind:     global_buffer
      - .offset:         152
        .size:           4
        .value_kind:     by_value
      - .offset:         156
        .size:           4
        .value_kind:     by_value
      - .offset:         160
        .size:           4
        .value_kind:     by_value
      - .offset:         164
        .size:           4
        .value_kind:     by_value
      - .offset:         168
        .size:           1
        .value_kind:     by_value
      - .offset:         169
        .size:           1
        .value_kind:     by_value
      - .offset:         170
        .size:           1
        .value_kind:     by_value
    .group_segment_fixed_size: 0
    .kernarg_segment_align: 8
    .kernarg_segment_size: 172
    .language:       OpenCL C
    .language_version:
      - 2
      - 0
    .max_flat_workgroup_size: 128
    .name:           _ZN9rocsparseL41csrgemm_numeric_fill_block_per_row_kernelILj128ELj16ELj256ELj137ELj32Ell21rocsparse_complex_numIdEEEvT5_PKS3_S5_NS_24const_host_device_scalarIT6_EEPKT4_S5_PKS7_SB_S5_SD_S8_SB_S5_SD_SB_S5_PS7_21rocsparse_index_base_SF_SF_SF_bbb
    .private_segment_fixed_size: 40
    .sgpr_count:     48
    .sgpr_spill_count: 0
    .symbol:         _ZN9rocsparseL41csrgemm_numeric_fill_block_per_row_kernelILj128ELj16ELj256ELj137ELj32Ell21rocsparse_complex_numIdEEEvT5_PKS3_S5_NS_24const_host_device_scalarIT6_EEPKT4_S5_PKS7_SB_S5_SD_S8_SB_S5_SD_SB_S5_PS7_21rocsparse_index_base_SF_SF_SF_bbb.kd
    .uniform_work_group_size: 1
    .uses_dynamic_stack: false
    .vgpr_count:     38
    .vgpr_spill_count: 0
    .wavefront_size: 32
  - .args:
      - .offset:         0
        .size:           8
        .value_kind:     by_value
      - .actual_access:  read_only
        .address_space:  global
        .offset:         8
        .size:           8
        .value_kind:     global_buffer
      - .actual_access:  read_only
        .address_space:  global
        .offset:         16
        .size:           8
        .value_kind:     global_buffer
      - .offset:         24
        .size:           16
        .value_kind:     by_value
      - .actual_access:  read_only
        .address_space:  global
        .offset:         40
        .size:           8
        .value_kind:     global_buffer
      - .actual_access:  read_only
        .address_space:  global
        .offset:         48
        .size:           8
        .value_kind:     global_buffer
      - .actual_access:  read_only
        .address_space:  global
        .offset:         56
        .size:           8
        .value_kind:     global_buffer
      - .actual_access:  read_only
        .address_space:  global
        .offset:         64
        .size:           8
        .value_kind:     global_buffer
      - .actual_access:  read_only
        .address_space:  global
        .offset:         72
        .size:           8
        .value_kind:     global_buffer
      - .actual_access:  read_only
        .address_space:  global
        .offset:         80
        .size:           8
        .value_kind:     global_buffer
      - .offset:         88
        .size:           16
        .value_kind:     by_value
      - .actual_access:  read_only
        .address_space:  global
        .offset:         104
        .size:           8
        .value_kind:     global_buffer
      - .actual_access:  read_only
        .address_space:  global
        .offset:         112
        .size:           8
        .value_kind:     global_buffer
      - .actual_access:  read_only
        .address_space:  global
        .offset:         120
        .size:           8
        .value_kind:     global_buffer
      - .actual_access:  read_only
        .address_space:  global
        .offset:         128
        .size:           8
        .value_kind:     global_buffer
      - .actual_access:  read_only
        .address_space:  global
        .offset:         136
        .size:           8
        .value_kind:     global_buffer
      - .actual_access:  write_only
        .address_space:  global
        .offset:         144
        .size:           8
        .value_kind:     global_buffer
      - .offset:         152
        .size:           4
        .value_kind:     by_value
      - .offset:         156
        .size:           4
        .value_kind:     by_value
      - .offset:         160
        .size:           4
        .value_kind:     by_value
      - .offset:         164
        .size:           4
        .value_kind:     by_value
      - .offset:         168
        .size:           1
        .value_kind:     by_value
      - .offset:         169
        .size:           1
        .value_kind:     by_value
      - .offset:         170
        .size:           1
        .value_kind:     by_value
    .group_segment_fixed_size: 0
    .kernarg_segment_align: 8
    .kernarg_segment_size: 172
    .language:       OpenCL C
    .language_version:
      - 2
      - 0
    .max_flat_workgroup_size: 128
    .name:           _ZN9rocsparseL41csrgemm_numeric_fill_block_per_row_kernelILj128ELj16ELj256ELj137ELj64Ell21rocsparse_complex_numIdEEEvT5_PKS3_S5_NS_24const_host_device_scalarIT6_EEPKT4_S5_PKS7_SB_S5_SD_S8_SB_S5_SD_SB_S5_PS7_21rocsparse_index_base_SF_SF_SF_bbb
    .private_segment_fixed_size: 40
    .sgpr_count:     48
    .sgpr_spill_count: 0
    .symbol:         _ZN9rocsparseL41csrgemm_numeric_fill_block_per_row_kernelILj128ELj16ELj256ELj137ELj64Ell21rocsparse_complex_numIdEEEvT5_PKS3_S5_NS_24const_host_device_scalarIT6_EEPKT4_S5_PKS7_SB_S5_SD_S8_SB_S5_SD_SB_S5_PS7_21rocsparse_index_base_SF_SF_SF_bbb.kd
    .uniform_work_group_size: 1
    .uses_dynamic_stack: false
    .vgpr_count:     38
    .vgpr_spill_count: 0
    .wavefront_size: 32
  - .args:
      - .offset:         0
        .size:           8
        .value_kind:     by_value
      - .actual_access:  read_only
        .address_space:  global
        .offset:         8
        .size:           8
        .value_kind:     global_buffer
      - .actual_access:  read_only
        .address_space:  global
        .offset:         16
        .size:           8
        .value_kind:     global_buffer
      - .offset:         24
        .size:           16
        .value_kind:     by_value
      - .actual_access:  read_only
        .address_space:  global
        .offset:         40
        .size:           8
        .value_kind:     global_buffer
      - .actual_access:  read_only
        .address_space:  global
        .offset:         48
        .size:           8
        .value_kind:     global_buffer
      - .actual_access:  read_only
        .address_space:  global
        .offset:         56
        .size:           8
        .value_kind:     global_buffer
      - .actual_access:  read_only
        .address_space:  global
        .offset:         64
        .size:           8
        .value_kind:     global_buffer
      - .actual_access:  read_only
        .address_space:  global
        .offset:         72
        .size:           8
        .value_kind:     global_buffer
      - .actual_access:  read_only
        .address_space:  global
        .offset:         80
        .size:           8
        .value_kind:     global_buffer
      - .offset:         88
        .size:           16
        .value_kind:     by_value
      - .actual_access:  read_only
        .address_space:  global
        .offset:         104
        .size:           8
        .value_kind:     global_buffer
      - .actual_access:  read_only
        .address_space:  global
        .offset:         112
        .size:           8
        .value_kind:     global_buffer
      - .actual_access:  read_only
        .address_space:  global
        .offset:         120
        .size:           8
        .value_kind:     global_buffer
      - .actual_access:  read_only
        .address_space:  global
        .offset:         128
        .size:           8
        .value_kind:     global_buffer
      - .actual_access:  read_only
        .address_space:  global
        .offset:         136
        .size:           8
        .value_kind:     global_buffer
      - .actual_access:  write_only
        .address_space:  global
        .offset:         144
        .size:           8
        .value_kind:     global_buffer
      - .offset:         152
        .size:           4
        .value_kind:     by_value
      - .offset:         156
        .size:           4
        .value_kind:     by_value
      - .offset:         160
        .size:           4
        .value_kind:     by_value
      - .offset:         164
        .size:           4
        .value_kind:     by_value
      - .offset:         168
        .size:           1
        .value_kind:     by_value
      - .offset:         169
        .size:           1
        .value_kind:     by_value
      - .offset:         170
        .size:           1
        .value_kind:     by_value
    .group_segment_fixed_size: 0
    .kernarg_segment_align: 8
    .kernarg_segment_size: 172
    .language:       OpenCL C
    .language_version:
      - 2
      - 0
    .max_flat_workgroup_size: 256
    .name:           _ZN9rocsparseL41csrgemm_numeric_fill_block_per_row_kernelILj256ELj32ELj512ELj137ELj32Ell21rocsparse_complex_numIdEEEvT5_PKS3_S5_NS_24const_host_device_scalarIT6_EEPKT4_S5_PKS7_SB_S5_SD_S8_SB_S5_SD_SB_S5_PS7_21rocsparse_index_base_SF_SF_SF_bbb
    .private_segment_fixed_size: 40
    .sgpr_count:     48
    .sgpr_spill_count: 0
    .symbol:         _ZN9rocsparseL41csrgemm_numeric_fill_block_per_row_kernelILj256ELj32ELj512ELj137ELj32Ell21rocsparse_complex_numIdEEEvT5_PKS3_S5_NS_24const_host_device_scalarIT6_EEPKT4_S5_PKS7_SB_S5_SD_S8_SB_S5_SD_SB_S5_PS7_21rocsparse_index_base_SF_SF_SF_bbb.kd
    .uniform_work_group_size: 1
    .uses_dynamic_stack: false
    .vgpr_count:     40
    .vgpr_spill_count: 0
    .wavefront_size: 32
  - .args:
      - .offset:         0
        .size:           8
        .value_kind:     by_value
      - .actual_access:  read_only
        .address_space:  global
        .offset:         8
        .size:           8
        .value_kind:     global_buffer
      - .actual_access:  read_only
        .address_space:  global
        .offset:         16
        .size:           8
        .value_kind:     global_buffer
      - .offset:         24
        .size:           16
        .value_kind:     by_value
      - .actual_access:  read_only
        .address_space:  global
        .offset:         40
        .size:           8
        .value_kind:     global_buffer
      - .actual_access:  read_only
        .address_space:  global
        .offset:         48
        .size:           8
        .value_kind:     global_buffer
      - .actual_access:  read_only
        .address_space:  global
        .offset:         56
        .size:           8
        .value_kind:     global_buffer
      - .actual_access:  read_only
        .address_space:  global
        .offset:         64
        .size:           8
        .value_kind:     global_buffer
      - .actual_access:  read_only
        .address_space:  global
        .offset:         72
        .size:           8
        .value_kind:     global_buffer
      - .actual_access:  read_only
        .address_space:  global
        .offset:         80
        .size:           8
        .value_kind:     global_buffer
      - .offset:         88
        .size:           16
        .value_kind:     by_value
      - .actual_access:  read_only
        .address_space:  global
        .offset:         104
        .size:           8
        .value_kind:     global_buffer
      - .actual_access:  read_only
        .address_space:  global
        .offset:         112
        .size:           8
        .value_kind:     global_buffer
      - .actual_access:  read_only
        .address_space:  global
        .offset:         120
        .size:           8
        .value_kind:     global_buffer
      - .actual_access:  read_only
        .address_space:  global
        .offset:         128
        .size:           8
        .value_kind:     global_buffer
      - .actual_access:  read_only
        .address_space:  global
        .offset:         136
        .size:           8
        .value_kind:     global_buffer
      - .actual_access:  write_only
        .address_space:  global
        .offset:         144
        .size:           8
        .value_kind:     global_buffer
      - .offset:         152
        .size:           4
        .value_kind:     by_value
      - .offset:         156
        .size:           4
        .value_kind:     by_value
      - .offset:         160
        .size:           4
        .value_kind:     by_value
      - .offset:         164
        .size:           4
        .value_kind:     by_value
      - .offset:         168
        .size:           1
        .value_kind:     by_value
      - .offset:         169
        .size:           1
        .value_kind:     by_value
      - .offset:         170
        .size:           1
        .value_kind:     by_value
    .group_segment_fixed_size: 0
    .kernarg_segment_align: 8
    .kernarg_segment_size: 172
    .language:       OpenCL C
    .language_version:
      - 2
      - 0
    .max_flat_workgroup_size: 256
    .name:           _ZN9rocsparseL41csrgemm_numeric_fill_block_per_row_kernelILj256ELj32ELj512ELj137ELj64Ell21rocsparse_complex_numIdEEEvT5_PKS3_S5_NS_24const_host_device_scalarIT6_EEPKT4_S5_PKS7_SB_S5_SD_S8_SB_S5_SD_SB_S5_PS7_21rocsparse_index_base_SF_SF_SF_bbb
    .private_segment_fixed_size: 40
    .sgpr_count:     48
    .sgpr_spill_count: 0
    .symbol:         _ZN9rocsparseL41csrgemm_numeric_fill_block_per_row_kernelILj256ELj32ELj512ELj137ELj64Ell21rocsparse_complex_numIdEEEvT5_PKS3_S5_NS_24const_host_device_scalarIT6_EEPKT4_S5_PKS7_SB_S5_SD_S8_SB_S5_SD_SB_S5_PS7_21rocsparse_index_base_SF_SF_SF_bbb.kd
    .uniform_work_group_size: 1
    .uses_dynamic_stack: false
    .vgpr_count:     38
    .vgpr_spill_count: 0
    .wavefront_size: 32
  - .args:
      - .offset:         0
        .size:           8
        .value_kind:     by_value
      - .actual_access:  read_only
        .address_space:  global
        .offset:         8
        .size:           8
        .value_kind:     global_buffer
      - .actual_access:  read_only
        .address_space:  global
        .offset:         16
        .size:           8
        .value_kind:     global_buffer
      - .offset:         24
        .size:           16
        .value_kind:     by_value
      - .actual_access:  read_only
        .address_space:  global
        .offset:         40
        .size:           8
        .value_kind:     global_buffer
      - .actual_access:  read_only
        .address_space:  global
        .offset:         48
        .size:           8
        .value_kind:     global_buffer
      - .actual_access:  read_only
        .address_space:  global
        .offset:         56
        .size:           8
        .value_kind:     global_buffer
      - .actual_access:  read_only
        .address_space:  global
        .offset:         64
        .size:           8
        .value_kind:     global_buffer
      - .actual_access:  read_only
        .address_space:  global
        .offset:         72
        .size:           8
        .value_kind:     global_buffer
      - .actual_access:  read_only
        .address_space:  global
        .offset:         80
        .size:           8
        .value_kind:     global_buffer
      - .offset:         88
        .size:           16
        .value_kind:     by_value
      - .actual_access:  read_only
        .address_space:  global
        .offset:         104
        .size:           8
        .value_kind:     global_buffer
      - .actual_access:  read_only
        .address_space:  global
        .offset:         112
        .size:           8
        .value_kind:     global_buffer
      - .actual_access:  read_only
        .address_space:  global
        .offset:         120
        .size:           8
        .value_kind:     global_buffer
      - .actual_access:  read_only
        .address_space:  global
        .offset:         128
        .size:           8
        .value_kind:     global_buffer
      - .actual_access:  read_only
        .address_space:  global
        .offset:         136
        .size:           8
        .value_kind:     global_buffer
      - .actual_access:  write_only
        .address_space:  global
        .offset:         144
        .size:           8
        .value_kind:     global_buffer
      - .offset:         152
        .size:           4
        .value_kind:     by_value
      - .offset:         156
        .size:           4
        .value_kind:     by_value
      - .offset:         160
        .size:           4
        .value_kind:     by_value
      - .offset:         164
        .size:           4
        .value_kind:     by_value
      - .offset:         168
        .size:           1
        .value_kind:     by_value
      - .offset:         169
        .size:           1
        .value_kind:     by_value
      - .offset:         170
        .size:           1
        .value_kind:     by_value
    .group_segment_fixed_size: 0
    .kernarg_segment_align: 8
    .kernarg_segment_size: 172
    .language:       OpenCL C
    .language_version:
      - 2
      - 0
    .max_flat_workgroup_size: 512
    .name:           _ZN9rocsparseL41csrgemm_numeric_fill_block_per_row_kernelILj512ELj32ELj1024ELj137ELj32Ell21rocsparse_complex_numIdEEEvT5_PKS3_S5_NS_24const_host_device_scalarIT6_EEPKT4_S5_PKS7_SB_S5_SD_S8_SB_S5_SD_SB_S5_PS7_21rocsparse_index_base_SF_SF_SF_bbb
    .private_segment_fixed_size: 40
    .sgpr_count:     47
    .sgpr_spill_count: 0
    .symbol:         _ZN9rocsparseL41csrgemm_numeric_fill_block_per_row_kernelILj512ELj32ELj1024ELj137ELj32Ell21rocsparse_complex_numIdEEEvT5_PKS3_S5_NS_24const_host_device_scalarIT6_EEPKT4_S5_PKS7_SB_S5_SD_S8_SB_S5_SD_SB_S5_PS7_21rocsparse_index_base_SF_SF_SF_bbb.kd
    .uniform_work_group_size: 1
    .uses_dynamic_stack: false
    .vgpr_count:     40
    .vgpr_spill_count: 0
    .wavefront_size: 32
  - .args:
      - .offset:         0
        .size:           8
        .value_kind:     by_value
      - .actual_access:  read_only
        .address_space:  global
        .offset:         8
        .size:           8
        .value_kind:     global_buffer
      - .actual_access:  read_only
        .address_space:  global
        .offset:         16
        .size:           8
        .value_kind:     global_buffer
      - .offset:         24
        .size:           16
        .value_kind:     by_value
      - .actual_access:  read_only
        .address_space:  global
        .offset:         40
        .size:           8
        .value_kind:     global_buffer
      - .actual_access:  read_only
        .address_space:  global
        .offset:         48
        .size:           8
        .value_kind:     global_buffer
      - .actual_access:  read_only
        .address_space:  global
        .offset:         56
        .size:           8
        .value_kind:     global_buffer
      - .actual_access:  read_only
        .address_space:  global
        .offset:         64
        .size:           8
        .value_kind:     global_buffer
      - .actual_access:  read_only
        .address_space:  global
        .offset:         72
        .size:           8
        .value_kind:     global_buffer
      - .actual_access:  read_only
        .address_space:  global
        .offset:         80
        .size:           8
        .value_kind:     global_buffer
      - .offset:         88
        .size:           16
        .value_kind:     by_value
      - .actual_access:  read_only
        .address_space:  global
        .offset:         104
        .size:           8
        .value_kind:     global_buffer
      - .actual_access:  read_only
        .address_space:  global
        .offset:         112
        .size:           8
        .value_kind:     global_buffer
      - .actual_access:  read_only
        .address_space:  global
        .offset:         120
        .size:           8
        .value_kind:     global_buffer
      - .actual_access:  read_only
        .address_space:  global
        .offset:         128
        .size:           8
        .value_kind:     global_buffer
      - .actual_access:  read_only
        .address_space:  global
        .offset:         136
        .size:           8
        .value_kind:     global_buffer
      - .actual_access:  write_only
        .address_space:  global
        .offset:         144
        .size:           8
        .value_kind:     global_buffer
      - .offset:         152
        .size:           4
        .value_kind:     by_value
      - .offset:         156
        .size:           4
        .value_kind:     by_value
      - .offset:         160
        .size:           4
        .value_kind:     by_value
      - .offset:         164
        .size:           4
        .value_kind:     by_value
      - .offset:         168
        .size:           1
        .value_kind:     by_value
      - .offset:         169
        .size:           1
        .value_kind:     by_value
      - .offset:         170
        .size:           1
        .value_kind:     by_value
    .group_segment_fixed_size: 0
    .kernarg_segment_align: 8
    .kernarg_segment_size: 172
    .language:       OpenCL C
    .language_version:
      - 2
      - 0
    .max_flat_workgroup_size: 512
    .name:           _ZN9rocsparseL41csrgemm_numeric_fill_block_per_row_kernelILj512ELj32ELj1024ELj137ELj64Ell21rocsparse_complex_numIdEEEvT5_PKS3_S5_NS_24const_host_device_scalarIT6_EEPKT4_S5_PKS7_SB_S5_SD_S8_SB_S5_SD_SB_S5_PS7_21rocsparse_index_base_SF_SF_SF_bbb
    .private_segment_fixed_size: 40
    .sgpr_count:     47
    .sgpr_spill_count: 0
    .symbol:         _ZN9rocsparseL41csrgemm_numeric_fill_block_per_row_kernelILj512ELj32ELj1024ELj137ELj64Ell21rocsparse_complex_numIdEEEvT5_PKS3_S5_NS_24const_host_device_scalarIT6_EEPKT4_S5_PKS7_SB_S5_SD_S8_SB_S5_SD_SB_S5_PS7_21rocsparse_index_base_SF_SF_SF_bbb.kd
    .uniform_work_group_size: 1
    .uses_dynamic_stack: false
    .vgpr_count:     38
    .vgpr_spill_count: 0
    .wavefront_size: 32
  - .args:
      - .offset:         0
        .size:           8
        .value_kind:     by_value
      - .actual_access:  read_only
        .address_space:  global
        .offset:         8
        .size:           8
        .value_kind:     global_buffer
      - .actual_access:  read_only
        .address_space:  global
        .offset:         16
        .size:           8
        .value_kind:     global_buffer
      - .offset:         24
        .size:           16
        .value_kind:     by_value
      - .actual_access:  read_only
        .address_space:  global
        .offset:         40
        .size:           8
        .value_kind:     global_buffer
      - .actual_access:  read_only
        .address_space:  global
        .offset:         48
        .size:           8
        .value_kind:     global_buffer
      - .actual_access:  read_only
        .address_space:  global
        .offset:         56
        .size:           8
        .value_kind:     global_buffer
      - .actual_access:  read_only
        .address_space:  global
        .offset:         64
        .size:           8
        .value_kind:     global_buffer
      - .actual_access:  read_only
        .address_space:  global
        .offset:         72
        .size:           8
        .value_kind:     global_buffer
      - .actual_access:  read_only
        .address_space:  global
        .offset:         80
        .size:           8
        .value_kind:     global_buffer
      - .offset:         88
        .size:           16
        .value_kind:     by_value
      - .actual_access:  read_only
        .address_space:  global
        .offset:         104
        .size:           8
        .value_kind:     global_buffer
      - .actual_access:  read_only
        .address_space:  global
        .offset:         112
        .size:           8
        .value_kind:     global_buffer
      - .actual_access:  read_only
        .address_space:  global
        .offset:         120
        .size:           8
        .value_kind:     global_buffer
      - .actual_access:  read_only
        .address_space:  global
        .offset:         128
        .size:           8
        .value_kind:     global_buffer
      - .actual_access:  read_only
        .address_space:  global
        .offset:         136
        .size:           8
        .value_kind:     global_buffer
      - .actual_access:  write_only
        .address_space:  global
        .offset:         144
        .size:           8
        .value_kind:     global_buffer
      - .offset:         152
        .size:           4
        .value_kind:     by_value
      - .offset:         156
        .size:           4
        .value_kind:     by_value
      - .offset:         160
        .size:           4
        .value_kind:     by_value
      - .offset:         164
        .size:           4
        .value_kind:     by_value
      - .offset:         168
        .size:           1
        .value_kind:     by_value
      - .offset:         169
        .size:           1
        .value_kind:     by_value
      - .offset:         170
        .size:           1
        .value_kind:     by_value
    .group_segment_fixed_size: 0
    .kernarg_segment_align: 8
    .kernarg_segment_size: 172
    .language:       OpenCL C
    .language_version:
      - 2
      - 0
    .max_flat_workgroup_size: 1024
    .name:           _ZN9rocsparseL41csrgemm_numeric_fill_block_per_row_kernelILj1024ELj32ELj2048ELj137ELj32Ell21rocsparse_complex_numIdEEEvT5_PKS3_S5_NS_24const_host_device_scalarIT6_EEPKT4_S5_PKS7_SB_S5_SD_S8_SB_S5_SD_SB_S5_PS7_21rocsparse_index_base_SF_SF_SF_bbb
    .private_segment_fixed_size: 40
    .sgpr_count:     54
    .sgpr_spill_count: 0
    .symbol:         _ZN9rocsparseL41csrgemm_numeric_fill_block_per_row_kernelILj1024ELj32ELj2048ELj137ELj32Ell21rocsparse_complex_numIdEEEvT5_PKS3_S5_NS_24const_host_device_scalarIT6_EEPKT4_S5_PKS7_SB_S5_SD_S8_SB_S5_SD_SB_S5_PS7_21rocsparse_index_base_SF_SF_SF_bbb.kd
    .uniform_work_group_size: 1
    .uses_dynamic_stack: false
    .vgpr_count:     40
    .vgpr_spill_count: 0
    .wavefront_size: 32
  - .args:
      - .offset:         0
        .size:           8
        .value_kind:     by_value
      - .actual_access:  read_only
        .address_space:  global
        .offset:         8
        .size:           8
        .value_kind:     global_buffer
      - .actual_access:  read_only
        .address_space:  global
        .offset:         16
        .size:           8
        .value_kind:     global_buffer
      - .offset:         24
        .size:           16
        .value_kind:     by_value
      - .actual_access:  read_only
        .address_space:  global
        .offset:         40
        .size:           8
        .value_kind:     global_buffer
      - .actual_access:  read_only
        .address_space:  global
        .offset:         48
        .size:           8
        .value_kind:     global_buffer
      - .actual_access:  read_only
        .address_space:  global
        .offset:         56
        .size:           8
        .value_kind:     global_buffer
      - .actual_access:  read_only
        .address_space:  global
        .offset:         64
        .size:           8
        .value_kind:     global_buffer
      - .actual_access:  read_only
        .address_space:  global
        .offset:         72
        .size:           8
        .value_kind:     global_buffer
      - .actual_access:  read_only
        .address_space:  global
        .offset:         80
        .size:           8
        .value_kind:     global_buffer
      - .offset:         88
        .size:           16
        .value_kind:     by_value
      - .actual_access:  read_only
        .address_space:  global
        .offset:         104
        .size:           8
        .value_kind:     global_buffer
      - .actual_access:  read_only
        .address_space:  global
        .offset:         112
        .size:           8
        .value_kind:     global_buffer
      - .actual_access:  read_only
        .address_space:  global
        .offset:         120
        .size:           8
        .value_kind:     global_buffer
      - .actual_access:  read_only
        .address_space:  global
        .offset:         128
        .size:           8
        .value_kind:     global_buffer
      - .actual_access:  read_only
        .address_space:  global
        .offset:         136
        .size:           8
        .value_kind:     global_buffer
      - .actual_access:  write_only
        .address_space:  global
        .offset:         144
        .size:           8
        .value_kind:     global_buffer
      - .offset:         152
        .size:           4
        .value_kind:     by_value
      - .offset:         156
        .size:           4
        .value_kind:     by_value
      - .offset:         160
        .size:           4
        .value_kind:     by_value
      - .offset:         164
        .size:           4
        .value_kind:     by_value
      - .offset:         168
        .size:           1
        .value_kind:     by_value
      - .offset:         169
        .size:           1
        .value_kind:     by_value
      - .offset:         170
        .size:           1
        .value_kind:     by_value
    .group_segment_fixed_size: 0
    .kernarg_segment_align: 8
    .kernarg_segment_size: 172
    .language:       OpenCL C
    .language_version:
      - 2
      - 0
    .max_flat_workgroup_size: 1024
    .name:           _ZN9rocsparseL41csrgemm_numeric_fill_block_per_row_kernelILj1024ELj32ELj2048ELj137ELj64Ell21rocsparse_complex_numIdEEEvT5_PKS3_S5_NS_24const_host_device_scalarIT6_EEPKT4_S5_PKS7_SB_S5_SD_S8_SB_S5_SD_SB_S5_PS7_21rocsparse_index_base_SF_SF_SF_bbb
    .private_segment_fixed_size: 40
    .sgpr_count:     47
    .sgpr_spill_count: 0
    .symbol:         _ZN9rocsparseL41csrgemm_numeric_fill_block_per_row_kernelILj1024ELj32ELj2048ELj137ELj64Ell21rocsparse_complex_numIdEEEvT5_PKS3_S5_NS_24const_host_device_scalarIT6_EEPKT4_S5_PKS7_SB_S5_SD_S8_SB_S5_SD_SB_S5_PS7_21rocsparse_index_base_SF_SF_SF_bbb.kd
    .uniform_work_group_size: 1
    .uses_dynamic_stack: false
    .vgpr_count:     38
    .vgpr_spill_count: 0
    .wavefront_size: 32
  - .args:
      - .offset:         0
        .size:           8
        .value_kind:     by_value
      - .actual_access:  read_only
        .address_space:  global
        .offset:         8
        .size:           8
        .value_kind:     global_buffer
      - .actual_access:  read_only
        .address_space:  global
        .offset:         16
        .size:           8
        .value_kind:     global_buffer
      - .offset:         24
        .size:           16
        .value_kind:     by_value
      - .actual_access:  read_only
        .address_space:  global
        .offset:         40
        .size:           8
        .value_kind:     global_buffer
      - .actual_access:  read_only
        .address_space:  global
        .offset:         48
        .size:           8
        .value_kind:     global_buffer
      - .actual_access:  read_only
        .address_space:  global
        .offset:         56
        .size:           8
        .value_kind:     global_buffer
      - .actual_access:  read_only
        .address_space:  global
        .offset:         64
        .size:           8
        .value_kind:     global_buffer
      - .actual_access:  read_only
        .address_space:  global
        .offset:         72
        .size:           8
        .value_kind:     global_buffer
      - .actual_access:  read_only
        .address_space:  global
        .offset:         80
        .size:           8
        .value_kind:     global_buffer
      - .offset:         88
        .size:           16
        .value_kind:     by_value
      - .actual_access:  read_only
        .address_space:  global
        .offset:         104
        .size:           8
        .value_kind:     global_buffer
      - .actual_access:  read_only
        .address_space:  global
        .offset:         112
        .size:           8
        .value_kind:     global_buffer
      - .actual_access:  read_only
        .address_space:  global
        .offset:         120
        .size:           8
        .value_kind:     global_buffer
      - .actual_access:  read_only
        .address_space:  global
        .offset:         128
        .size:           8
        .value_kind:     global_buffer
      - .actual_access:  read_only
        .address_space:  global
        .offset:         136
        .size:           8
        .value_kind:     global_buffer
      - .actual_access:  write_only
        .address_space:  global
        .offset:         144
        .size:           8
        .value_kind:     global_buffer
      - .offset:         152
        .size:           4
        .value_kind:     by_value
      - .offset:         156
        .size:           4
        .value_kind:     by_value
      - .offset:         160
        .size:           4
        .value_kind:     by_value
      - .offset:         164
        .size:           4
        .value_kind:     by_value
      - .offset:         168
        .size:           1
        .value_kind:     by_value
      - .offset:         169
        .size:           1
        .value_kind:     by_value
      - .offset:         170
        .size:           1
        .value_kind:     by_value
    .group_segment_fixed_size: 0
    .kernarg_segment_align: 8
    .kernarg_segment_size: 172
    .language:       OpenCL C
    .language_version:
      - 2
      - 0
    .max_flat_workgroup_size: 1024
    .name:           _ZN9rocsparseL41csrgemm_numeric_fill_block_per_row_kernelILj1024ELj64ELj4096ELj137ELj32Ell21rocsparse_complex_numIdEEEvT5_PKS3_S5_NS_24const_host_device_scalarIT6_EEPKT4_S5_PKS7_SB_S5_SD_S8_SB_S5_SD_SB_S5_PS7_21rocsparse_index_base_SF_SF_SF_bbb
    .private_segment_fixed_size: 40
    .sgpr_count:     78
    .sgpr_spill_count: 0
    .symbol:         _ZN9rocsparseL41csrgemm_numeric_fill_block_per_row_kernelILj1024ELj64ELj4096ELj137ELj32Ell21rocsparse_complex_numIdEEEvT5_PKS3_S5_NS_24const_host_device_scalarIT6_EEPKT4_S5_PKS7_SB_S5_SD_S8_SB_S5_SD_SB_S5_PS7_21rocsparse_index_base_SF_SF_SF_bbb.kd
    .uniform_work_group_size: 1
    .uses_dynamic_stack: false
    .vgpr_count:     38
    .vgpr_spill_count: 0
    .wavefront_size: 32
  - .args:
      - .offset:         0
        .size:           8
        .value_kind:     by_value
      - .actual_access:  read_only
        .address_space:  global
        .offset:         8
        .size:           8
        .value_kind:     global_buffer
      - .actual_access:  read_only
        .address_space:  global
        .offset:         16
        .size:           8
        .value_kind:     global_buffer
      - .offset:         24
        .size:           16
        .value_kind:     by_value
      - .actual_access:  read_only
        .address_space:  global
        .offset:         40
        .size:           8
        .value_kind:     global_buffer
      - .actual_access:  read_only
        .address_space:  global
        .offset:         48
        .size:           8
        .value_kind:     global_buffer
      - .actual_access:  read_only
        .address_space:  global
        .offset:         56
        .size:           8
        .value_kind:     global_buffer
      - .actual_access:  read_only
        .address_space:  global
        .offset:         64
        .size:           8
        .value_kind:     global_buffer
      - .actual_access:  read_only
        .address_space:  global
        .offset:         72
        .size:           8
        .value_kind:     global_buffer
      - .actual_access:  read_only
        .address_space:  global
        .offset:         80
        .size:           8
        .value_kind:     global_buffer
      - .offset:         88
        .size:           16
        .value_kind:     by_value
      - .actual_access:  read_only
        .address_space:  global
        .offset:         104
        .size:           8
        .value_kind:     global_buffer
      - .actual_access:  read_only
        .address_space:  global
        .offset:         112
        .size:           8
        .value_kind:     global_buffer
      - .actual_access:  read_only
        .address_space:  global
        .offset:         120
        .size:           8
        .value_kind:     global_buffer
      - .actual_access:  read_only
        .address_space:  global
        .offset:         128
        .size:           8
        .value_kind:     global_buffer
      - .actual_access:  read_only
        .address_space:  global
        .offset:         136
        .size:           8
        .value_kind:     global_buffer
      - .actual_access:  write_only
        .address_space:  global
        .offset:         144
        .size:           8
        .value_kind:     global_buffer
      - .offset:         152
        .size:           4
        .value_kind:     by_value
      - .offset:         156
        .size:           4
        .value_kind:     by_value
      - .offset:         160
        .size:           4
        .value_kind:     by_value
      - .offset:         164
        .size:           4
        .value_kind:     by_value
      - .offset:         168
        .size:           1
        .value_kind:     by_value
      - .offset:         169
        .size:           1
        .value_kind:     by_value
      - .offset:         170
        .size:           1
        .value_kind:     by_value
    .group_segment_fixed_size: 0
    .kernarg_segment_align: 8
    .kernarg_segment_size: 172
    .language:       OpenCL C
    .language_version:
      - 2
      - 0
    .max_flat_workgroup_size: 1024
    .name:           _ZN9rocsparseL41csrgemm_numeric_fill_block_per_row_kernelILj1024ELj64ELj4096ELj137ELj64Ell21rocsparse_complex_numIdEEEvT5_PKS3_S5_NS_24const_host_device_scalarIT6_EEPKT4_S5_PKS7_SB_S5_SD_S8_SB_S5_SD_SB_S5_PS7_21rocsparse_index_base_SF_SF_SF_bbb
    .private_segment_fixed_size: 40
    .sgpr_count:     47
    .sgpr_spill_count: 0
    .symbol:         _ZN9rocsparseL41csrgemm_numeric_fill_block_per_row_kernelILj1024ELj64ELj4096ELj137ELj64Ell21rocsparse_complex_numIdEEEvT5_PKS3_S5_NS_24const_host_device_scalarIT6_EEPKT4_S5_PKS7_SB_S5_SD_S8_SB_S5_SD_SB_S5_PS7_21rocsparse_index_base_SF_SF_SF_bbb.kd
    .uniform_work_group_size: 1
    .uses_dynamic_stack: false
    .vgpr_count:     40
    .vgpr_spill_count: 0
    .wavefront_size: 32
  - .args:
      - .offset:         0
        .size:           8
        .value_kind:     by_value
      - .actual_access:  read_only
        .address_space:  global
        .offset:         8
        .size:           8
        .value_kind:     global_buffer
      - .actual_access:  read_only
        .address_space:  global
        .offset:         16
        .size:           8
        .value_kind:     global_buffer
      - .offset:         24
        .size:           16
        .value_kind:     by_value
      - .actual_access:  read_only
        .address_space:  global
        .offset:         40
        .size:           8
        .value_kind:     global_buffer
      - .actual_access:  read_only
        .address_space:  global
        .offset:         48
        .size:           8
        .value_kind:     global_buffer
      - .actual_access:  read_only
        .address_space:  global
        .offset:         56
        .size:           8
        .value_kind:     global_buffer
      - .actual_access:  read_only
        .address_space:  global
        .offset:         64
        .size:           8
        .value_kind:     global_buffer
      - .actual_access:  read_only
        .address_space:  global
        .offset:         72
        .size:           8
        .value_kind:     global_buffer
      - .actual_access:  read_only
        .address_space:  global
        .offset:         80
        .size:           8
        .value_kind:     global_buffer
      - .offset:         88
        .size:           16
        .value_kind:     by_value
      - .actual_access:  read_only
        .address_space:  global
        .offset:         104
        .size:           8
        .value_kind:     global_buffer
      - .actual_access:  read_only
        .address_space:  global
        .offset:         112
        .size:           8
        .value_kind:     global_buffer
      - .actual_access:  read_only
        .address_space:  global
        .offset:         120
        .size:           8
        .value_kind:     global_buffer
      - .actual_access:  read_only
        .address_space:  global
        .offset:         128
        .size:           8
        .value_kind:     global_buffer
      - .actual_access:  read_only
        .address_space:  global
        .offset:         136
        .size:           8
        .value_kind:     global_buffer
      - .actual_access:  write_only
        .address_space:  global
        .offset:         144
        .size:           8
        .value_kind:     global_buffer
      - .offset:         152
        .size:           4
        .value_kind:     by_value
      - .offset:         156
        .size:           4
        .value_kind:     by_value
      - .offset:         160
        .size:           4
        .value_kind:     by_value
      - .offset:         164
        .size:           4
        .value_kind:     by_value
      - .offset:         168
        .size:           1
        .value_kind:     by_value
      - .offset:         169
        .size:           1
        .value_kind:     by_value
      - .offset:         170
        .size:           1
        .value_kind:     by_value
    .group_segment_fixed_size: 0
    .kernarg_segment_align: 8
    .kernarg_segment_size: 172
    .language:       OpenCL C
    .language_version:
      - 2
      - 0
    .max_flat_workgroup_size: 1024
    .name:           _ZN9rocsparseL41csrgemm_numeric_fill_block_per_row_kernelILj1024ELj64ELj8192ELj137ELj32Ell21rocsparse_complex_numIdEEEvT5_PKS3_S5_NS_24const_host_device_scalarIT6_EEPKT4_S5_PKS7_SB_S5_SD_S8_SB_S5_SD_SB_S5_PS7_21rocsparse_index_base_SF_SF_SF_bbb
    .private_segment_fixed_size: 40
    .sgpr_count:     78
    .sgpr_spill_count: 0
    .symbol:         _ZN9rocsparseL41csrgemm_numeric_fill_block_per_row_kernelILj1024ELj64ELj8192ELj137ELj32Ell21rocsparse_complex_numIdEEEvT5_PKS3_S5_NS_24const_host_device_scalarIT6_EEPKT4_S5_PKS7_SB_S5_SD_S8_SB_S5_SD_SB_S5_PS7_21rocsparse_index_base_SF_SF_SF_bbb.kd
    .uniform_work_group_size: 1
    .uses_dynamic_stack: false
    .vgpr_count:     36
    .vgpr_spill_count: 0
    .wavefront_size: 32
  - .args:
      - .offset:         0
        .size:           8
        .value_kind:     by_value
      - .actual_access:  read_only
        .address_space:  global
        .offset:         8
        .size:           8
        .value_kind:     global_buffer
      - .actual_access:  read_only
        .address_space:  global
        .offset:         16
        .size:           8
        .value_kind:     global_buffer
      - .offset:         24
        .size:           16
        .value_kind:     by_value
      - .actual_access:  read_only
        .address_space:  global
        .offset:         40
        .size:           8
        .value_kind:     global_buffer
      - .actual_access:  read_only
        .address_space:  global
        .offset:         48
        .size:           8
        .value_kind:     global_buffer
      - .actual_access:  read_only
        .address_space:  global
        .offset:         56
        .size:           8
        .value_kind:     global_buffer
      - .actual_access:  read_only
        .address_space:  global
        .offset:         64
        .size:           8
        .value_kind:     global_buffer
      - .actual_access:  read_only
        .address_space:  global
        .offset:         72
        .size:           8
        .value_kind:     global_buffer
      - .actual_access:  read_only
        .address_space:  global
        .offset:         80
        .size:           8
        .value_kind:     global_buffer
      - .offset:         88
        .size:           16
        .value_kind:     by_value
      - .actual_access:  read_only
        .address_space:  global
        .offset:         104
        .size:           8
        .value_kind:     global_buffer
      - .actual_access:  read_only
        .address_space:  global
        .offset:         112
        .size:           8
        .value_kind:     global_buffer
      - .actual_access:  read_only
        .address_space:  global
        .offset:         120
        .size:           8
        .value_kind:     global_buffer
      - .actual_access:  read_only
        .address_space:  global
        .offset:         128
        .size:           8
        .value_kind:     global_buffer
      - .actual_access:  read_only
        .address_space:  global
        .offset:         136
        .size:           8
        .value_kind:     global_buffer
      - .actual_access:  write_only
        .address_space:  global
        .offset:         144
        .size:           8
        .value_kind:     global_buffer
      - .offset:         152
        .size:           4
        .value_kind:     by_value
      - .offset:         156
        .size:           4
        .value_kind:     by_value
      - .offset:         160
        .size:           4
        .value_kind:     by_value
      - .offset:         164
        .size:           4
        .value_kind:     by_value
      - .offset:         168
        .size:           1
        .value_kind:     by_value
      - .offset:         169
        .size:           1
        .value_kind:     by_value
      - .offset:         170
        .size:           1
        .value_kind:     by_value
    .group_segment_fixed_size: 0
    .kernarg_segment_align: 8
    .kernarg_segment_size: 172
    .language:       OpenCL C
    .language_version:
      - 2
      - 0
    .max_flat_workgroup_size: 1024
    .name:           _ZN9rocsparseL41csrgemm_numeric_fill_block_per_row_kernelILj1024ELj64ELj8192ELj137ELj64Ell21rocsparse_complex_numIdEEEvT5_PKS3_S5_NS_24const_host_device_scalarIT6_EEPKT4_S5_PKS7_SB_S5_SD_S8_SB_S5_SD_SB_S5_PS7_21rocsparse_index_base_SF_SF_SF_bbb
    .private_segment_fixed_size: 40
    .sgpr_count:     46
    .sgpr_spill_count: 0
    .symbol:         _ZN9rocsparseL41csrgemm_numeric_fill_block_per_row_kernelILj1024ELj64ELj8192ELj137ELj64Ell21rocsparse_complex_numIdEEEvT5_PKS3_S5_NS_24const_host_device_scalarIT6_EEPKT4_S5_PKS7_SB_S5_SD_S8_SB_S5_SD_SB_S5_PS7_21rocsparse_index_base_SF_SF_SF_bbb.kd
    .uniform_work_group_size: 1
    .uses_dynamic_stack: false
    .vgpr_count:     38
    .vgpr_spill_count: 0
    .wavefront_size: 32
  - .args:
      - .offset:         0
        .size:           8
        .value_kind:     by_value
      - .actual_access:  read_only
        .address_space:  global
        .offset:         8
        .size:           8
        .value_kind:     global_buffer
      - .actual_access:  read_only
        .address_space:  global
        .offset:         16
        .size:           8
        .value_kind:     global_buffer
      - .offset:         24
        .size:           16
        .value_kind:     by_value
      - .actual_access:  read_only
        .address_space:  global
        .offset:         40
        .size:           8
        .value_kind:     global_buffer
      - .actual_access:  read_only
        .address_space:  global
        .offset:         48
        .size:           8
        .value_kind:     global_buffer
      - .actual_access:  read_only
        .address_space:  global
        .offset:         56
        .size:           8
        .value_kind:     global_buffer
      - .actual_access:  read_only
        .address_space:  global
        .offset:         64
        .size:           8
        .value_kind:     global_buffer
      - .actual_access:  read_only
        .address_space:  global
        .offset:         72
        .size:           8
        .value_kind:     global_buffer
      - .actual_access:  read_only
        .address_space:  global
        .offset:         80
        .size:           8
        .value_kind:     global_buffer
      - .offset:         88
        .size:           16
        .value_kind:     by_value
      - .actual_access:  read_only
        .address_space:  global
        .offset:         104
        .size:           8
        .value_kind:     global_buffer
      - .actual_access:  read_only
        .address_space:  global
        .offset:         112
        .size:           8
        .value_kind:     global_buffer
      - .actual_access:  read_only
        .address_space:  global
        .offset:         120
        .size:           8
        .value_kind:     global_buffer
      - .actual_access:  read_only
        .address_space:  global
        .offset:         128
        .size:           8
        .value_kind:     global_buffer
      - .actual_access:  read_only
        .address_space:  global
        .offset:         136
        .size:           8
        .value_kind:     global_buffer
      - .actual_access:  write_only
        .address_space:  global
        .offset:         144
        .size:           8
        .value_kind:     global_buffer
      - .offset:         152
        .size:           4
        .value_kind:     by_value
      - .offset:         156
        .size:           4
        .value_kind:     by_value
      - .offset:         160
        .size:           4
        .value_kind:     by_value
      - .offset:         164
        .size:           4
        .value_kind:     by_value
      - .offset:         168
        .size:           1
        .value_kind:     by_value
      - .offset:         169
        .size:           1
        .value_kind:     by_value
      - .offset:         170
        .size:           1
        .value_kind:     by_value
    .group_segment_fixed_size: 0
    .kernarg_segment_align: 8
    .kernarg_segment_size: 172
    .language:       OpenCL C
    .language_version:
      - 2
      - 0
    .max_flat_workgroup_size: 1024
    .name:           _ZN9rocsparseL41csrgemm_numeric_fill_block_per_row_kernelILj1024ELj64ELj16384ELj137ELj32Ell21rocsparse_complex_numIdEEEvT5_PKS3_S5_NS_24const_host_device_scalarIT6_EEPKT4_S5_PKS7_SB_S5_SD_S8_SB_S5_SD_SB_S5_PS7_21rocsparse_index_base_SF_SF_SF_bbb
    .private_segment_fixed_size: 40
    .sgpr_count:     78
    .sgpr_spill_count: 0
    .symbol:         _ZN9rocsparseL41csrgemm_numeric_fill_block_per_row_kernelILj1024ELj64ELj16384ELj137ELj32Ell21rocsparse_complex_numIdEEEvT5_PKS3_S5_NS_24const_host_device_scalarIT6_EEPKT4_S5_PKS7_SB_S5_SD_S8_SB_S5_SD_SB_S5_PS7_21rocsparse_index_base_SF_SF_SF_bbb.kd
    .uniform_work_group_size: 1
    .uses_dynamic_stack: false
    .vgpr_count:     38
    .vgpr_spill_count: 0
    .wavefront_size: 32
  - .args:
      - .offset:         0
        .size:           8
        .value_kind:     by_value
      - .actual_access:  read_only
        .address_space:  global
        .offset:         8
        .size:           8
        .value_kind:     global_buffer
      - .actual_access:  read_only
        .address_space:  global
        .offset:         16
        .size:           8
        .value_kind:     global_buffer
      - .offset:         24
        .size:           16
        .value_kind:     by_value
      - .actual_access:  read_only
        .address_space:  global
        .offset:         40
        .size:           8
        .value_kind:     global_buffer
      - .actual_access:  read_only
        .address_space:  global
        .offset:         48
        .size:           8
        .value_kind:     global_buffer
      - .actual_access:  read_only
        .address_space:  global
        .offset:         56
        .size:           8
        .value_kind:     global_buffer
      - .actual_access:  read_only
        .address_space:  global
        .offset:         64
        .size:           8
        .value_kind:     global_buffer
      - .actual_access:  read_only
        .address_space:  global
        .offset:         72
        .size:           8
        .value_kind:     global_buffer
      - .actual_access:  read_only
        .address_space:  global
        .offset:         80
        .size:           8
        .value_kind:     global_buffer
      - .offset:         88
        .size:           16
        .value_kind:     by_value
      - .actual_access:  read_only
        .address_space:  global
        .offset:         104
        .size:           8
        .value_kind:     global_buffer
      - .actual_access:  read_only
        .address_space:  global
        .offset:         112
        .size:           8
        .value_kind:     global_buffer
      - .actual_access:  read_only
        .address_space:  global
        .offset:         120
        .size:           8
        .value_kind:     global_buffer
      - .actual_access:  read_only
        .address_space:  global
        .offset:         128
        .size:           8
        .value_kind:     global_buffer
      - .actual_access:  read_only
        .address_space:  global
        .offset:         136
        .size:           8
        .value_kind:     global_buffer
      - .actual_access:  write_only
        .address_space:  global
        .offset:         144
        .size:           8
        .value_kind:     global_buffer
      - .offset:         152
        .size:           4
        .value_kind:     by_value
      - .offset:         156
        .size:           4
        .value_kind:     by_value
      - .offset:         160
        .size:           4
        .value_kind:     by_value
      - .offset:         164
        .size:           4
        .value_kind:     by_value
      - .offset:         168
        .size:           1
        .value_kind:     by_value
      - .offset:         169
        .size:           1
        .value_kind:     by_value
      - .offset:         170
        .size:           1
        .value_kind:     by_value
    .group_segment_fixed_size: 0
    .kernarg_segment_align: 8
    .kernarg_segment_size: 172
    .language:       OpenCL C
    .language_version:
      - 2
      - 0
    .max_flat_workgroup_size: 1024
    .name:           _ZN9rocsparseL41csrgemm_numeric_fill_block_per_row_kernelILj1024ELj64ELj16384ELj137ELj64Ell21rocsparse_complex_numIdEEEvT5_PKS3_S5_NS_24const_host_device_scalarIT6_EEPKT4_S5_PKS7_SB_S5_SD_S8_SB_S5_SD_SB_S5_PS7_21rocsparse_index_base_SF_SF_SF_bbb
    .private_segment_fixed_size: 40
    .sgpr_count:     47
    .sgpr_spill_count: 0
    .symbol:         _ZN9rocsparseL41csrgemm_numeric_fill_block_per_row_kernelILj1024ELj64ELj16384ELj137ELj64Ell21rocsparse_complex_numIdEEEvT5_PKS3_S5_NS_24const_host_device_scalarIT6_EEPKT4_S5_PKS7_SB_S5_SD_S8_SB_S5_SD_SB_S5_PS7_21rocsparse_index_base_SF_SF_SF_bbb.kd
    .uniform_work_group_size: 1
    .uses_dynamic_stack: false
    .vgpr_count:     40
    .vgpr_spill_count: 0
    .wavefront_size: 32
  - .args:
      - .offset:         0
        .size:           8
        .value_kind:     by_value
      - .actual_access:  read_only
        .address_space:  global
        .offset:         8
        .size:           8
        .value_kind:     global_buffer
      - .actual_access:  read_only
        .address_space:  global
        .offset:         16
        .size:           8
        .value_kind:     global_buffer
      - .offset:         24
        .size:           16
        .value_kind:     by_value
      - .actual_access:  read_only
        .address_space:  global
        .offset:         40
        .size:           8
        .value_kind:     global_buffer
      - .actual_access:  read_only
        .address_space:  global
        .offset:         48
        .size:           8
        .value_kind:     global_buffer
      - .actual_access:  read_only
        .address_space:  global
        .offset:         56
        .size:           8
        .value_kind:     global_buffer
      - .actual_access:  read_only
        .address_space:  global
        .offset:         64
        .size:           8
        .value_kind:     global_buffer
      - .actual_access:  read_only
        .address_space:  global
        .offset:         72
        .size:           8
        .value_kind:     global_buffer
      - .actual_access:  read_only
        .address_space:  global
        .offset:         80
        .size:           8
        .value_kind:     global_buffer
      - .offset:         88
        .size:           16
        .value_kind:     by_value
      - .actual_access:  read_only
        .address_space:  global
        .offset:         104
        .size:           8
        .value_kind:     global_buffer
      - .actual_access:  read_only
        .address_space:  global
        .offset:         112
        .size:           8
        .value_kind:     global_buffer
      - .actual_access:  read_only
        .address_space:  global
        .offset:         120
        .size:           8
        .value_kind:     global_buffer
      - .actual_access:  read_only
        .address_space:  global
        .offset:         128
        .size:           8
        .value_kind:     global_buffer
      - .actual_access:  read_only
        .address_space:  global
        .offset:         136
        .size:           8
        .value_kind:     global_buffer
      - .actual_access:  write_only
        .address_space:  global
        .offset:         144
        .size:           8
        .value_kind:     global_buffer
      - .offset:         152
        .size:           4
        .value_kind:     by_value
      - .offset:         156
        .size:           4
        .value_kind:     by_value
      - .offset:         160
        .size:           4
        .value_kind:     by_value
      - .offset:         164
        .size:           4
        .value_kind:     by_value
      - .offset:         168
        .size:           1
        .value_kind:     by_value
      - .offset:         169
        .size:           1
        .value_kind:     by_value
      - .offset:         170
        .size:           1
        .value_kind:     by_value
    .group_segment_fixed_size: 0
    .kernarg_segment_align: 8
    .kernarg_segment_size: 172
    .language:       OpenCL C
    .language_version:
      - 2
      - 0
    .max_flat_workgroup_size: 1024
    .name:           _ZN9rocsparseL41csrgemm_numeric_fill_block_per_row_kernelILj1024ELj64ELj32768ELj137ELj32Ell21rocsparse_complex_numIdEEEvT5_PKS3_S5_NS_24const_host_device_scalarIT6_EEPKT4_S5_PKS7_SB_S5_SD_S8_SB_S5_SD_SB_S5_PS7_21rocsparse_index_base_SF_SF_SF_bbb
    .private_segment_fixed_size: 40
    .sgpr_count:     78
    .sgpr_spill_count: 0
    .symbol:         _ZN9rocsparseL41csrgemm_numeric_fill_block_per_row_kernelILj1024ELj64ELj32768ELj137ELj32Ell21rocsparse_complex_numIdEEEvT5_PKS3_S5_NS_24const_host_device_scalarIT6_EEPKT4_S5_PKS7_SB_S5_SD_S8_SB_S5_SD_SB_S5_PS7_21rocsparse_index_base_SF_SF_SF_bbb.kd
    .uniform_work_group_size: 1
    .uses_dynamic_stack: false
    .vgpr_count:     38
    .vgpr_spill_count: 0
    .wavefront_size: 32
  - .args:
      - .offset:         0
        .size:           8
        .value_kind:     by_value
      - .actual_access:  read_only
        .address_space:  global
        .offset:         8
        .size:           8
        .value_kind:     global_buffer
      - .actual_access:  read_only
        .address_space:  global
        .offset:         16
        .size:           8
        .value_kind:     global_buffer
      - .offset:         24
        .size:           16
        .value_kind:     by_value
      - .actual_access:  read_only
        .address_space:  global
        .offset:         40
        .size:           8
        .value_kind:     global_buffer
      - .actual_access:  read_only
        .address_space:  global
        .offset:         48
        .size:           8
        .value_kind:     global_buffer
      - .actual_access:  read_only
        .address_space:  global
        .offset:         56
        .size:           8
        .value_kind:     global_buffer
      - .actual_access:  read_only
        .address_space:  global
        .offset:         64
        .size:           8
        .value_kind:     global_buffer
      - .actual_access:  read_only
        .address_space:  global
        .offset:         72
        .size:           8
        .value_kind:     global_buffer
      - .actual_access:  read_only
        .address_space:  global
        .offset:         80
        .size:           8
        .value_kind:     global_buffer
      - .offset:         88
        .size:           16
        .value_kind:     by_value
      - .actual_access:  read_only
        .address_space:  global
        .offset:         104
        .size:           8
        .value_kind:     global_buffer
      - .actual_access:  read_only
        .address_space:  global
        .offset:         112
        .size:           8
        .value_kind:     global_buffer
      - .actual_access:  read_only
        .address_space:  global
        .offset:         120
        .size:           8
        .value_kind:     global_buffer
      - .actual_access:  read_only
        .address_space:  global
        .offset:         128
        .size:           8
        .value_kind:     global_buffer
      - .actual_access:  read_only
        .address_space:  global
        .offset:         136
        .size:           8
        .value_kind:     global_buffer
      - .actual_access:  write_only
        .address_space:  global
        .offset:         144
        .size:           8
        .value_kind:     global_buffer
      - .offset:         152
        .size:           4
        .value_kind:     by_value
      - .offset:         156
        .size:           4
        .value_kind:     by_value
      - .offset:         160
        .size:           4
        .value_kind:     by_value
      - .offset:         164
        .size:           4
        .value_kind:     by_value
      - .offset:         168
        .size:           1
        .value_kind:     by_value
      - .offset:         169
        .size:           1
        .value_kind:     by_value
      - .offset:         170
        .size:           1
        .value_kind:     by_value
    .group_segment_fixed_size: 0
    .kernarg_segment_align: 8
    .kernarg_segment_size: 172
    .language:       OpenCL C
    .language_version:
      - 2
      - 0
    .max_flat_workgroup_size: 1024
    .name:           _ZN9rocsparseL41csrgemm_numeric_fill_block_per_row_kernelILj1024ELj64ELj32768ELj137ELj64Ell21rocsparse_complex_numIdEEEvT5_PKS3_S5_NS_24const_host_device_scalarIT6_EEPKT4_S5_PKS7_SB_S5_SD_S8_SB_S5_SD_SB_S5_PS7_21rocsparse_index_base_SF_SF_SF_bbb
    .private_segment_fixed_size: 40
    .sgpr_count:     47
    .sgpr_spill_count: 0
    .symbol:         _ZN9rocsparseL41csrgemm_numeric_fill_block_per_row_kernelILj1024ELj64ELj32768ELj137ELj64Ell21rocsparse_complex_numIdEEEvT5_PKS3_S5_NS_24const_host_device_scalarIT6_EEPKT4_S5_PKS7_SB_S5_SD_S8_SB_S5_SD_SB_S5_PS7_21rocsparse_index_base_SF_SF_SF_bbb.kd
    .uniform_work_group_size: 1
    .uses_dynamic_stack: false
    .vgpr_count:     40
    .vgpr_spill_count: 0
    .wavefront_size: 32
  - .args:
      - .offset:         0
        .size:           8
        .value_kind:     by_value
      - .actual_access:  read_only
        .address_space:  global
        .offset:         8
        .size:           8
        .value_kind:     global_buffer
      - .actual_access:  read_only
        .address_space:  global
        .offset:         16
        .size:           8
        .value_kind:     global_buffer
      - .offset:         24
        .size:           16
        .value_kind:     by_value
      - .actual_access:  read_only
        .address_space:  global
        .offset:         40
        .size:           8
        .value_kind:     global_buffer
      - .actual_access:  read_only
        .address_space:  global
        .offset:         48
        .size:           8
        .value_kind:     global_buffer
      - .actual_access:  read_only
        .address_space:  global
        .offset:         56
        .size:           8
        .value_kind:     global_buffer
      - .actual_access:  read_only
        .address_space:  global
        .offset:         64
        .size:           8
        .value_kind:     global_buffer
      - .actual_access:  read_only
        .address_space:  global
        .offset:         72
        .size:           8
        .value_kind:     global_buffer
      - .actual_access:  read_only
        .address_space:  global
        .offset:         80
        .size:           8
        .value_kind:     global_buffer
      - .offset:         88
        .size:           16
        .value_kind:     by_value
      - .actual_access:  read_only
        .address_space:  global
        .offset:         104
        .size:           8
        .value_kind:     global_buffer
      - .actual_access:  read_only
        .address_space:  global
        .offset:         112
        .size:           8
        .value_kind:     global_buffer
      - .actual_access:  read_only
        .address_space:  global
        .offset:         120
        .size:           8
        .value_kind:     global_buffer
      - .actual_access:  read_only
        .address_space:  global
        .offset:         128
        .size:           8
        .value_kind:     global_buffer
      - .actual_access:  read_only
        .address_space:  global
        .offset:         136
        .size:           8
        .value_kind:     global_buffer
      - .actual_access:  write_only
        .address_space:  global
        .offset:         144
        .size:           8
        .value_kind:     global_buffer
      - .address_space:  global
        .offset:         152
        .size:           8
        .value_kind:     global_buffer
      - .offset:         160
        .size:           4
        .value_kind:     by_value
      - .offset:         164
        .size:           4
        .value_kind:     by_value
      - .offset:         168
        .size:           4
        .value_kind:     by_value
      - .offset:         172
        .size:           4
        .value_kind:     by_value
      - .offset:         176
        .size:           1
        .value_kind:     by_value
      - .offset:         177
        .size:           1
        .value_kind:     by_value
      - .offset:         178
        .size:           1
        .value_kind:     by_value
    .group_segment_fixed_size: 43016
    .kernarg_segment_align: 8
    .kernarg_segment_size: 180
    .language:       OpenCL C
    .language_version:
      - 2
      - 0
    .max_flat_workgroup_size: 512
    .name:           _ZN9rocsparseL51csrgemm_numeric_fill_block_per_row_multipass_kernelILj512ELj16ELj2048ELj32Ell21rocsparse_complex_numIdEEEvT4_PKS3_S5_NS_24const_host_device_scalarIT5_EEPKT3_S5_PKS7_SB_S5_SD_S8_SB_S5_SD_SB_S5_PS7_PS9_21rocsparse_index_base_SG_SG_SG_bbb
    .private_segment_fixed_size: 24
    .sgpr_count:     63
    .sgpr_spill_count: 0
    .symbol:         _ZN9rocsparseL51csrgemm_numeric_fill_block_per_row_multipass_kernelILj512ELj16ELj2048ELj32Ell21rocsparse_complex_numIdEEEvT4_PKS3_S5_NS_24const_host_device_scalarIT5_EEPKT3_S5_PKS7_SB_S5_SD_S8_SB_S5_SD_SB_S5_PS7_PS9_21rocsparse_index_base_SG_SG_SG_bbb.kd
    .uniform_work_group_size: 1
    .uses_dynamic_stack: false
    .vgpr_count:     62
    .vgpr_spill_count: 0
    .wavefront_size: 32
  - .args:
      - .offset:         0
        .size:           8
        .value_kind:     by_value
      - .actual_access:  read_only
        .address_space:  global
        .offset:         8
        .size:           8
        .value_kind:     global_buffer
      - .actual_access:  read_only
        .address_space:  global
        .offset:         16
        .size:           8
        .value_kind:     global_buffer
      - .offset:         24
        .size:           16
        .value_kind:     by_value
      - .actual_access:  read_only
        .address_space:  global
        .offset:         40
        .size:           8
        .value_kind:     global_buffer
      - .actual_access:  read_only
        .address_space:  global
        .offset:         48
        .size:           8
        .value_kind:     global_buffer
      - .actual_access:  read_only
        .address_space:  global
        .offset:         56
        .size:           8
        .value_kind:     global_buffer
      - .actual_access:  read_only
        .address_space:  global
        .offset:         64
        .size:           8
        .value_kind:     global_buffer
      - .actual_access:  read_only
        .address_space:  global
        .offset:         72
        .size:           8
        .value_kind:     global_buffer
      - .actual_access:  read_only
        .address_space:  global
        .offset:         80
        .size:           8
        .value_kind:     global_buffer
      - .offset:         88
        .size:           16
        .value_kind:     by_value
      - .actual_access:  read_only
        .address_space:  global
        .offset:         104
        .size:           8
        .value_kind:     global_buffer
      - .actual_access:  read_only
        .address_space:  global
        .offset:         112
        .size:           8
        .value_kind:     global_buffer
      - .actual_access:  read_only
        .address_space:  global
        .offset:         120
        .size:           8
        .value_kind:     global_buffer
      - .actual_access:  read_only
        .address_space:  global
        .offset:         128
        .size:           8
        .value_kind:     global_buffer
      - .actual_access:  read_only
        .address_space:  global
        .offset:         136
        .size:           8
        .value_kind:     global_buffer
      - .actual_access:  write_only
        .address_space:  global
        .offset:         144
        .size:           8
        .value_kind:     global_buffer
      - .address_space:  global
        .offset:         152
        .size:           8
        .value_kind:     global_buffer
      - .offset:         160
        .size:           4
        .value_kind:     by_value
      - .offset:         164
        .size:           4
        .value_kind:     by_value
      - .offset:         168
        .size:           4
        .value_kind:     by_value
      - .offset:         172
        .size:           4
        .value_kind:     by_value
      - .offset:         176
        .size:           1
        .value_kind:     by_value
      - .offset:         177
        .size:           1
        .value_kind:     by_value
      - .offset:         178
        .size:           1
        .value_kind:     by_value
    .group_segment_fixed_size: 43016
    .kernarg_segment_align: 8
    .kernarg_segment_size: 180
    .language:       OpenCL C
    .language_version:
      - 2
      - 0
    .max_flat_workgroup_size: 512
    .name:           _ZN9rocsparseL51csrgemm_numeric_fill_block_per_row_multipass_kernelILj512ELj16ELj2048ELj64Ell21rocsparse_complex_numIdEEEvT4_PKS3_S5_NS_24const_host_device_scalarIT5_EEPKT3_S5_PKS7_SB_S5_SD_S8_SB_S5_SD_SB_S5_PS7_PS9_21rocsparse_index_base_SG_SG_SG_bbb
    .private_segment_fixed_size: 24
    .sgpr_count:     55
    .sgpr_spill_count: 0
    .symbol:         _ZN9rocsparseL51csrgemm_numeric_fill_block_per_row_multipass_kernelILj512ELj16ELj2048ELj64Ell21rocsparse_complex_numIdEEEvT4_PKS3_S5_NS_24const_host_device_scalarIT5_EEPKT3_S5_PKS7_SB_S5_SD_S8_SB_S5_SD_SB_S5_PS7_PS9_21rocsparse_index_base_SG_SG_SG_bbb.kd
    .uniform_work_group_size: 1
    .uses_dynamic_stack: false
    .vgpr_count:     62
    .vgpr_spill_count: 0
    .wavefront_size: 32
  - .args:
      - .offset:         0
        .size:           4
        .value_kind:     by_value
      - .offset:         4
        .size:           4
        .value_kind:     by_value
      - .actual_access:  read_only
        .address_space:  global
        .offset:         8
        .size:           8
        .value_kind:     global_buffer
      - .actual_access:  read_only
        .address_space:  global
        .offset:         16
        .size:           8
        .value_kind:     global_buffer
      - .offset:         24
        .size:           8
        .value_kind:     by_value
      - .actual_access:  read_only
        .address_space:  global
        .offset:         32
        .size:           8
        .value_kind:     global_buffer
      - .actual_access:  read_only
        .address_space:  global
        .offset:         40
        .size:           8
        .value_kind:     global_buffer
      - .actual_access:  read_only
        .address_space:  global
        .offset:         48
        .size:           8
        .value_kind:     global_buffer
      - .actual_access:  read_only
        .address_space:  global
        .offset:         56
        .size:           8
        .value_kind:     global_buffer
      - .actual_access:  read_only
        .address_space:  global
        .offset:         64
        .size:           8
        .value_kind:     global_buffer
      - .actual_access:  read_only
        .address_space:  global
        .offset:         72
        .size:           8
        .value_kind:     global_buffer
      - .offset:         80
        .size:           8
        .value_kind:     by_value
      - .actual_access:  read_only
        .address_space:  global
        .offset:         88
        .size:           8
        .value_kind:     global_buffer
      - .actual_access:  read_only
        .address_space:  global
        .offset:         96
        .size:           8
        .value_kind:     global_buffer
      - .actual_access:  read_only
        .address_space:  global
        .offset:         104
        .size:           8
        .value_kind:     global_buffer
      - .actual_access:  read_only
        .address_space:  global
        .offset:         112
        .size:           8
        .value_kind:     global_buffer
      - .actual_access:  read_only
        .address_space:  global
        .offset:         120
        .size:           8
        .value_kind:     global_buffer
      - .actual_access:  write_only
        .address_space:  global
        .offset:         128
        .size:           8
        .value_kind:     global_buffer
      - .offset:         136
        .size:           4
        .value_kind:     by_value
      - .offset:         140
        .size:           4
        .value_kind:     by_value
      - .offset:         144
        .size:           4
        .value_kind:     by_value
      - .offset:         148
        .size:           4
        .value_kind:     by_value
      - .offset:         152
        .size:           1
        .value_kind:     by_value
      - .offset:         153
        .size:           1
        .value_kind:     by_value
      - .offset:         154
        .size:           1
        .value_kind:     by_value
    .group_segment_fixed_size: 4096
    .kernarg_segment_align: 8
    .kernarg_segment_size: 156
    .language:       OpenCL C
    .language_version:
      - 2
      - 0
    .max_flat_workgroup_size: 256
    .name:           _ZN9rocsparseL38csrgemm_numeric_fill_wf_per_row_kernelILj256ELj8ELj16ELj137ElifEEvT4_S1_PKS1_S3_NS_24const_host_device_scalarIT5_EEPKT3_S3_PKS5_S9_S3_SB_S6_S9_S3_SB_S9_S3_PS5_21rocsparse_index_base_SD_SD_SD_bbb
    .private_segment_fixed_size: 0
    .sgpr_count:     42
    .sgpr_spill_count: 0
    .symbol:         _ZN9rocsparseL38csrgemm_numeric_fill_wf_per_row_kernelILj256ELj8ELj16ELj137ElifEEvT4_S1_PKS1_S3_NS_24const_host_device_scalarIT5_EEPKT3_S3_PKS5_S9_S3_SB_S6_S9_S3_SB_S9_S3_PS5_21rocsparse_index_base_SD_SD_SD_bbb.kd
    .uniform_work_group_size: 1
    .uses_dynamic_stack: false
    .vgpr_count:     21
    .vgpr_spill_count: 0
    .wavefront_size: 32
  - .args:
      - .offset:         0
        .size:           4
        .value_kind:     by_value
      - .offset:         4
        .size:           4
        .value_kind:     by_value
      - .actual_access:  read_only
        .address_space:  global
        .offset:         8
        .size:           8
        .value_kind:     global_buffer
      - .actual_access:  read_only
        .address_space:  global
        .offset:         16
        .size:           8
        .value_kind:     global_buffer
      - .offset:         24
        .size:           8
        .value_kind:     by_value
      - .actual_access:  read_only
        .address_space:  global
        .offset:         32
        .size:           8
        .value_kind:     global_buffer
      - .actual_access:  read_only
        .address_space:  global
        .offset:         40
        .size:           8
        .value_kind:     global_buffer
      - .actual_access:  read_only
        .address_space:  global
        .offset:         48
        .size:           8
        .value_kind:     global_buffer
      - .actual_access:  read_only
        .address_space:  global
        .offset:         56
        .size:           8
        .value_kind:     global_buffer
      - .actual_access:  read_only
        .address_space:  global
        .offset:         64
        .size:           8
        .value_kind:     global_buffer
      - .actual_access:  read_only
        .address_space:  global
        .offset:         72
        .size:           8
        .value_kind:     global_buffer
      - .offset:         80
        .size:           8
        .value_kind:     by_value
      - .actual_access:  read_only
        .address_space:  global
        .offset:         88
        .size:           8
        .value_kind:     global_buffer
      - .actual_access:  read_only
        .address_space:  global
        .offset:         96
        .size:           8
        .value_kind:     global_buffer
      - .actual_access:  read_only
        .address_space:  global
        .offset:         104
        .size:           8
        .value_kind:     global_buffer
      - .actual_access:  read_only
        .address_space:  global
        .offset:         112
        .size:           8
        .value_kind:     global_buffer
      - .actual_access:  read_only
        .address_space:  global
        .offset:         120
        .size:           8
        .value_kind:     global_buffer
      - .actual_access:  write_only
        .address_space:  global
        .offset:         128
        .size:           8
        .value_kind:     global_buffer
      - .offset:         136
        .size:           4
        .value_kind:     by_value
      - .offset:         140
        .size:           4
        .value_kind:     by_value
      - .offset:         144
        .size:           4
        .value_kind:     by_value
      - .offset:         148
        .size:           4
        .value_kind:     by_value
      - .offset:         152
        .size:           1
        .value_kind:     by_value
      - .offset:         153
        .size:           1
        .value_kind:     by_value
      - .offset:         154
        .size:           1
        .value_kind:     by_value
    .group_segment_fixed_size: 4096
    .kernarg_segment_align: 8
    .kernarg_segment_size: 156
    .language:       OpenCL C
    .language_version:
      - 2
      - 0
    .max_flat_workgroup_size: 256
    .name:           _ZN9rocsparseL38csrgemm_numeric_fill_wf_per_row_kernelILj256ELj16ELj32ELj137ElifEEvT4_S1_PKS1_S3_NS_24const_host_device_scalarIT5_EEPKT3_S3_PKS5_S9_S3_SB_S6_S9_S3_SB_S9_S3_PS5_21rocsparse_index_base_SD_SD_SD_bbb
    .private_segment_fixed_size: 0
    .sgpr_count:     42
    .sgpr_spill_count: 0
    .symbol:         _ZN9rocsparseL38csrgemm_numeric_fill_wf_per_row_kernelILj256ELj16ELj32ELj137ElifEEvT4_S1_PKS1_S3_NS_24const_host_device_scalarIT5_EEPKT3_S3_PKS5_S9_S3_SB_S6_S9_S3_SB_S9_S3_PS5_21rocsparse_index_base_SD_SD_SD_bbb.kd
    .uniform_work_group_size: 1
    .uses_dynamic_stack: false
    .vgpr_count:     21
    .vgpr_spill_count: 0
    .wavefront_size: 32
  - .args:
      - .offset:         0
        .size:           4
        .value_kind:     by_value
      - .actual_access:  read_only
        .address_space:  global
        .offset:         8
        .size:           8
        .value_kind:     global_buffer
      - .actual_access:  read_only
        .address_space:  global
        .offset:         16
        .size:           8
        .value_kind:     global_buffer
      - .offset:         24
        .size:           8
        .value_kind:     by_value
      - .actual_access:  read_only
        .address_space:  global
        .offset:         32
        .size:           8
        .value_kind:     global_buffer
      - .actual_access:  read_only
        .address_space:  global
        .offset:         40
        .size:           8
        .value_kind:     global_buffer
      - .actual_access:  read_only
        .address_space:  global
        .offset:         48
        .size:           8
        .value_kind:     global_buffer
      - .actual_access:  read_only
        .address_space:  global
        .offset:         56
        .size:           8
        .value_kind:     global_buffer
      - .actual_access:  read_only
        .address_space:  global
        .offset:         64
        .size:           8
        .value_kind:     global_buffer
      - .actual_access:  read_only
        .address_space:  global
        .offset:         72
        .size:           8
        .value_kind:     global_buffer
      - .offset:         80
        .size:           8
        .value_kind:     by_value
      - .actual_access:  read_only
        .address_space:  global
        .offset:         88
        .size:           8
        .value_kind:     global_buffer
      - .actual_access:  read_only
        .address_space:  global
        .offset:         96
        .size:           8
        .value_kind:     global_buffer
      - .actual_access:  read_only
        .address_space:  global
        .offset:         104
        .size:           8
        .value_kind:     global_buffer
      - .actual_access:  read_only
        .address_space:  global
        .offset:         112
        .size:           8
        .value_kind:     global_buffer
      - .actual_access:  read_only
        .address_space:  global
        .offset:         120
        .size:           8
        .value_kind:     global_buffer
      - .actual_access:  write_only
        .address_space:  global
        .offset:         128
        .size:           8
        .value_kind:     global_buffer
      - .offset:         136
        .size:           4
        .value_kind:     by_value
      - .offset:         140
        .size:           4
        .value_kind:     by_value
      - .offset:         144
        .size:           4
        .value_kind:     by_value
      - .offset:         148
        .size:           4
        .value_kind:     by_value
      - .offset:         152
        .size:           1
        .value_kind:     by_value
      - .offset:         153
        .size:           1
        .value_kind:     by_value
      - .offset:         154
        .size:           1
        .value_kind:     by_value
    .group_segment_fixed_size: 0
    .kernarg_segment_align: 8
    .kernarg_segment_size: 156
    .language:       OpenCL C
    .language_version:
      - 2
      - 0
    .max_flat_workgroup_size: 128
    .name:           _ZN9rocsparseL41csrgemm_numeric_fill_block_per_row_kernelILj128ELj16ELj256ELj137ELj32ElifEEvT5_PKS1_S3_NS_24const_host_device_scalarIT6_EEPKT4_S3_PKS5_S9_S3_SB_S6_S9_S3_SB_S9_S3_PS5_21rocsparse_index_base_SD_SD_SD_bbb
    .private_segment_fixed_size: 0
    .sgpr_count:     46
    .sgpr_spill_count: 0
    .symbol:         _ZN9rocsparseL41csrgemm_numeric_fill_block_per_row_kernelILj128ELj16ELj256ELj137ELj32ElifEEvT5_PKS1_S3_NS_24const_host_device_scalarIT6_EEPKT4_S3_PKS5_S9_S3_SB_S6_S9_S3_SB_S9_S3_PS5_21rocsparse_index_base_SD_SD_SD_bbb.kd
    .uniform_work_group_size: 1
    .uses_dynamic_stack: false
    .vgpr_count:     18
    .vgpr_spill_count: 0
    .wavefront_size: 32
  - .args:
      - .offset:         0
        .size:           4
        .value_kind:     by_value
      - .actual_access:  read_only
        .address_space:  global
        .offset:         8
        .size:           8
        .value_kind:     global_buffer
      - .actual_access:  read_only
        .address_space:  global
        .offset:         16
        .size:           8
        .value_kind:     global_buffer
      - .offset:         24
        .size:           8
        .value_kind:     by_value
      - .actual_access:  read_only
        .address_space:  global
        .offset:         32
        .size:           8
        .value_kind:     global_buffer
      - .actual_access:  read_only
        .address_space:  global
        .offset:         40
        .size:           8
        .value_kind:     global_buffer
      - .actual_access:  read_only
        .address_space:  global
        .offset:         48
        .size:           8
        .value_kind:     global_buffer
      - .actual_access:  read_only
        .address_space:  global
        .offset:         56
        .size:           8
        .value_kind:     global_buffer
      - .actual_access:  read_only
        .address_space:  global
        .offset:         64
        .size:           8
        .value_kind:     global_buffer
      - .actual_access:  read_only
        .address_space:  global
        .offset:         72
        .size:           8
        .value_kind:     global_buffer
      - .offset:         80
        .size:           8
        .value_kind:     by_value
      - .actual_access:  read_only
        .address_space:  global
        .offset:         88
        .size:           8
        .value_kind:     global_buffer
      - .actual_access:  read_only
        .address_space:  global
        .offset:         96
        .size:           8
        .value_kind:     global_buffer
      - .actual_access:  read_only
        .address_space:  global
        .offset:         104
        .size:           8
        .value_kind:     global_buffer
      - .actual_access:  read_only
        .address_space:  global
        .offset:         112
        .size:           8
        .value_kind:     global_buffer
      - .actual_access:  read_only
        .address_space:  global
        .offset:         120
        .size:           8
        .value_kind:     global_buffer
      - .actual_access:  write_only
        .address_space:  global
        .offset:         128
        .size:           8
        .value_kind:     global_buffer
      - .offset:         136
        .size:           4
        .value_kind:     by_value
      - .offset:         140
        .size:           4
        .value_kind:     by_value
      - .offset:         144
        .size:           4
        .value_kind:     by_value
      - .offset:         148
        .size:           4
        .value_kind:     by_value
      - .offset:         152
        .size:           1
        .value_kind:     by_value
      - .offset:         153
        .size:           1
        .value_kind:     by_value
      - .offset:         154
        .size:           1
        .value_kind:     by_value
    .group_segment_fixed_size: 0
    .kernarg_segment_align: 8
    .kernarg_segment_size: 156
    .language:       OpenCL C
    .language_version:
      - 2
      - 0
    .max_flat_workgroup_size: 128
    .name:           _ZN9rocsparseL41csrgemm_numeric_fill_block_per_row_kernelILj128ELj16ELj256ELj137ELj64ElifEEvT5_PKS1_S3_NS_24const_host_device_scalarIT6_EEPKT4_S3_PKS5_S9_S3_SB_S6_S9_S3_SB_S9_S3_PS5_21rocsparse_index_base_SD_SD_SD_bbb
    .private_segment_fixed_size: 0
    .sgpr_count:     46
    .sgpr_spill_count: 0
    .symbol:         _ZN9rocsparseL41csrgemm_numeric_fill_block_per_row_kernelILj128ELj16ELj256ELj137ELj64ElifEEvT5_PKS1_S3_NS_24const_host_device_scalarIT6_EEPKT4_S3_PKS5_S9_S3_SB_S6_S9_S3_SB_S9_S3_PS5_21rocsparse_index_base_SD_SD_SD_bbb.kd
    .uniform_work_group_size: 1
    .uses_dynamic_stack: false
    .vgpr_count:     18
    .vgpr_spill_count: 0
    .wavefront_size: 32
  - .args:
      - .offset:         0
        .size:           4
        .value_kind:     by_value
      - .actual_access:  read_only
        .address_space:  global
        .offset:         8
        .size:           8
        .value_kind:     global_buffer
      - .actual_access:  read_only
        .address_space:  global
        .offset:         16
        .size:           8
        .value_kind:     global_buffer
      - .offset:         24
        .size:           8
        .value_kind:     by_value
      - .actual_access:  read_only
        .address_space:  global
        .offset:         32
        .size:           8
        .value_kind:     global_buffer
      - .actual_access:  read_only
        .address_space:  global
        .offset:         40
        .size:           8
        .value_kind:     global_buffer
      - .actual_access:  read_only
        .address_space:  global
        .offset:         48
        .size:           8
        .value_kind:     global_buffer
      - .actual_access:  read_only
        .address_space:  global
        .offset:         56
        .size:           8
        .value_kind:     global_buffer
      - .actual_access:  read_only
        .address_space:  global
        .offset:         64
        .size:           8
        .value_kind:     global_buffer
      - .actual_access:  read_only
        .address_space:  global
        .offset:         72
        .size:           8
        .value_kind:     global_buffer
      - .offset:         80
        .size:           8
        .value_kind:     by_value
      - .actual_access:  read_only
        .address_space:  global
        .offset:         88
        .size:           8
        .value_kind:     global_buffer
      - .actual_access:  read_only
        .address_space:  global
        .offset:         96
        .size:           8
        .value_kind:     global_buffer
      - .actual_access:  read_only
        .address_space:  global
        .offset:         104
        .size:           8
        .value_kind:     global_buffer
      - .actual_access:  read_only
        .address_space:  global
        .offset:         112
        .size:           8
        .value_kind:     global_buffer
      - .actual_access:  read_only
        .address_space:  global
        .offset:         120
        .size:           8
        .value_kind:     global_buffer
      - .actual_access:  write_only
        .address_space:  global
        .offset:         128
        .size:           8
        .value_kind:     global_buffer
      - .offset:         136
        .size:           4
        .value_kind:     by_value
      - .offset:         140
        .size:           4
        .value_kind:     by_value
      - .offset:         144
        .size:           4
        .value_kind:     by_value
      - .offset:         148
        .size:           4
        .value_kind:     by_value
      - .offset:         152
        .size:           1
        .value_kind:     by_value
      - .offset:         153
        .size:           1
        .value_kind:     by_value
      - .offset:         154
        .size:           1
        .value_kind:     by_value
    .group_segment_fixed_size: 0
    .kernarg_segment_align: 8
    .kernarg_segment_size: 156
    .language:       OpenCL C
    .language_version:
      - 2
      - 0
    .max_flat_workgroup_size: 256
    .name:           _ZN9rocsparseL41csrgemm_numeric_fill_block_per_row_kernelILj256ELj32ELj512ELj137ELj32ElifEEvT5_PKS1_S3_NS_24const_host_device_scalarIT6_EEPKT4_S3_PKS5_S9_S3_SB_S6_S9_S3_SB_S9_S3_PS5_21rocsparse_index_base_SD_SD_SD_bbb
    .private_segment_fixed_size: 0
    .sgpr_count:     46
    .sgpr_spill_count: 0
    .symbol:         _ZN9rocsparseL41csrgemm_numeric_fill_block_per_row_kernelILj256ELj32ELj512ELj137ELj32ElifEEvT5_PKS1_S3_NS_24const_host_device_scalarIT6_EEPKT4_S3_PKS5_S9_S3_SB_S6_S9_S3_SB_S9_S3_PS5_21rocsparse_index_base_SD_SD_SD_bbb.kd
    .uniform_work_group_size: 1
    .uses_dynamic_stack: false
    .vgpr_count:     18
    .vgpr_spill_count: 0
    .wavefront_size: 32
  - .args:
      - .offset:         0
        .size:           4
        .value_kind:     by_value
      - .actual_access:  read_only
        .address_space:  global
        .offset:         8
        .size:           8
        .value_kind:     global_buffer
      - .actual_access:  read_only
        .address_space:  global
        .offset:         16
        .size:           8
        .value_kind:     global_buffer
      - .offset:         24
        .size:           8
        .value_kind:     by_value
      - .actual_access:  read_only
        .address_space:  global
        .offset:         32
        .size:           8
        .value_kind:     global_buffer
      - .actual_access:  read_only
        .address_space:  global
        .offset:         40
        .size:           8
        .value_kind:     global_buffer
      - .actual_access:  read_only
        .address_space:  global
        .offset:         48
        .size:           8
        .value_kind:     global_buffer
      - .actual_access:  read_only
        .address_space:  global
        .offset:         56
        .size:           8
        .value_kind:     global_buffer
      - .actual_access:  read_only
        .address_space:  global
        .offset:         64
        .size:           8
        .value_kind:     global_buffer
      - .actual_access:  read_only
        .address_space:  global
        .offset:         72
        .size:           8
        .value_kind:     global_buffer
      - .offset:         80
        .size:           8
        .value_kind:     by_value
      - .actual_access:  read_only
        .address_space:  global
        .offset:         88
        .size:           8
        .value_kind:     global_buffer
      - .actual_access:  read_only
        .address_space:  global
        .offset:         96
        .size:           8
        .value_kind:     global_buffer
      - .actual_access:  read_only
        .address_space:  global
        .offset:         104
        .size:           8
        .value_kind:     global_buffer
      - .actual_access:  read_only
        .address_space:  global
        .offset:         112
        .size:           8
        .value_kind:     global_buffer
      - .actual_access:  read_only
        .address_space:  global
        .offset:         120
        .size:           8
        .value_kind:     global_buffer
      - .actual_access:  write_only
        .address_space:  global
        .offset:         128
        .size:           8
        .value_kind:     global_buffer
      - .offset:         136
        .size:           4
        .value_kind:     by_value
      - .offset:         140
        .size:           4
        .value_kind:     by_value
      - .offset:         144
        .size:           4
        .value_kind:     by_value
      - .offset:         148
        .size:           4
        .value_kind:     by_value
      - .offset:         152
        .size:           1
        .value_kind:     by_value
      - .offset:         153
        .size:           1
        .value_kind:     by_value
      - .offset:         154
        .size:           1
        .value_kind:     by_value
    .group_segment_fixed_size: 0
    .kernarg_segment_align: 8
    .kernarg_segment_size: 156
    .language:       OpenCL C
    .language_version:
      - 2
      - 0
    .max_flat_workgroup_size: 256
    .name:           _ZN9rocsparseL41csrgemm_numeric_fill_block_per_row_kernelILj256ELj32ELj512ELj137ELj64ElifEEvT5_PKS1_S3_NS_24const_host_device_scalarIT6_EEPKT4_S3_PKS5_S9_S3_SB_S6_S9_S3_SB_S9_S3_PS5_21rocsparse_index_base_SD_SD_SD_bbb
    .private_segment_fixed_size: 0
    .sgpr_count:     46
    .sgpr_spill_count: 0
    .symbol:         _ZN9rocsparseL41csrgemm_numeric_fill_block_per_row_kernelILj256ELj32ELj512ELj137ELj64ElifEEvT5_PKS1_S3_NS_24const_host_device_scalarIT6_EEPKT4_S3_PKS5_S9_S3_SB_S6_S9_S3_SB_S9_S3_PS5_21rocsparse_index_base_SD_SD_SD_bbb.kd
    .uniform_work_group_size: 1
    .uses_dynamic_stack: false
    .vgpr_count:     18
    .vgpr_spill_count: 0
    .wavefront_size: 32
  - .args:
      - .offset:         0
        .size:           4
        .value_kind:     by_value
      - .actual_access:  read_only
        .address_space:  global
        .offset:         8
        .size:           8
        .value_kind:     global_buffer
      - .actual_access:  read_only
        .address_space:  global
        .offset:         16
        .size:           8
        .value_kind:     global_buffer
      - .offset:         24
        .size:           8
        .value_kind:     by_value
      - .actual_access:  read_only
        .address_space:  global
        .offset:         32
        .size:           8
        .value_kind:     global_buffer
      - .actual_access:  read_only
        .address_space:  global
        .offset:         40
        .size:           8
        .value_kind:     global_buffer
      - .actual_access:  read_only
        .address_space:  global
        .offset:         48
        .size:           8
        .value_kind:     global_buffer
      - .actual_access:  read_only
        .address_space:  global
        .offset:         56
        .size:           8
        .value_kind:     global_buffer
      - .actual_access:  read_only
        .address_space:  global
        .offset:         64
        .size:           8
        .value_kind:     global_buffer
      - .actual_access:  read_only
        .address_space:  global
        .offset:         72
        .size:           8
        .value_kind:     global_buffer
      - .offset:         80
        .size:           8
        .value_kind:     by_value
      - .actual_access:  read_only
        .address_space:  global
        .offset:         88
        .size:           8
        .value_kind:     global_buffer
      - .actual_access:  read_only
        .address_space:  global
        .offset:         96
        .size:           8
        .value_kind:     global_buffer
      - .actual_access:  read_only
        .address_space:  global
        .offset:         104
        .size:           8
        .value_kind:     global_buffer
      - .actual_access:  read_only
        .address_space:  global
        .offset:         112
        .size:           8
        .value_kind:     global_buffer
      - .actual_access:  read_only
        .address_space:  global
        .offset:         120
        .size:           8
        .value_kind:     global_buffer
      - .actual_access:  write_only
        .address_space:  global
        .offset:         128
        .size:           8
        .value_kind:     global_buffer
      - .offset:         136
        .size:           4
        .value_kind:     by_value
      - .offset:         140
        .size:           4
        .value_kind:     by_value
      - .offset:         144
        .size:           4
        .value_kind:     by_value
      - .offset:         148
        .size:           4
        .value_kind:     by_value
      - .offset:         152
        .size:           1
        .value_kind:     by_value
      - .offset:         153
        .size:           1
        .value_kind:     by_value
      - .offset:         154
        .size:           1
        .value_kind:     by_value
    .group_segment_fixed_size: 0
    .kernarg_segment_align: 8
    .kernarg_segment_size: 156
    .language:       OpenCL C
    .language_version:
      - 2
      - 0
    .max_flat_workgroup_size: 512
    .name:           _ZN9rocsparseL41csrgemm_numeric_fill_block_per_row_kernelILj512ELj32ELj1024ELj137ELj32ElifEEvT5_PKS1_S3_NS_24const_host_device_scalarIT6_EEPKT4_S3_PKS5_S9_S3_SB_S6_S9_S3_SB_S9_S3_PS5_21rocsparse_index_base_SD_SD_SD_bbb
    .private_segment_fixed_size: 0
    .sgpr_count:     46
    .sgpr_spill_count: 0
    .symbol:         _ZN9rocsparseL41csrgemm_numeric_fill_block_per_row_kernelILj512ELj32ELj1024ELj137ELj32ElifEEvT5_PKS1_S3_NS_24const_host_device_scalarIT6_EEPKT4_S3_PKS5_S9_S3_SB_S6_S9_S3_SB_S9_S3_PS5_21rocsparse_index_base_SD_SD_SD_bbb.kd
    .uniform_work_group_size: 1
    .uses_dynamic_stack: false
    .vgpr_count:     18
    .vgpr_spill_count: 0
    .wavefront_size: 32
  - .args:
      - .offset:         0
        .size:           4
        .value_kind:     by_value
      - .actual_access:  read_only
        .address_space:  global
        .offset:         8
        .size:           8
        .value_kind:     global_buffer
      - .actual_access:  read_only
        .address_space:  global
        .offset:         16
        .size:           8
        .value_kind:     global_buffer
      - .offset:         24
        .size:           8
        .value_kind:     by_value
      - .actual_access:  read_only
        .address_space:  global
        .offset:         32
        .size:           8
        .value_kind:     global_buffer
      - .actual_access:  read_only
        .address_space:  global
        .offset:         40
        .size:           8
        .value_kind:     global_buffer
      - .actual_access:  read_only
        .address_space:  global
        .offset:         48
        .size:           8
        .value_kind:     global_buffer
      - .actual_access:  read_only
        .address_space:  global
        .offset:         56
        .size:           8
        .value_kind:     global_buffer
      - .actual_access:  read_only
        .address_space:  global
        .offset:         64
        .size:           8
        .value_kind:     global_buffer
      - .actual_access:  read_only
        .address_space:  global
        .offset:         72
        .size:           8
        .value_kind:     global_buffer
      - .offset:         80
        .size:           8
        .value_kind:     by_value
      - .actual_access:  read_only
        .address_space:  global
        .offset:         88
        .size:           8
        .value_kind:     global_buffer
      - .actual_access:  read_only
        .address_space:  global
        .offset:         96
        .size:           8
        .value_kind:     global_buffer
      - .actual_access:  read_only
        .address_space:  global
        .offset:         104
        .size:           8
        .value_kind:     global_buffer
      - .actual_access:  read_only
        .address_space:  global
        .offset:         112
        .size:           8
        .value_kind:     global_buffer
      - .actual_access:  read_only
        .address_space:  global
        .offset:         120
        .size:           8
        .value_kind:     global_buffer
      - .actual_access:  write_only
        .address_space:  global
        .offset:         128
        .size:           8
        .value_kind:     global_buffer
      - .offset:         136
        .size:           4
        .value_kind:     by_value
      - .offset:         140
        .size:           4
        .value_kind:     by_value
      - .offset:         144
        .size:           4
        .value_kind:     by_value
      - .offset:         148
        .size:           4
        .value_kind:     by_value
      - .offset:         152
        .size:           1
        .value_kind:     by_value
      - .offset:         153
        .size:           1
        .value_kind:     by_value
      - .offset:         154
        .size:           1
        .value_kind:     by_value
    .group_segment_fixed_size: 0
    .kernarg_segment_align: 8
    .kernarg_segment_size: 156
    .language:       OpenCL C
    .language_version:
      - 2
      - 0
    .max_flat_workgroup_size: 512
    .name:           _ZN9rocsparseL41csrgemm_numeric_fill_block_per_row_kernelILj512ELj32ELj1024ELj137ELj64ElifEEvT5_PKS1_S3_NS_24const_host_device_scalarIT6_EEPKT4_S3_PKS5_S9_S3_SB_S6_S9_S3_SB_S9_S3_PS5_21rocsparse_index_base_SD_SD_SD_bbb
    .private_segment_fixed_size: 0
    .sgpr_count:     46
    .sgpr_spill_count: 0
    .symbol:         _ZN9rocsparseL41csrgemm_numeric_fill_block_per_row_kernelILj512ELj32ELj1024ELj137ELj64ElifEEvT5_PKS1_S3_NS_24const_host_device_scalarIT6_EEPKT4_S3_PKS5_S9_S3_SB_S6_S9_S3_SB_S9_S3_PS5_21rocsparse_index_base_SD_SD_SD_bbb.kd
    .uniform_work_group_size: 1
    .uses_dynamic_stack: false
    .vgpr_count:     18
    .vgpr_spill_count: 0
    .wavefront_size: 32
  - .args:
      - .offset:         0
        .size:           4
        .value_kind:     by_value
      - .actual_access:  read_only
        .address_space:  global
        .offset:         8
        .size:           8
        .value_kind:     global_buffer
      - .actual_access:  read_only
        .address_space:  global
        .offset:         16
        .size:           8
        .value_kind:     global_buffer
      - .offset:         24
        .size:           8
        .value_kind:     by_value
      - .actual_access:  read_only
        .address_space:  global
        .offset:         32
        .size:           8
        .value_kind:     global_buffer
      - .actual_access:  read_only
        .address_space:  global
        .offset:         40
        .size:           8
        .value_kind:     global_buffer
      - .actual_access:  read_only
        .address_space:  global
        .offset:         48
        .size:           8
        .value_kind:     global_buffer
      - .actual_access:  read_only
        .address_space:  global
        .offset:         56
        .size:           8
        .value_kind:     global_buffer
      - .actual_access:  read_only
        .address_space:  global
        .offset:         64
        .size:           8
        .value_kind:     global_buffer
      - .actual_access:  read_only
        .address_space:  global
        .offset:         72
        .size:           8
        .value_kind:     global_buffer
      - .offset:         80
        .size:           8
        .value_kind:     by_value
      - .actual_access:  read_only
        .address_space:  global
        .offset:         88
        .size:           8
        .value_kind:     global_buffer
      - .actual_access:  read_only
        .address_space:  global
        .offset:         96
        .size:           8
        .value_kind:     global_buffer
      - .actual_access:  read_only
        .address_space:  global
        .offset:         104
        .size:           8
        .value_kind:     global_buffer
      - .actual_access:  read_only
        .address_space:  global
        .offset:         112
        .size:           8
        .value_kind:     global_buffer
      - .actual_access:  read_only
        .address_space:  global
        .offset:         120
        .size:           8
        .value_kind:     global_buffer
      - .actual_access:  write_only
        .address_space:  global
        .offset:         128
        .size:           8
        .value_kind:     global_buffer
      - .offset:         136
        .size:           4
        .value_kind:     by_value
      - .offset:         140
        .size:           4
        .value_kind:     by_value
      - .offset:         144
        .size:           4
        .value_kind:     by_value
      - .offset:         148
        .size:           4
        .value_kind:     by_value
      - .offset:         152
        .size:           1
        .value_kind:     by_value
      - .offset:         153
        .size:           1
        .value_kind:     by_value
      - .offset:         154
        .size:           1
        .value_kind:     by_value
    .group_segment_fixed_size: 0
    .kernarg_segment_align: 8
    .kernarg_segment_size: 156
    .language:       OpenCL C
    .language_version:
      - 2
      - 0
    .max_flat_workgroup_size: 1024
    .name:           _ZN9rocsparseL41csrgemm_numeric_fill_block_per_row_kernelILj1024ELj32ELj2048ELj137ELj32ElifEEvT5_PKS1_S3_NS_24const_host_device_scalarIT6_EEPKT4_S3_PKS5_S9_S3_SB_S6_S9_S3_SB_S9_S3_PS5_21rocsparse_index_base_SD_SD_SD_bbb
    .private_segment_fixed_size: 0
    .sgpr_count:     52
    .sgpr_spill_count: 0
    .symbol:         _ZN9rocsparseL41csrgemm_numeric_fill_block_per_row_kernelILj1024ELj32ELj2048ELj137ELj32ElifEEvT5_PKS1_S3_NS_24const_host_device_scalarIT6_EEPKT4_S3_PKS5_S9_S3_SB_S6_S9_S3_SB_S9_S3_PS5_21rocsparse_index_base_SD_SD_SD_bbb.kd
    .uniform_work_group_size: 1
    .uses_dynamic_stack: false
    .vgpr_count:     18
    .vgpr_spill_count: 0
    .wavefront_size: 32
  - .args:
      - .offset:         0
        .size:           4
        .value_kind:     by_value
      - .actual_access:  read_only
        .address_space:  global
        .offset:         8
        .size:           8
        .value_kind:     global_buffer
      - .actual_access:  read_only
        .address_space:  global
        .offset:         16
        .size:           8
        .value_kind:     global_buffer
      - .offset:         24
        .size:           8
        .value_kind:     by_value
      - .actual_access:  read_only
        .address_space:  global
        .offset:         32
        .size:           8
        .value_kind:     global_buffer
      - .actual_access:  read_only
        .address_space:  global
        .offset:         40
        .size:           8
        .value_kind:     global_buffer
      - .actual_access:  read_only
        .address_space:  global
        .offset:         48
        .size:           8
        .value_kind:     global_buffer
      - .actual_access:  read_only
        .address_space:  global
        .offset:         56
        .size:           8
        .value_kind:     global_buffer
      - .actual_access:  read_only
        .address_space:  global
        .offset:         64
        .size:           8
        .value_kind:     global_buffer
      - .actual_access:  read_only
        .address_space:  global
        .offset:         72
        .size:           8
        .value_kind:     global_buffer
      - .offset:         80
        .size:           8
        .value_kind:     by_value
      - .actual_access:  read_only
        .address_space:  global
        .offset:         88
        .size:           8
        .value_kind:     global_buffer
      - .actual_access:  read_only
        .address_space:  global
        .offset:         96
        .size:           8
        .value_kind:     global_buffer
      - .actual_access:  read_only
        .address_space:  global
        .offset:         104
        .size:           8
        .value_kind:     global_buffer
      - .actual_access:  read_only
        .address_space:  global
        .offset:         112
        .size:           8
        .value_kind:     global_buffer
      - .actual_access:  read_only
        .address_space:  global
        .offset:         120
        .size:           8
        .value_kind:     global_buffer
      - .actual_access:  write_only
        .address_space:  global
        .offset:         128
        .size:           8
        .value_kind:     global_buffer
      - .offset:         136
        .size:           4
        .value_kind:     by_value
      - .offset:         140
        .size:           4
        .value_kind:     by_value
      - .offset:         144
        .size:           4
        .value_kind:     by_value
      - .offset:         148
        .size:           4
        .value_kind:     by_value
      - .offset:         152
        .size:           1
        .value_kind:     by_value
      - .offset:         153
        .size:           1
        .value_kind:     by_value
      - .offset:         154
        .size:           1
        .value_kind:     by_value
    .group_segment_fixed_size: 0
    .kernarg_segment_align: 8
    .kernarg_segment_size: 156
    .language:       OpenCL C
    .language_version:
      - 2
      - 0
    .max_flat_workgroup_size: 1024
    .name:           _ZN9rocsparseL41csrgemm_numeric_fill_block_per_row_kernelILj1024ELj32ELj2048ELj137ELj64ElifEEvT5_PKS1_S3_NS_24const_host_device_scalarIT6_EEPKT4_S3_PKS5_S9_S3_SB_S6_S9_S3_SB_S9_S3_PS5_21rocsparse_index_base_SD_SD_SD_bbb
    .private_segment_fixed_size: 0
    .sgpr_count:     46
    .sgpr_spill_count: 0
    .symbol:         _ZN9rocsparseL41csrgemm_numeric_fill_block_per_row_kernelILj1024ELj32ELj2048ELj137ELj64ElifEEvT5_PKS1_S3_NS_24const_host_device_scalarIT6_EEPKT4_S3_PKS5_S9_S3_SB_S6_S9_S3_SB_S9_S3_PS5_21rocsparse_index_base_SD_SD_SD_bbb.kd
    .uniform_work_group_size: 1
    .uses_dynamic_stack: false
    .vgpr_count:     18
    .vgpr_spill_count: 0
    .wavefront_size: 32
  - .args:
      - .offset:         0
        .size:           4
        .value_kind:     by_value
      - .actual_access:  read_only
        .address_space:  global
        .offset:         8
        .size:           8
        .value_kind:     global_buffer
      - .actual_access:  read_only
        .address_space:  global
        .offset:         16
        .size:           8
        .value_kind:     global_buffer
      - .offset:         24
        .size:           8
        .value_kind:     by_value
      - .actual_access:  read_only
        .address_space:  global
        .offset:         32
        .size:           8
        .value_kind:     global_buffer
      - .actual_access:  read_only
        .address_space:  global
        .offset:         40
        .size:           8
        .value_kind:     global_buffer
      - .actual_access:  read_only
        .address_space:  global
        .offset:         48
        .size:           8
        .value_kind:     global_buffer
      - .actual_access:  read_only
        .address_space:  global
        .offset:         56
        .size:           8
        .value_kind:     global_buffer
      - .actual_access:  read_only
        .address_space:  global
        .offset:         64
        .size:           8
        .value_kind:     global_buffer
      - .actual_access:  read_only
        .address_space:  global
        .offset:         72
        .size:           8
        .value_kind:     global_buffer
      - .offset:         80
        .size:           8
        .value_kind:     by_value
      - .actual_access:  read_only
        .address_space:  global
        .offset:         88
        .size:           8
        .value_kind:     global_buffer
      - .actual_access:  read_only
        .address_space:  global
        .offset:         96
        .size:           8
        .value_kind:     global_buffer
      - .actual_access:  read_only
        .address_space:  global
        .offset:         104
        .size:           8
        .value_kind:     global_buffer
      - .actual_access:  read_only
        .address_space:  global
        .offset:         112
        .size:           8
        .value_kind:     global_buffer
      - .actual_access:  read_only
        .address_space:  global
        .offset:         120
        .size:           8
        .value_kind:     global_buffer
      - .actual_access:  write_only
        .address_space:  global
        .offset:         128
        .size:           8
        .value_kind:     global_buffer
      - .offset:         136
        .size:           4
        .value_kind:     by_value
      - .offset:         140
        .size:           4
        .value_kind:     by_value
      - .offset:         144
        .size:           4
        .value_kind:     by_value
      - .offset:         148
        .size:           4
        .value_kind:     by_value
      - .offset:         152
        .size:           1
        .value_kind:     by_value
      - .offset:         153
        .size:           1
        .value_kind:     by_value
      - .offset:         154
        .size:           1
        .value_kind:     by_value
    .group_segment_fixed_size: 0
    .kernarg_segment_align: 8
    .kernarg_segment_size: 156
    .language:       OpenCL C
    .language_version:
      - 2
      - 0
    .max_flat_workgroup_size: 1024
    .name:           _ZN9rocsparseL41csrgemm_numeric_fill_block_per_row_kernelILj1024ELj64ELj4096ELj137ELj32ElifEEvT5_PKS1_S3_NS_24const_host_device_scalarIT6_EEPKT4_S3_PKS5_S9_S3_SB_S6_S9_S3_SB_S9_S3_PS5_21rocsparse_index_base_SD_SD_SD_bbb
    .private_segment_fixed_size: 0
    .sgpr_count:     52
    .sgpr_spill_count: 0
    .symbol:         _ZN9rocsparseL41csrgemm_numeric_fill_block_per_row_kernelILj1024ELj64ELj4096ELj137ELj32ElifEEvT5_PKS1_S3_NS_24const_host_device_scalarIT6_EEPKT4_S3_PKS5_S9_S3_SB_S6_S9_S3_SB_S9_S3_PS5_21rocsparse_index_base_SD_SD_SD_bbb.kd
    .uniform_work_group_size: 1
    .uses_dynamic_stack: false
    .vgpr_count:     18
    .vgpr_spill_count: 0
    .wavefront_size: 32
  - .args:
      - .offset:         0
        .size:           4
        .value_kind:     by_value
      - .actual_access:  read_only
        .address_space:  global
        .offset:         8
        .size:           8
        .value_kind:     global_buffer
      - .actual_access:  read_only
        .address_space:  global
        .offset:         16
        .size:           8
        .value_kind:     global_buffer
      - .offset:         24
        .size:           8
        .value_kind:     by_value
      - .actual_access:  read_only
        .address_space:  global
        .offset:         32
        .size:           8
        .value_kind:     global_buffer
      - .actual_access:  read_only
        .address_space:  global
        .offset:         40
        .size:           8
        .value_kind:     global_buffer
      - .actual_access:  read_only
        .address_space:  global
        .offset:         48
        .size:           8
        .value_kind:     global_buffer
      - .actual_access:  read_only
        .address_space:  global
        .offset:         56
        .size:           8
        .value_kind:     global_buffer
      - .actual_access:  read_only
        .address_space:  global
        .offset:         64
        .size:           8
        .value_kind:     global_buffer
      - .actual_access:  read_only
        .address_space:  global
        .offset:         72
        .size:           8
        .value_kind:     global_buffer
      - .offset:         80
        .size:           8
        .value_kind:     by_value
      - .actual_access:  read_only
        .address_space:  global
        .offset:         88
        .size:           8
        .value_kind:     global_buffer
      - .actual_access:  read_only
        .address_space:  global
        .offset:         96
        .size:           8
        .value_kind:     global_buffer
      - .actual_access:  read_only
        .address_space:  global
        .offset:         104
        .size:           8
        .value_kind:     global_buffer
      - .actual_access:  read_only
        .address_space:  global
        .offset:         112
        .size:           8
        .value_kind:     global_buffer
      - .actual_access:  read_only
        .address_space:  global
        .offset:         120
        .size:           8
        .value_kind:     global_buffer
      - .actual_access:  write_only
        .address_space:  global
        .offset:         128
        .size:           8
        .value_kind:     global_buffer
      - .offset:         136
        .size:           4
        .value_kind:     by_value
      - .offset:         140
        .size:           4
        .value_kind:     by_value
      - .offset:         144
        .size:           4
        .value_kind:     by_value
      - .offset:         148
        .size:           4
        .value_kind:     by_value
      - .offset:         152
        .size:           1
        .value_kind:     by_value
      - .offset:         153
        .size:           1
        .value_kind:     by_value
      - .offset:         154
        .size:           1
        .value_kind:     by_value
    .group_segment_fixed_size: 0
    .kernarg_segment_align: 8
    .kernarg_segment_size: 156
    .language:       OpenCL C
    .language_version:
      - 2
      - 0
    .max_flat_workgroup_size: 1024
    .name:           _ZN9rocsparseL41csrgemm_numeric_fill_block_per_row_kernelILj1024ELj64ELj4096ELj137ELj64ElifEEvT5_PKS1_S3_NS_24const_host_device_scalarIT6_EEPKT4_S3_PKS5_S9_S3_SB_S6_S9_S3_SB_S9_S3_PS5_21rocsparse_index_base_SD_SD_SD_bbb
    .private_segment_fixed_size: 0
    .sgpr_count:     46
    .sgpr_spill_count: 0
    .symbol:         _ZN9rocsparseL41csrgemm_numeric_fill_block_per_row_kernelILj1024ELj64ELj4096ELj137ELj64ElifEEvT5_PKS1_S3_NS_24const_host_device_scalarIT6_EEPKT4_S3_PKS5_S9_S3_SB_S6_S9_S3_SB_S9_S3_PS5_21rocsparse_index_base_SD_SD_SD_bbb.kd
    .uniform_work_group_size: 1
    .uses_dynamic_stack: false
    .vgpr_count:     18
    .vgpr_spill_count: 0
    .wavefront_size: 32
  - .args:
      - .offset:         0
        .size:           4
        .value_kind:     by_value
      - .actual_access:  read_only
        .address_space:  global
        .offset:         8
        .size:           8
        .value_kind:     global_buffer
      - .actual_access:  read_only
        .address_space:  global
        .offset:         16
        .size:           8
        .value_kind:     global_buffer
      - .offset:         24
        .size:           8
        .value_kind:     by_value
      - .actual_access:  read_only
        .address_space:  global
        .offset:         32
        .size:           8
        .value_kind:     global_buffer
      - .actual_access:  read_only
        .address_space:  global
        .offset:         40
        .size:           8
        .value_kind:     global_buffer
      - .actual_access:  read_only
        .address_space:  global
        .offset:         48
        .size:           8
        .value_kind:     global_buffer
      - .actual_access:  read_only
        .address_space:  global
        .offset:         56
        .size:           8
        .value_kind:     global_buffer
      - .actual_access:  read_only
        .address_space:  global
        .offset:         64
        .size:           8
        .value_kind:     global_buffer
      - .actual_access:  read_only
        .address_space:  global
        .offset:         72
        .size:           8
        .value_kind:     global_buffer
      - .offset:         80
        .size:           8
        .value_kind:     by_value
      - .actual_access:  read_only
        .address_space:  global
        .offset:         88
        .size:           8
        .value_kind:     global_buffer
      - .actual_access:  read_only
        .address_space:  global
        .offset:         96
        .size:           8
        .value_kind:     global_buffer
      - .actual_access:  read_only
        .address_space:  global
        .offset:         104
        .size:           8
        .value_kind:     global_buffer
      - .actual_access:  read_only
        .address_space:  global
        .offset:         112
        .size:           8
        .value_kind:     global_buffer
      - .actual_access:  read_only
        .address_space:  global
        .offset:         120
        .size:           8
        .value_kind:     global_buffer
      - .actual_access:  write_only
        .address_space:  global
        .offset:         128
        .size:           8
        .value_kind:     global_buffer
      - .offset:         136
        .size:           4
        .value_kind:     by_value
      - .offset:         140
        .size:           4
        .value_kind:     by_value
      - .offset:         144
        .size:           4
        .value_kind:     by_value
      - .offset:         148
        .size:           4
        .value_kind:     by_value
      - .offset:         152
        .size:           1
        .value_kind:     by_value
      - .offset:         153
        .size:           1
        .value_kind:     by_value
      - .offset:         154
        .size:           1
        .value_kind:     by_value
    .group_segment_fixed_size: 0
    .kernarg_segment_align: 8
    .kernarg_segment_size: 156
    .language:       OpenCL C
    .language_version:
      - 2
      - 0
    .max_flat_workgroup_size: 1024
    .name:           _ZN9rocsparseL41csrgemm_numeric_fill_block_per_row_kernelILj1024ELj64ELj8192ELj137ELj32ElifEEvT5_PKS1_S3_NS_24const_host_device_scalarIT6_EEPKT4_S3_PKS5_S9_S3_SB_S6_S9_S3_SB_S9_S3_PS5_21rocsparse_index_base_SD_SD_SD_bbb
    .private_segment_fixed_size: 0
    .sgpr_count:     76
    .sgpr_spill_count: 0
    .symbol:         _ZN9rocsparseL41csrgemm_numeric_fill_block_per_row_kernelILj1024ELj64ELj8192ELj137ELj32ElifEEvT5_PKS1_S3_NS_24const_host_device_scalarIT6_EEPKT4_S3_PKS5_S9_S3_SB_S6_S9_S3_SB_S9_S3_PS5_21rocsparse_index_base_SD_SD_SD_bbb.kd
    .uniform_work_group_size: 1
    .uses_dynamic_stack: false
    .vgpr_count:     18
    .vgpr_spill_count: 0
    .wavefront_size: 32
  - .args:
      - .offset:         0
        .size:           4
        .value_kind:     by_value
      - .actual_access:  read_only
        .address_space:  global
        .offset:         8
        .size:           8
        .value_kind:     global_buffer
      - .actual_access:  read_only
        .address_space:  global
        .offset:         16
        .size:           8
        .value_kind:     global_buffer
      - .offset:         24
        .size:           8
        .value_kind:     by_value
      - .actual_access:  read_only
        .address_space:  global
        .offset:         32
        .size:           8
        .value_kind:     global_buffer
      - .actual_access:  read_only
        .address_space:  global
        .offset:         40
        .size:           8
        .value_kind:     global_buffer
      - .actual_access:  read_only
        .address_space:  global
        .offset:         48
        .size:           8
        .value_kind:     global_buffer
      - .actual_access:  read_only
        .address_space:  global
        .offset:         56
        .size:           8
        .value_kind:     global_buffer
      - .actual_access:  read_only
        .address_space:  global
        .offset:         64
        .size:           8
        .value_kind:     global_buffer
      - .actual_access:  read_only
        .address_space:  global
        .offset:         72
        .size:           8
        .value_kind:     global_buffer
      - .offset:         80
        .size:           8
        .value_kind:     by_value
      - .actual_access:  read_only
        .address_space:  global
        .offset:         88
        .size:           8
        .value_kind:     global_buffer
      - .actual_access:  read_only
        .address_space:  global
        .offset:         96
        .size:           8
        .value_kind:     global_buffer
      - .actual_access:  read_only
        .address_space:  global
        .offset:         104
        .size:           8
        .value_kind:     global_buffer
      - .actual_access:  read_only
        .address_space:  global
        .offset:         112
        .size:           8
        .value_kind:     global_buffer
      - .actual_access:  read_only
        .address_space:  global
        .offset:         120
        .size:           8
        .value_kind:     global_buffer
      - .actual_access:  write_only
        .address_space:  global
        .offset:         128
        .size:           8
        .value_kind:     global_buffer
      - .offset:         136
        .size:           4
        .value_kind:     by_value
      - .offset:         140
        .size:           4
        .value_kind:     by_value
      - .offset:         144
        .size:           4
        .value_kind:     by_value
      - .offset:         148
        .size:           4
        .value_kind:     by_value
      - .offset:         152
        .size:           1
        .value_kind:     by_value
      - .offset:         153
        .size:           1
        .value_kind:     by_value
      - .offset:         154
        .size:           1
        .value_kind:     by_value
    .group_segment_fixed_size: 0
    .kernarg_segment_align: 8
    .kernarg_segment_size: 156
    .language:       OpenCL C
    .language_version:
      - 2
      - 0
    .max_flat_workgroup_size: 1024
    .name:           _ZN9rocsparseL41csrgemm_numeric_fill_block_per_row_kernelILj1024ELj64ELj8192ELj137ELj64ElifEEvT5_PKS1_S3_NS_24const_host_device_scalarIT6_EEPKT4_S3_PKS5_S9_S3_SB_S6_S9_S3_SB_S9_S3_PS5_21rocsparse_index_base_SD_SD_SD_bbb
    .private_segment_fixed_size: 0
    .sgpr_count:     44
    .sgpr_spill_count: 0
    .symbol:         _ZN9rocsparseL41csrgemm_numeric_fill_block_per_row_kernelILj1024ELj64ELj8192ELj137ELj64ElifEEvT5_PKS1_S3_NS_24const_host_device_scalarIT6_EEPKT4_S3_PKS5_S9_S3_SB_S6_S9_S3_SB_S9_S3_PS5_21rocsparse_index_base_SD_SD_SD_bbb.kd
    .uniform_work_group_size: 1
    .uses_dynamic_stack: false
    .vgpr_count:     18
    .vgpr_spill_count: 0
    .wavefront_size: 32
  - .args:
      - .offset:         0
        .size:           4
        .value_kind:     by_value
      - .actual_access:  read_only
        .address_space:  global
        .offset:         8
        .size:           8
        .value_kind:     global_buffer
      - .actual_access:  read_only
        .address_space:  global
        .offset:         16
        .size:           8
        .value_kind:     global_buffer
      - .offset:         24
        .size:           8
        .value_kind:     by_value
      - .actual_access:  read_only
        .address_space:  global
        .offset:         32
        .size:           8
        .value_kind:     global_buffer
      - .actual_access:  read_only
        .address_space:  global
        .offset:         40
        .size:           8
        .value_kind:     global_buffer
      - .actual_access:  read_only
        .address_space:  global
        .offset:         48
        .size:           8
        .value_kind:     global_buffer
      - .actual_access:  read_only
        .address_space:  global
        .offset:         56
        .size:           8
        .value_kind:     global_buffer
      - .actual_access:  read_only
        .address_space:  global
        .offset:         64
        .size:           8
        .value_kind:     global_buffer
      - .actual_access:  read_only
        .address_space:  global
        .offset:         72
        .size:           8
        .value_kind:     global_buffer
      - .offset:         80
        .size:           8
        .value_kind:     by_value
      - .actual_access:  read_only
        .address_space:  global
        .offset:         88
        .size:           8
        .value_kind:     global_buffer
      - .actual_access:  read_only
        .address_space:  global
        .offset:         96
        .size:           8
        .value_kind:     global_buffer
      - .actual_access:  read_only
        .address_space:  global
        .offset:         104
        .size:           8
        .value_kind:     global_buffer
      - .actual_access:  read_only
        .address_space:  global
        .offset:         112
        .size:           8
        .value_kind:     global_buffer
      - .actual_access:  read_only
        .address_space:  global
        .offset:         120
        .size:           8
        .value_kind:     global_buffer
      - .actual_access:  write_only
        .address_space:  global
        .offset:         128
        .size:           8
        .value_kind:     global_buffer
      - .offset:         136
        .size:           4
        .value_kind:     by_value
      - .offset:         140
        .size:           4
        .value_kind:     by_value
      - .offset:         144
        .size:           4
        .value_kind:     by_value
      - .offset:         148
        .size:           4
        .value_kind:     by_value
      - .offset:         152
        .size:           1
        .value_kind:     by_value
      - .offset:         153
        .size:           1
        .value_kind:     by_value
      - .offset:         154
        .size:           1
        .value_kind:     by_value
    .group_segment_fixed_size: 0
    .kernarg_segment_align: 8
    .kernarg_segment_size: 156
    .language:       OpenCL C
    .language_version:
      - 2
      - 0
    .max_flat_workgroup_size: 1024
    .name:           _ZN9rocsparseL41csrgemm_numeric_fill_block_per_row_kernelILj1024ELj64ELj16384ELj137ELj32ElifEEvT5_PKS1_S3_NS_24const_host_device_scalarIT6_EEPKT4_S3_PKS5_S9_S3_SB_S6_S9_S3_SB_S9_S3_PS5_21rocsparse_index_base_SD_SD_SD_bbb
    .private_segment_fixed_size: 0
    .sgpr_count:     76
    .sgpr_spill_count: 0
    .symbol:         _ZN9rocsparseL41csrgemm_numeric_fill_block_per_row_kernelILj1024ELj64ELj16384ELj137ELj32ElifEEvT5_PKS1_S3_NS_24const_host_device_scalarIT6_EEPKT4_S3_PKS5_S9_S3_SB_S6_S9_S3_SB_S9_S3_PS5_21rocsparse_index_base_SD_SD_SD_bbb.kd
    .uniform_work_group_size: 1
    .uses_dynamic_stack: false
    .vgpr_count:     18
    .vgpr_spill_count: 0
    .wavefront_size: 32
  - .args:
      - .offset:         0
        .size:           4
        .value_kind:     by_value
      - .actual_access:  read_only
        .address_space:  global
        .offset:         8
        .size:           8
        .value_kind:     global_buffer
      - .actual_access:  read_only
        .address_space:  global
        .offset:         16
        .size:           8
        .value_kind:     global_buffer
      - .offset:         24
        .size:           8
        .value_kind:     by_value
      - .actual_access:  read_only
        .address_space:  global
        .offset:         32
        .size:           8
        .value_kind:     global_buffer
      - .actual_access:  read_only
        .address_space:  global
        .offset:         40
        .size:           8
        .value_kind:     global_buffer
      - .actual_access:  read_only
        .address_space:  global
        .offset:         48
        .size:           8
        .value_kind:     global_buffer
      - .actual_access:  read_only
        .address_space:  global
        .offset:         56
        .size:           8
        .value_kind:     global_buffer
      - .actual_access:  read_only
        .address_space:  global
        .offset:         64
        .size:           8
        .value_kind:     global_buffer
      - .actual_access:  read_only
        .address_space:  global
        .offset:         72
        .size:           8
        .value_kind:     global_buffer
      - .offset:         80
        .size:           8
        .value_kind:     by_value
      - .actual_access:  read_only
        .address_space:  global
        .offset:         88
        .size:           8
        .value_kind:     global_buffer
      - .actual_access:  read_only
        .address_space:  global
        .offset:         96
        .size:           8
        .value_kind:     global_buffer
      - .actual_access:  read_only
        .address_space:  global
        .offset:         104
        .size:           8
        .value_kind:     global_buffer
      - .actual_access:  read_only
        .address_space:  global
        .offset:         112
        .size:           8
        .value_kind:     global_buffer
      - .actual_access:  read_only
        .address_space:  global
        .offset:         120
        .size:           8
        .value_kind:     global_buffer
      - .actual_access:  write_only
        .address_space:  global
        .offset:         128
        .size:           8
        .value_kind:     global_buffer
      - .offset:         136
        .size:           4
        .value_kind:     by_value
      - .offset:         140
        .size:           4
        .value_kind:     by_value
      - .offset:         144
        .size:           4
        .value_kind:     by_value
      - .offset:         148
        .size:           4
        .value_kind:     by_value
      - .offset:         152
        .size:           1
        .value_kind:     by_value
      - .offset:         153
        .size:           1
        .value_kind:     by_value
      - .offset:         154
        .size:           1
        .value_kind:     by_value
    .group_segment_fixed_size: 0
    .kernarg_segment_align: 8
    .kernarg_segment_size: 156
    .language:       OpenCL C
    .language_version:
      - 2
      - 0
    .max_flat_workgroup_size: 1024
    .name:           _ZN9rocsparseL41csrgemm_numeric_fill_block_per_row_kernelILj1024ELj64ELj16384ELj137ELj64ElifEEvT5_PKS1_S3_NS_24const_host_device_scalarIT6_EEPKT4_S3_PKS5_S9_S3_SB_S6_S9_S3_SB_S9_S3_PS5_21rocsparse_index_base_SD_SD_SD_bbb
    .private_segment_fixed_size: 0
    .sgpr_count:     46
    .sgpr_spill_count: 0
    .symbol:         _ZN9rocsparseL41csrgemm_numeric_fill_block_per_row_kernelILj1024ELj64ELj16384ELj137ELj64ElifEEvT5_PKS1_S3_NS_24const_host_device_scalarIT6_EEPKT4_S3_PKS5_S9_S3_SB_S6_S9_S3_SB_S9_S3_PS5_21rocsparse_index_base_SD_SD_SD_bbb.kd
    .uniform_work_group_size: 1
    .uses_dynamic_stack: false
    .vgpr_count:     18
    .vgpr_spill_count: 0
    .wavefront_size: 32
  - .args:
      - .offset:         0
        .size:           4
        .value_kind:     by_value
      - .actual_access:  read_only
        .address_space:  global
        .offset:         8
        .size:           8
        .value_kind:     global_buffer
      - .actual_access:  read_only
        .address_space:  global
        .offset:         16
        .size:           8
        .value_kind:     global_buffer
      - .offset:         24
        .size:           8
        .value_kind:     by_value
      - .actual_access:  read_only
        .address_space:  global
        .offset:         32
        .size:           8
        .value_kind:     global_buffer
      - .actual_access:  read_only
        .address_space:  global
        .offset:         40
        .size:           8
        .value_kind:     global_buffer
      - .actual_access:  read_only
        .address_space:  global
        .offset:         48
        .size:           8
        .value_kind:     global_buffer
      - .actual_access:  read_only
        .address_space:  global
        .offset:         56
        .size:           8
        .value_kind:     global_buffer
      - .actual_access:  read_only
        .address_space:  global
        .offset:         64
        .size:           8
        .value_kind:     global_buffer
      - .actual_access:  read_only
        .address_space:  global
        .offset:         72
        .size:           8
        .value_kind:     global_buffer
      - .offset:         80
        .size:           8
        .value_kind:     by_value
      - .actual_access:  read_only
        .address_space:  global
        .offset:         88
        .size:           8
        .value_kind:     global_buffer
      - .actual_access:  read_only
        .address_space:  global
        .offset:         96
        .size:           8
        .value_kind:     global_buffer
      - .actual_access:  read_only
        .address_space:  global
        .offset:         104
        .size:           8
        .value_kind:     global_buffer
      - .actual_access:  read_only
        .address_space:  global
        .offset:         112
        .size:           8
        .value_kind:     global_buffer
      - .actual_access:  read_only
        .address_space:  global
        .offset:         120
        .size:           8
        .value_kind:     global_buffer
      - .actual_access:  write_only
        .address_space:  global
        .offset:         128
        .size:           8
        .value_kind:     global_buffer
      - .offset:         136
        .size:           4
        .value_kind:     by_value
      - .offset:         140
        .size:           4
        .value_kind:     by_value
      - .offset:         144
        .size:           4
        .value_kind:     by_value
      - .offset:         148
        .size:           4
        .value_kind:     by_value
      - .offset:         152
        .size:           1
        .value_kind:     by_value
      - .offset:         153
        .size:           1
        .value_kind:     by_value
      - .offset:         154
        .size:           1
        .value_kind:     by_value
    .group_segment_fixed_size: 0
    .kernarg_segment_align: 8
    .kernarg_segment_size: 156
    .language:       OpenCL C
    .language_version:
      - 2
      - 0
    .max_flat_workgroup_size: 1024
    .name:           _ZN9rocsparseL41csrgemm_numeric_fill_block_per_row_kernelILj1024ELj64ELj32768ELj137ELj32ElifEEvT5_PKS1_S3_NS_24const_host_device_scalarIT6_EEPKT4_S3_PKS5_S9_S3_SB_S6_S9_S3_SB_S9_S3_PS5_21rocsparse_index_base_SD_SD_SD_bbb
    .private_segment_fixed_size: 0
    .sgpr_count:     76
    .sgpr_spill_count: 0
    .symbol:         _ZN9rocsparseL41csrgemm_numeric_fill_block_per_row_kernelILj1024ELj64ELj32768ELj137ELj32ElifEEvT5_PKS1_S3_NS_24const_host_device_scalarIT6_EEPKT4_S3_PKS5_S9_S3_SB_S6_S9_S3_SB_S9_S3_PS5_21rocsparse_index_base_SD_SD_SD_bbb.kd
    .uniform_work_group_size: 1
    .uses_dynamic_stack: false
    .vgpr_count:     18
    .vgpr_spill_count: 0
    .wavefront_size: 32
  - .args:
      - .offset:         0
        .size:           4
        .value_kind:     by_value
      - .actual_access:  read_only
        .address_space:  global
        .offset:         8
        .size:           8
        .value_kind:     global_buffer
      - .actual_access:  read_only
        .address_space:  global
        .offset:         16
        .size:           8
        .value_kind:     global_buffer
      - .offset:         24
        .size:           8
        .value_kind:     by_value
      - .actual_access:  read_only
        .address_space:  global
        .offset:         32
        .size:           8
        .value_kind:     global_buffer
      - .actual_access:  read_only
        .address_space:  global
        .offset:         40
        .size:           8
        .value_kind:     global_buffer
      - .actual_access:  read_only
        .address_space:  global
        .offset:         48
        .size:           8
        .value_kind:     global_buffer
      - .actual_access:  read_only
        .address_space:  global
        .offset:         56
        .size:           8
        .value_kind:     global_buffer
      - .actual_access:  read_only
        .address_space:  global
        .offset:         64
        .size:           8
        .value_kind:     global_buffer
      - .actual_access:  read_only
        .address_space:  global
        .offset:         72
        .size:           8
        .value_kind:     global_buffer
      - .offset:         80
        .size:           8
        .value_kind:     by_value
      - .actual_access:  read_only
        .address_space:  global
        .offset:         88
        .size:           8
        .value_kind:     global_buffer
      - .actual_access:  read_only
        .address_space:  global
        .offset:         96
        .size:           8
        .value_kind:     global_buffer
      - .actual_access:  read_only
        .address_space:  global
        .offset:         104
        .size:           8
        .value_kind:     global_buffer
      - .actual_access:  read_only
        .address_space:  global
        .offset:         112
        .size:           8
        .value_kind:     global_buffer
      - .actual_access:  read_only
        .address_space:  global
        .offset:         120
        .size:           8
        .value_kind:     global_buffer
      - .actual_access:  write_only
        .address_space:  global
        .offset:         128
        .size:           8
        .value_kind:     global_buffer
      - .offset:         136
        .size:           4
        .value_kind:     by_value
      - .offset:         140
        .size:           4
        .value_kind:     by_value
      - .offset:         144
        .size:           4
        .value_kind:     by_value
      - .offset:         148
        .size:           4
        .value_kind:     by_value
      - .offset:         152
        .size:           1
        .value_kind:     by_value
      - .offset:         153
        .size:           1
        .value_kind:     by_value
      - .offset:         154
        .size:           1
        .value_kind:     by_value
    .group_segment_fixed_size: 0
    .kernarg_segment_align: 8
    .kernarg_segment_size: 156
    .language:       OpenCL C
    .language_version:
      - 2
      - 0
    .max_flat_workgroup_size: 1024
    .name:           _ZN9rocsparseL41csrgemm_numeric_fill_block_per_row_kernelILj1024ELj64ELj32768ELj137ELj64ElifEEvT5_PKS1_S3_NS_24const_host_device_scalarIT6_EEPKT4_S3_PKS5_S9_S3_SB_S6_S9_S3_SB_S9_S3_PS5_21rocsparse_index_base_SD_SD_SD_bbb
    .private_segment_fixed_size: 0
    .sgpr_count:     46
    .sgpr_spill_count: 0
    .symbol:         _ZN9rocsparseL41csrgemm_numeric_fill_block_per_row_kernelILj1024ELj64ELj32768ELj137ELj64ElifEEvT5_PKS1_S3_NS_24const_host_device_scalarIT6_EEPKT4_S3_PKS5_S9_S3_SB_S6_S9_S3_SB_S9_S3_PS5_21rocsparse_index_base_SD_SD_SD_bbb.kd
    .uniform_work_group_size: 1
    .uses_dynamic_stack: false
    .vgpr_count:     18
    .vgpr_spill_count: 0
    .wavefront_size: 32
  - .args:
      - .offset:         0
        .size:           4
        .value_kind:     by_value
      - .actual_access:  read_only
        .address_space:  global
        .offset:         8
        .size:           8
        .value_kind:     global_buffer
      - .actual_access:  read_only
        .address_space:  global
        .offset:         16
        .size:           8
        .value_kind:     global_buffer
      - .offset:         24
        .size:           8
        .value_kind:     by_value
      - .actual_access:  read_only
        .address_space:  global
        .offset:         32
        .size:           8
        .value_kind:     global_buffer
      - .actual_access:  read_only
        .address_space:  global
        .offset:         40
        .size:           8
        .value_kind:     global_buffer
      - .actual_access:  read_only
        .address_space:  global
        .offset:         48
        .size:           8
        .value_kind:     global_buffer
      - .actual_access:  read_only
        .address_space:  global
        .offset:         56
        .size:           8
        .value_kind:     global_buffer
      - .actual_access:  read_only
        .address_space:  global
        .offset:         64
        .size:           8
        .value_kind:     global_buffer
      - .actual_access:  read_only
        .address_space:  global
        .offset:         72
        .size:           8
        .value_kind:     global_buffer
      - .offset:         80
        .size:           8
        .value_kind:     by_value
      - .actual_access:  read_only
        .address_space:  global
        .offset:         88
        .size:           8
        .value_kind:     global_buffer
      - .actual_access:  read_only
        .address_space:  global
        .offset:         96
        .size:           8
        .value_kind:     global_buffer
      - .actual_access:  read_only
        .address_space:  global
        .offset:         104
        .size:           8
        .value_kind:     global_buffer
      - .actual_access:  read_only
        .address_space:  global
        .offset:         112
        .size:           8
        .value_kind:     global_buffer
      - .actual_access:  read_only
        .address_space:  global
        .offset:         120
        .size:           8
        .value_kind:     global_buffer
      - .actual_access:  write_only
        .address_space:  global
        .offset:         128
        .size:           8
        .value_kind:     global_buffer
      - .address_space:  global
        .offset:         136
        .size:           8
        .value_kind:     global_buffer
      - .offset:         144
        .size:           4
        .value_kind:     by_value
      - .offset:         148
        .size:           4
        .value_kind:     by_value
      - .offset:         152
        .size:           4
        .value_kind:     by_value
      - .offset:         156
        .size:           4
        .value_kind:     by_value
      - .offset:         160
        .size:           1
        .value_kind:     by_value
      - .offset:         161
        .size:           1
        .value_kind:     by_value
      - .offset:         162
        .size:           1
        .value_kind:     by_value
    .group_segment_fixed_size: 10244
    .kernarg_segment_align: 8
    .kernarg_segment_size: 164
    .language:       OpenCL C
    .language_version:
      - 2
      - 0
    .max_flat_workgroup_size: 512
    .name:           _ZN9rocsparseL51csrgemm_numeric_fill_block_per_row_multipass_kernelILj512ELj16ELj2048ELj32ElifEEvT4_PKS1_S3_NS_24const_host_device_scalarIT5_EEPKT3_S3_PKS5_S9_S3_SB_S6_S9_S3_SB_S9_S3_PS5_PS7_21rocsparse_index_base_SE_SE_SE_bbb
    .private_segment_fixed_size: 0
    .sgpr_count:     66
    .sgpr_spill_count: 0
    .symbol:         _ZN9rocsparseL51csrgemm_numeric_fill_block_per_row_multipass_kernelILj512ELj16ELj2048ELj32ElifEEvT4_PKS1_S3_NS_24const_host_device_scalarIT5_EEPKT3_S3_PKS5_S9_S3_SB_S6_S9_S3_SB_S9_S3_PS5_PS7_21rocsparse_index_base_SE_SE_SE_bbb.kd
    .uniform_work_group_size: 1
    .uses_dynamic_stack: false
    .vgpr_count:     39
    .vgpr_spill_count: 0
    .wavefront_size: 32
  - .args:
      - .offset:         0
        .size:           4
        .value_kind:     by_value
      - .actual_access:  read_only
        .address_space:  global
        .offset:         8
        .size:           8
        .value_kind:     global_buffer
      - .actual_access:  read_only
        .address_space:  global
        .offset:         16
        .size:           8
        .value_kind:     global_buffer
      - .offset:         24
        .size:           8
        .value_kind:     by_value
      - .actual_access:  read_only
        .address_space:  global
        .offset:         32
        .size:           8
        .value_kind:     global_buffer
      - .actual_access:  read_only
        .address_space:  global
        .offset:         40
        .size:           8
        .value_kind:     global_buffer
      - .actual_access:  read_only
        .address_space:  global
        .offset:         48
        .size:           8
        .value_kind:     global_buffer
      - .actual_access:  read_only
        .address_space:  global
        .offset:         56
        .size:           8
        .value_kind:     global_buffer
      - .actual_access:  read_only
        .address_space:  global
        .offset:         64
        .size:           8
        .value_kind:     global_buffer
      - .actual_access:  read_only
        .address_space:  global
        .offset:         72
        .size:           8
        .value_kind:     global_buffer
      - .offset:         80
        .size:           8
        .value_kind:     by_value
      - .actual_access:  read_only
        .address_space:  global
        .offset:         88
        .size:           8
        .value_kind:     global_buffer
      - .actual_access:  read_only
        .address_space:  global
        .offset:         96
        .size:           8
        .value_kind:     global_buffer
      - .actual_access:  read_only
        .address_space:  global
        .offset:         104
        .size:           8
        .value_kind:     global_buffer
      - .actual_access:  read_only
        .address_space:  global
        .offset:         112
        .size:           8
        .value_kind:     global_buffer
      - .actual_access:  read_only
        .address_space:  global
        .offset:         120
        .size:           8
        .value_kind:     global_buffer
      - .actual_access:  write_only
        .address_space:  global
        .offset:         128
        .size:           8
        .value_kind:     global_buffer
      - .address_space:  global
        .offset:         136
        .size:           8
        .value_kind:     global_buffer
      - .offset:         144
        .size:           4
        .value_kind:     by_value
      - .offset:         148
        .size:           4
        .value_kind:     by_value
      - .offset:         152
        .size:           4
        .value_kind:     by_value
      - .offset:         156
        .size:           4
        .value_kind:     by_value
      - .offset:         160
        .size:           1
        .value_kind:     by_value
      - .offset:         161
        .size:           1
        .value_kind:     by_value
      - .offset:         162
        .size:           1
        .value_kind:     by_value
    .group_segment_fixed_size: 10244
    .kernarg_segment_align: 8
    .kernarg_segment_size: 164
    .language:       OpenCL C
    .language_version:
      - 2
      - 0
    .max_flat_workgroup_size: 512
    .name:           _ZN9rocsparseL51csrgemm_numeric_fill_block_per_row_multipass_kernelILj512ELj16ELj2048ELj64ElifEEvT4_PKS1_S3_NS_24const_host_device_scalarIT5_EEPKT3_S3_PKS5_S9_S3_SB_S6_S9_S3_SB_S9_S3_PS5_PS7_21rocsparse_index_base_SE_SE_SE_bbb
    .private_segment_fixed_size: 0
    .sgpr_count:     58
    .sgpr_spill_count: 0
    .symbol:         _ZN9rocsparseL51csrgemm_numeric_fill_block_per_row_multipass_kernelILj512ELj16ELj2048ELj64ElifEEvT4_PKS1_S3_NS_24const_host_device_scalarIT5_EEPKT3_S3_PKS5_S9_S3_SB_S6_S9_S3_SB_S9_S3_PS5_PS7_21rocsparse_index_base_SE_SE_SE_bbb.kd
    .uniform_work_group_size: 1
    .uses_dynamic_stack: false
    .vgpr_count:     39
    .vgpr_spill_count: 0
    .wavefront_size: 32
  - .args:
      - .offset:         0
        .size:           4
        .value_kind:     by_value
      - .offset:         4
        .size:           4
        .value_kind:     by_value
      - .actual_access:  read_only
        .address_space:  global
        .offset:         8
        .size:           8
        .value_kind:     global_buffer
      - .actual_access:  read_only
        .address_space:  global
        .offset:         16
        .size:           8
        .value_kind:     global_buffer
      - .offset:         24
        .size:           8
        .value_kind:     by_value
      - .actual_access:  read_only
        .address_space:  global
        .offset:         32
        .size:           8
        .value_kind:     global_buffer
      - .actual_access:  read_only
        .address_space:  global
        .offset:         40
        .size:           8
        .value_kind:     global_buffer
      - .actual_access:  read_only
        .address_space:  global
        .offset:         48
        .size:           8
        .value_kind:     global_buffer
      - .actual_access:  read_only
        .address_space:  global
        .offset:         56
        .size:           8
        .value_kind:     global_buffer
      - .actual_access:  read_only
        .address_space:  global
        .offset:         64
        .size:           8
        .value_kind:     global_buffer
      - .actual_access:  read_only
        .address_space:  global
        .offset:         72
        .size:           8
        .value_kind:     global_buffer
      - .offset:         80
        .size:           8
        .value_kind:     by_value
      - .actual_access:  read_only
        .address_space:  global
        .offset:         88
        .size:           8
        .value_kind:     global_buffer
      - .actual_access:  read_only
        .address_space:  global
        .offset:         96
        .size:           8
        .value_kind:     global_buffer
      - .actual_access:  read_only
        .address_space:  global
        .offset:         104
        .size:           8
        .value_kind:     global_buffer
      - .actual_access:  read_only
        .address_space:  global
        .offset:         112
        .size:           8
        .value_kind:     global_buffer
      - .actual_access:  read_only
        .address_space:  global
        .offset:         120
        .size:           8
        .value_kind:     global_buffer
      - .actual_access:  write_only
        .address_space:  global
        .offset:         128
        .size:           8
        .value_kind:     global_buffer
      - .offset:         136
        .size:           4
        .value_kind:     by_value
      - .offset:         140
        .size:           4
        .value_kind:     by_value
      - .offset:         144
        .size:           4
        .value_kind:     by_value
      - .offset:         148
        .size:           4
        .value_kind:     by_value
      - .offset:         152
        .size:           1
        .value_kind:     by_value
      - .offset:         153
        .size:           1
        .value_kind:     by_value
      - .offset:         154
        .size:           1
        .value_kind:     by_value
    .group_segment_fixed_size: 6144
    .kernarg_segment_align: 8
    .kernarg_segment_size: 156
    .language:       OpenCL C
    .language_version:
      - 2
      - 0
    .max_flat_workgroup_size: 256
    .name:           _ZN9rocsparseL38csrgemm_numeric_fill_wf_per_row_kernelILj256ELj8ELj16ELj137ElidEEvT4_S1_PKS1_S3_NS_24const_host_device_scalarIT5_EEPKT3_S3_PKS5_S9_S3_SB_S6_S9_S3_SB_S9_S3_PS5_21rocsparse_index_base_SD_SD_SD_bbb
    .private_segment_fixed_size: 0
    .sgpr_count:     40
    .sgpr_spill_count: 0
    .symbol:         _ZN9rocsparseL38csrgemm_numeric_fill_wf_per_row_kernelILj256ELj8ELj16ELj137ElidEEvT4_S1_PKS1_S3_NS_24const_host_device_scalarIT5_EEPKT3_S3_PKS5_S9_S3_SB_S6_S9_S3_SB_S9_S3_PS5_21rocsparse_index_base_SD_SD_SD_bbb.kd
    .uniform_work_group_size: 1
    .uses_dynamic_stack: false
    .vgpr_count:     28
    .vgpr_spill_count: 0
    .wavefront_size: 32
  - .args:
      - .offset:         0
        .size:           4
        .value_kind:     by_value
      - .offset:         4
        .size:           4
        .value_kind:     by_value
      - .actual_access:  read_only
        .address_space:  global
        .offset:         8
        .size:           8
        .value_kind:     global_buffer
      - .actual_access:  read_only
        .address_space:  global
        .offset:         16
        .size:           8
        .value_kind:     global_buffer
      - .offset:         24
        .size:           8
        .value_kind:     by_value
      - .actual_access:  read_only
        .address_space:  global
        .offset:         32
        .size:           8
        .value_kind:     global_buffer
      - .actual_access:  read_only
        .address_space:  global
        .offset:         40
        .size:           8
        .value_kind:     global_buffer
      - .actual_access:  read_only
        .address_space:  global
        .offset:         48
        .size:           8
        .value_kind:     global_buffer
      - .actual_access:  read_only
        .address_space:  global
        .offset:         56
        .size:           8
        .value_kind:     global_buffer
      - .actual_access:  read_only
        .address_space:  global
        .offset:         64
        .size:           8
        .value_kind:     global_buffer
      - .actual_access:  read_only
        .address_space:  global
        .offset:         72
        .size:           8
        .value_kind:     global_buffer
      - .offset:         80
        .size:           8
        .value_kind:     by_value
      - .actual_access:  read_only
        .address_space:  global
        .offset:         88
        .size:           8
        .value_kind:     global_buffer
      - .actual_access:  read_only
        .address_space:  global
        .offset:         96
        .size:           8
        .value_kind:     global_buffer
      - .actual_access:  read_only
        .address_space:  global
        .offset:         104
        .size:           8
        .value_kind:     global_buffer
      - .actual_access:  read_only
        .address_space:  global
        .offset:         112
        .size:           8
        .value_kind:     global_buffer
      - .actual_access:  read_only
        .address_space:  global
        .offset:         120
        .size:           8
        .value_kind:     global_buffer
      - .actual_access:  write_only
        .address_space:  global
        .offset:         128
        .size:           8
        .value_kind:     global_buffer
      - .offset:         136
        .size:           4
        .value_kind:     by_value
      - .offset:         140
        .size:           4
        .value_kind:     by_value
      - .offset:         144
        .size:           4
        .value_kind:     by_value
      - .offset:         148
        .size:           4
        .value_kind:     by_value
      - .offset:         152
        .size:           1
        .value_kind:     by_value
      - .offset:         153
        .size:           1
        .value_kind:     by_value
      - .offset:         154
        .size:           1
        .value_kind:     by_value
    .group_segment_fixed_size: 6144
    .kernarg_segment_align: 8
    .kernarg_segment_size: 156
    .language:       OpenCL C
    .language_version:
      - 2
      - 0
    .max_flat_workgroup_size: 256
    .name:           _ZN9rocsparseL38csrgemm_numeric_fill_wf_per_row_kernelILj256ELj16ELj32ELj137ElidEEvT4_S1_PKS1_S3_NS_24const_host_device_scalarIT5_EEPKT3_S3_PKS5_S9_S3_SB_S6_S9_S3_SB_S9_S3_PS5_21rocsparse_index_base_SD_SD_SD_bbb
    .private_segment_fixed_size: 0
    .sgpr_count:     40
    .sgpr_spill_count: 0
    .symbol:         _ZN9rocsparseL38csrgemm_numeric_fill_wf_per_row_kernelILj256ELj16ELj32ELj137ElidEEvT4_S1_PKS1_S3_NS_24const_host_device_scalarIT5_EEPKT3_S3_PKS5_S9_S3_SB_S6_S9_S3_SB_S9_S3_PS5_21rocsparse_index_base_SD_SD_SD_bbb.kd
    .uniform_work_group_size: 1
    .uses_dynamic_stack: false
    .vgpr_count:     28
    .vgpr_spill_count: 0
    .wavefront_size: 32
  - .args:
      - .offset:         0
        .size:           4
        .value_kind:     by_value
      - .actual_access:  read_only
        .address_space:  global
        .offset:         8
        .size:           8
        .value_kind:     global_buffer
      - .actual_access:  read_only
        .address_space:  global
        .offset:         16
        .size:           8
        .value_kind:     global_buffer
      - .offset:         24
        .size:           8
        .value_kind:     by_value
      - .actual_access:  read_only
        .address_space:  global
        .offset:         32
        .size:           8
        .value_kind:     global_buffer
      - .actual_access:  read_only
        .address_space:  global
        .offset:         40
        .size:           8
        .value_kind:     global_buffer
      - .actual_access:  read_only
        .address_space:  global
        .offset:         48
        .size:           8
        .value_kind:     global_buffer
      - .actual_access:  read_only
        .address_space:  global
        .offset:         56
        .size:           8
        .value_kind:     global_buffer
      - .actual_access:  read_only
        .address_space:  global
        .offset:         64
        .size:           8
        .value_kind:     global_buffer
      - .actual_access:  read_only
        .address_space:  global
        .offset:         72
        .size:           8
        .value_kind:     global_buffer
      - .offset:         80
        .size:           8
        .value_kind:     by_value
      - .actual_access:  read_only
        .address_space:  global
        .offset:         88
        .size:           8
        .value_kind:     global_buffer
      - .actual_access:  read_only
        .address_space:  global
        .offset:         96
        .size:           8
        .value_kind:     global_buffer
      - .actual_access:  read_only
        .address_space:  global
        .offset:         104
        .size:           8
        .value_kind:     global_buffer
      - .actual_access:  read_only
        .address_space:  global
        .offset:         112
        .size:           8
        .value_kind:     global_buffer
      - .actual_access:  read_only
        .address_space:  global
        .offset:         120
        .size:           8
        .value_kind:     global_buffer
      - .actual_access:  write_only
        .address_space:  global
        .offset:         128
        .size:           8
        .value_kind:     global_buffer
      - .offset:         136
        .size:           4
        .value_kind:     by_value
      - .offset:         140
        .size:           4
        .value_kind:     by_value
      - .offset:         144
        .size:           4
        .value_kind:     by_value
      - .offset:         148
        .size:           4
        .value_kind:     by_value
      - .offset:         152
        .size:           1
        .value_kind:     by_value
      - .offset:         153
        .size:           1
        .value_kind:     by_value
      - .offset:         154
        .size:           1
        .value_kind:     by_value
    .group_segment_fixed_size: 0
    .kernarg_segment_align: 8
    .kernarg_segment_size: 156
    .language:       OpenCL C
    .language_version:
      - 2
      - 0
    .max_flat_workgroup_size: 128
    .name:           _ZN9rocsparseL41csrgemm_numeric_fill_block_per_row_kernelILj128ELj16ELj256ELj137ELj32ElidEEvT5_PKS1_S3_NS_24const_host_device_scalarIT6_EEPKT4_S3_PKS5_S9_S3_SB_S6_S9_S3_SB_S9_S3_PS5_21rocsparse_index_base_SD_SD_SD_bbb
    .private_segment_fixed_size: 0
    .sgpr_count:     46
    .sgpr_spill_count: 0
    .symbol:         _ZN9rocsparseL41csrgemm_numeric_fill_block_per_row_kernelILj128ELj16ELj256ELj137ELj32ElidEEvT5_PKS1_S3_NS_24const_host_device_scalarIT6_EEPKT4_S3_PKS5_S9_S3_SB_S6_S9_S3_SB_S9_S3_PS5_21rocsparse_index_base_SD_SD_SD_bbb.kd
    .uniform_work_group_size: 1
    .uses_dynamic_stack: false
    .vgpr_count:     24
    .vgpr_spill_count: 0
    .wavefront_size: 32
  - .args:
      - .offset:         0
        .size:           4
        .value_kind:     by_value
      - .actual_access:  read_only
        .address_space:  global
        .offset:         8
        .size:           8
        .value_kind:     global_buffer
      - .actual_access:  read_only
        .address_space:  global
        .offset:         16
        .size:           8
        .value_kind:     global_buffer
      - .offset:         24
        .size:           8
        .value_kind:     by_value
      - .actual_access:  read_only
        .address_space:  global
        .offset:         32
        .size:           8
        .value_kind:     global_buffer
      - .actual_access:  read_only
        .address_space:  global
        .offset:         40
        .size:           8
        .value_kind:     global_buffer
      - .actual_access:  read_only
        .address_space:  global
        .offset:         48
        .size:           8
        .value_kind:     global_buffer
      - .actual_access:  read_only
        .address_space:  global
        .offset:         56
        .size:           8
        .value_kind:     global_buffer
      - .actual_access:  read_only
        .address_space:  global
        .offset:         64
        .size:           8
        .value_kind:     global_buffer
      - .actual_access:  read_only
        .address_space:  global
        .offset:         72
        .size:           8
        .value_kind:     global_buffer
      - .offset:         80
        .size:           8
        .value_kind:     by_value
      - .actual_access:  read_only
        .address_space:  global
        .offset:         88
        .size:           8
        .value_kind:     global_buffer
      - .actual_access:  read_only
        .address_space:  global
        .offset:         96
        .size:           8
        .value_kind:     global_buffer
      - .actual_access:  read_only
        .address_space:  global
        .offset:         104
        .size:           8
        .value_kind:     global_buffer
      - .actual_access:  read_only
        .address_space:  global
        .offset:         112
        .size:           8
        .value_kind:     global_buffer
      - .actual_access:  read_only
        .address_space:  global
        .offset:         120
        .size:           8
        .value_kind:     global_buffer
      - .actual_access:  write_only
        .address_space:  global
        .offset:         128
        .size:           8
        .value_kind:     global_buffer
      - .offset:         136
        .size:           4
        .value_kind:     by_value
      - .offset:         140
        .size:           4
        .value_kind:     by_value
      - .offset:         144
        .size:           4
        .value_kind:     by_value
      - .offset:         148
        .size:           4
        .value_kind:     by_value
      - .offset:         152
        .size:           1
        .value_kind:     by_value
      - .offset:         153
        .size:           1
        .value_kind:     by_value
      - .offset:         154
        .size:           1
        .value_kind:     by_value
    .group_segment_fixed_size: 0
    .kernarg_segment_align: 8
    .kernarg_segment_size: 156
    .language:       OpenCL C
    .language_version:
      - 2
      - 0
    .max_flat_workgroup_size: 128
    .name:           _ZN9rocsparseL41csrgemm_numeric_fill_block_per_row_kernelILj128ELj16ELj256ELj137ELj64ElidEEvT5_PKS1_S3_NS_24const_host_device_scalarIT6_EEPKT4_S3_PKS5_S9_S3_SB_S6_S9_S3_SB_S9_S3_PS5_21rocsparse_index_base_SD_SD_SD_bbb
    .private_segment_fixed_size: 0
    .sgpr_count:     44
    .sgpr_spill_count: 0
    .symbol:         _ZN9rocsparseL41csrgemm_numeric_fill_block_per_row_kernelILj128ELj16ELj256ELj137ELj64ElidEEvT5_PKS1_S3_NS_24const_host_device_scalarIT6_EEPKT4_S3_PKS5_S9_S3_SB_S6_S9_S3_SB_S9_S3_PS5_21rocsparse_index_base_SD_SD_SD_bbb.kd
    .uniform_work_group_size: 1
    .uses_dynamic_stack: false
    .vgpr_count:     25
    .vgpr_spill_count: 0
    .wavefront_size: 32
  - .args:
      - .offset:         0
        .size:           4
        .value_kind:     by_value
      - .actual_access:  read_only
        .address_space:  global
        .offset:         8
        .size:           8
        .value_kind:     global_buffer
      - .actual_access:  read_only
        .address_space:  global
        .offset:         16
        .size:           8
        .value_kind:     global_buffer
      - .offset:         24
        .size:           8
        .value_kind:     by_value
      - .actual_access:  read_only
        .address_space:  global
        .offset:         32
        .size:           8
        .value_kind:     global_buffer
      - .actual_access:  read_only
        .address_space:  global
        .offset:         40
        .size:           8
        .value_kind:     global_buffer
      - .actual_access:  read_only
        .address_space:  global
        .offset:         48
        .size:           8
        .value_kind:     global_buffer
      - .actual_access:  read_only
        .address_space:  global
        .offset:         56
        .size:           8
        .value_kind:     global_buffer
      - .actual_access:  read_only
        .address_space:  global
        .offset:         64
        .size:           8
        .value_kind:     global_buffer
      - .actual_access:  read_only
        .address_space:  global
        .offset:         72
        .size:           8
        .value_kind:     global_buffer
      - .offset:         80
        .size:           8
        .value_kind:     by_value
      - .actual_access:  read_only
        .address_space:  global
        .offset:         88
        .size:           8
        .value_kind:     global_buffer
      - .actual_access:  read_only
        .address_space:  global
        .offset:         96
        .size:           8
        .value_kind:     global_buffer
      - .actual_access:  read_only
        .address_space:  global
        .offset:         104
        .size:           8
        .value_kind:     global_buffer
      - .actual_access:  read_only
        .address_space:  global
        .offset:         112
        .size:           8
        .value_kind:     global_buffer
      - .actual_access:  read_only
        .address_space:  global
        .offset:         120
        .size:           8
        .value_kind:     global_buffer
      - .actual_access:  write_only
        .address_space:  global
        .offset:         128
        .size:           8
        .value_kind:     global_buffer
      - .offset:         136
        .size:           4
        .value_kind:     by_value
      - .offset:         140
        .size:           4
        .value_kind:     by_value
      - .offset:         144
        .size:           4
        .value_kind:     by_value
      - .offset:         148
        .size:           4
        .value_kind:     by_value
      - .offset:         152
        .size:           1
        .value_kind:     by_value
      - .offset:         153
        .size:           1
        .value_kind:     by_value
      - .offset:         154
        .size:           1
        .value_kind:     by_value
    .group_segment_fixed_size: 0
    .kernarg_segment_align: 8
    .kernarg_segment_size: 156
    .language:       OpenCL C
    .language_version:
      - 2
      - 0
    .max_flat_workgroup_size: 256
    .name:           _ZN9rocsparseL41csrgemm_numeric_fill_block_per_row_kernelILj256ELj32ELj512ELj137ELj32ElidEEvT5_PKS1_S3_NS_24const_host_device_scalarIT6_EEPKT4_S3_PKS5_S9_S3_SB_S6_S9_S3_SB_S9_S3_PS5_21rocsparse_index_base_SD_SD_SD_bbb
    .private_segment_fixed_size: 0
    .sgpr_count:     46
    .sgpr_spill_count: 0
    .symbol:         _ZN9rocsparseL41csrgemm_numeric_fill_block_per_row_kernelILj256ELj32ELj512ELj137ELj32ElidEEvT5_PKS1_S3_NS_24const_host_device_scalarIT6_EEPKT4_S3_PKS5_S9_S3_SB_S6_S9_S3_SB_S9_S3_PS5_21rocsparse_index_base_SD_SD_SD_bbb.kd
    .uniform_work_group_size: 1
    .uses_dynamic_stack: false
    .vgpr_count:     25
    .vgpr_spill_count: 0
    .wavefront_size: 32
  - .args:
      - .offset:         0
        .size:           4
        .value_kind:     by_value
      - .actual_access:  read_only
        .address_space:  global
        .offset:         8
        .size:           8
        .value_kind:     global_buffer
      - .actual_access:  read_only
        .address_space:  global
        .offset:         16
        .size:           8
        .value_kind:     global_buffer
      - .offset:         24
        .size:           8
        .value_kind:     by_value
      - .actual_access:  read_only
        .address_space:  global
        .offset:         32
        .size:           8
        .value_kind:     global_buffer
      - .actual_access:  read_only
        .address_space:  global
        .offset:         40
        .size:           8
        .value_kind:     global_buffer
      - .actual_access:  read_only
        .address_space:  global
        .offset:         48
        .size:           8
        .value_kind:     global_buffer
      - .actual_access:  read_only
        .address_space:  global
        .offset:         56
        .size:           8
        .value_kind:     global_buffer
      - .actual_access:  read_only
        .address_space:  global
        .offset:         64
        .size:           8
        .value_kind:     global_buffer
      - .actual_access:  read_only
        .address_space:  global
        .offset:         72
        .size:           8
        .value_kind:     global_buffer
      - .offset:         80
        .size:           8
        .value_kind:     by_value
      - .actual_access:  read_only
        .address_space:  global
        .offset:         88
        .size:           8
        .value_kind:     global_buffer
      - .actual_access:  read_only
        .address_space:  global
        .offset:         96
        .size:           8
        .value_kind:     global_buffer
      - .actual_access:  read_only
        .address_space:  global
        .offset:         104
        .size:           8
        .value_kind:     global_buffer
      - .actual_access:  read_only
        .address_space:  global
        .offset:         112
        .size:           8
        .value_kind:     global_buffer
      - .actual_access:  read_only
        .address_space:  global
        .offset:         120
        .size:           8
        .value_kind:     global_buffer
      - .actual_access:  write_only
        .address_space:  global
        .offset:         128
        .size:           8
        .value_kind:     global_buffer
      - .offset:         136
        .size:           4
        .value_kind:     by_value
      - .offset:         140
        .size:           4
        .value_kind:     by_value
      - .offset:         144
        .size:           4
        .value_kind:     by_value
      - .offset:         148
        .size:           4
        .value_kind:     by_value
      - .offset:         152
        .size:           1
        .value_kind:     by_value
      - .offset:         153
        .size:           1
        .value_kind:     by_value
      - .offset:         154
        .size:           1
        .value_kind:     by_value
    .group_segment_fixed_size: 0
    .kernarg_segment_align: 8
    .kernarg_segment_size: 156
    .language:       OpenCL C
    .language_version:
      - 2
      - 0
    .max_flat_workgroup_size: 256
    .name:           _ZN9rocsparseL41csrgemm_numeric_fill_block_per_row_kernelILj256ELj32ELj512ELj137ELj64ElidEEvT5_PKS1_S3_NS_24const_host_device_scalarIT6_EEPKT4_S3_PKS5_S9_S3_SB_S6_S9_S3_SB_S9_S3_PS5_21rocsparse_index_base_SD_SD_SD_bbb
    .private_segment_fixed_size: 0
    .sgpr_count:     46
    .sgpr_spill_count: 0
    .symbol:         _ZN9rocsparseL41csrgemm_numeric_fill_block_per_row_kernelILj256ELj32ELj512ELj137ELj64ElidEEvT5_PKS1_S3_NS_24const_host_device_scalarIT6_EEPKT4_S3_PKS5_S9_S3_SB_S6_S9_S3_SB_S9_S3_PS5_21rocsparse_index_base_SD_SD_SD_bbb.kd
    .uniform_work_group_size: 1
    .uses_dynamic_stack: false
    .vgpr_count:     24
    .vgpr_spill_count: 0
    .wavefront_size: 32
  - .args:
      - .offset:         0
        .size:           4
        .value_kind:     by_value
      - .actual_access:  read_only
        .address_space:  global
        .offset:         8
        .size:           8
        .value_kind:     global_buffer
      - .actual_access:  read_only
        .address_space:  global
        .offset:         16
        .size:           8
        .value_kind:     global_buffer
      - .offset:         24
        .size:           8
        .value_kind:     by_value
      - .actual_access:  read_only
        .address_space:  global
        .offset:         32
        .size:           8
        .value_kind:     global_buffer
      - .actual_access:  read_only
        .address_space:  global
        .offset:         40
        .size:           8
        .value_kind:     global_buffer
      - .actual_access:  read_only
        .address_space:  global
        .offset:         48
        .size:           8
        .value_kind:     global_buffer
      - .actual_access:  read_only
        .address_space:  global
        .offset:         56
        .size:           8
        .value_kind:     global_buffer
      - .actual_access:  read_only
        .address_space:  global
        .offset:         64
        .size:           8
        .value_kind:     global_buffer
      - .actual_access:  read_only
        .address_space:  global
        .offset:         72
        .size:           8
        .value_kind:     global_buffer
      - .offset:         80
        .size:           8
        .value_kind:     by_value
      - .actual_access:  read_only
        .address_space:  global
        .offset:         88
        .size:           8
        .value_kind:     global_buffer
      - .actual_access:  read_only
        .address_space:  global
        .offset:         96
        .size:           8
        .value_kind:     global_buffer
      - .actual_access:  read_only
        .address_space:  global
        .offset:         104
        .size:           8
        .value_kind:     global_buffer
      - .actual_access:  read_only
        .address_space:  global
        .offset:         112
        .size:           8
        .value_kind:     global_buffer
      - .actual_access:  read_only
        .address_space:  global
        .offset:         120
        .size:           8
        .value_kind:     global_buffer
      - .actual_access:  write_only
        .address_space:  global
        .offset:         128
        .size:           8
        .value_kind:     global_buffer
      - .offset:         136
        .size:           4
        .value_kind:     by_value
      - .offset:         140
        .size:           4
        .value_kind:     by_value
      - .offset:         144
        .size:           4
        .value_kind:     by_value
      - .offset:         148
        .size:           4
        .value_kind:     by_value
      - .offset:         152
        .size:           1
        .value_kind:     by_value
      - .offset:         153
        .size:           1
        .value_kind:     by_value
      - .offset:         154
        .size:           1
        .value_kind:     by_value
    .group_segment_fixed_size: 0
    .kernarg_segment_align: 8
    .kernarg_segment_size: 156
    .language:       OpenCL C
    .language_version:
      - 2
      - 0
    .max_flat_workgroup_size: 512
    .name:           _ZN9rocsparseL41csrgemm_numeric_fill_block_per_row_kernelILj512ELj32ELj1024ELj137ELj32ElidEEvT5_PKS1_S3_NS_24const_host_device_scalarIT6_EEPKT4_S3_PKS5_S9_S3_SB_S6_S9_S3_SB_S9_S3_PS5_21rocsparse_index_base_SD_SD_SD_bbb
    .private_segment_fixed_size: 0
    .sgpr_count:     46
    .sgpr_spill_count: 0
    .symbol:         _ZN9rocsparseL41csrgemm_numeric_fill_block_per_row_kernelILj512ELj32ELj1024ELj137ELj32ElidEEvT5_PKS1_S3_NS_24const_host_device_scalarIT6_EEPKT4_S3_PKS5_S9_S3_SB_S6_S9_S3_SB_S9_S3_PS5_21rocsparse_index_base_SD_SD_SD_bbb.kd
    .uniform_work_group_size: 1
    .uses_dynamic_stack: false
    .vgpr_count:     25
    .vgpr_spill_count: 0
    .wavefront_size: 32
  - .args:
      - .offset:         0
        .size:           4
        .value_kind:     by_value
      - .actual_access:  read_only
        .address_space:  global
        .offset:         8
        .size:           8
        .value_kind:     global_buffer
      - .actual_access:  read_only
        .address_space:  global
        .offset:         16
        .size:           8
        .value_kind:     global_buffer
      - .offset:         24
        .size:           8
        .value_kind:     by_value
      - .actual_access:  read_only
        .address_space:  global
        .offset:         32
        .size:           8
        .value_kind:     global_buffer
      - .actual_access:  read_only
        .address_space:  global
        .offset:         40
        .size:           8
        .value_kind:     global_buffer
      - .actual_access:  read_only
        .address_space:  global
        .offset:         48
        .size:           8
        .value_kind:     global_buffer
      - .actual_access:  read_only
        .address_space:  global
        .offset:         56
        .size:           8
        .value_kind:     global_buffer
      - .actual_access:  read_only
        .address_space:  global
        .offset:         64
        .size:           8
        .value_kind:     global_buffer
      - .actual_access:  read_only
        .address_space:  global
        .offset:         72
        .size:           8
        .value_kind:     global_buffer
      - .offset:         80
        .size:           8
        .value_kind:     by_value
      - .actual_access:  read_only
        .address_space:  global
        .offset:         88
        .size:           8
        .value_kind:     global_buffer
      - .actual_access:  read_only
        .address_space:  global
        .offset:         96
        .size:           8
        .value_kind:     global_buffer
      - .actual_access:  read_only
        .address_space:  global
        .offset:         104
        .size:           8
        .value_kind:     global_buffer
      - .actual_access:  read_only
        .address_space:  global
        .offset:         112
        .size:           8
        .value_kind:     global_buffer
      - .actual_access:  read_only
        .address_space:  global
        .offset:         120
        .size:           8
        .value_kind:     global_buffer
      - .actual_access:  write_only
        .address_space:  global
        .offset:         128
        .size:           8
        .value_kind:     global_buffer
      - .offset:         136
        .size:           4
        .value_kind:     by_value
      - .offset:         140
        .size:           4
        .value_kind:     by_value
      - .offset:         144
        .size:           4
        .value_kind:     by_value
      - .offset:         148
        .size:           4
        .value_kind:     by_value
      - .offset:         152
        .size:           1
        .value_kind:     by_value
      - .offset:         153
        .size:           1
        .value_kind:     by_value
      - .offset:         154
        .size:           1
        .value_kind:     by_value
    .group_segment_fixed_size: 0
    .kernarg_segment_align: 8
    .kernarg_segment_size: 156
    .language:       OpenCL C
    .language_version:
      - 2
      - 0
    .max_flat_workgroup_size: 512
    .name:           _ZN9rocsparseL41csrgemm_numeric_fill_block_per_row_kernelILj512ELj32ELj1024ELj137ELj64ElidEEvT5_PKS1_S3_NS_24const_host_device_scalarIT6_EEPKT4_S3_PKS5_S9_S3_SB_S6_S9_S3_SB_S9_S3_PS5_21rocsparse_index_base_SD_SD_SD_bbb
    .private_segment_fixed_size: 0
    .sgpr_count:     46
    .sgpr_spill_count: 0
    .symbol:         _ZN9rocsparseL41csrgemm_numeric_fill_block_per_row_kernelILj512ELj32ELj1024ELj137ELj64ElidEEvT5_PKS1_S3_NS_24const_host_device_scalarIT6_EEPKT4_S3_PKS5_S9_S3_SB_S6_S9_S3_SB_S9_S3_PS5_21rocsparse_index_base_SD_SD_SD_bbb.kd
    .uniform_work_group_size: 1
    .uses_dynamic_stack: false
    .vgpr_count:     24
    .vgpr_spill_count: 0
    .wavefront_size: 32
  - .args:
      - .offset:         0
        .size:           4
        .value_kind:     by_value
      - .actual_access:  read_only
        .address_space:  global
        .offset:         8
        .size:           8
        .value_kind:     global_buffer
      - .actual_access:  read_only
        .address_space:  global
        .offset:         16
        .size:           8
        .value_kind:     global_buffer
      - .offset:         24
        .size:           8
        .value_kind:     by_value
      - .actual_access:  read_only
        .address_space:  global
        .offset:         32
        .size:           8
        .value_kind:     global_buffer
      - .actual_access:  read_only
        .address_space:  global
        .offset:         40
        .size:           8
        .value_kind:     global_buffer
      - .actual_access:  read_only
        .address_space:  global
        .offset:         48
        .size:           8
        .value_kind:     global_buffer
      - .actual_access:  read_only
        .address_space:  global
        .offset:         56
        .size:           8
        .value_kind:     global_buffer
      - .actual_access:  read_only
        .address_space:  global
        .offset:         64
        .size:           8
        .value_kind:     global_buffer
      - .actual_access:  read_only
        .address_space:  global
        .offset:         72
        .size:           8
        .value_kind:     global_buffer
      - .offset:         80
        .size:           8
        .value_kind:     by_value
      - .actual_access:  read_only
        .address_space:  global
        .offset:         88
        .size:           8
        .value_kind:     global_buffer
      - .actual_access:  read_only
        .address_space:  global
        .offset:         96
        .size:           8
        .value_kind:     global_buffer
      - .actual_access:  read_only
        .address_space:  global
        .offset:         104
        .size:           8
        .value_kind:     global_buffer
      - .actual_access:  read_only
        .address_space:  global
        .offset:         112
        .size:           8
        .value_kind:     global_buffer
      - .actual_access:  read_only
        .address_space:  global
        .offset:         120
        .size:           8
        .value_kind:     global_buffer
      - .actual_access:  write_only
        .address_space:  global
        .offset:         128
        .size:           8
        .value_kind:     global_buffer
      - .offset:         136
        .size:           4
        .value_kind:     by_value
      - .offset:         140
        .size:           4
        .value_kind:     by_value
      - .offset:         144
        .size:           4
        .value_kind:     by_value
      - .offset:         148
        .size:           4
        .value_kind:     by_value
      - .offset:         152
        .size:           1
        .value_kind:     by_value
      - .offset:         153
        .size:           1
        .value_kind:     by_value
      - .offset:         154
        .size:           1
        .value_kind:     by_value
    .group_segment_fixed_size: 0
    .kernarg_segment_align: 8
    .kernarg_segment_size: 156
    .language:       OpenCL C
    .language_version:
      - 2
      - 0
    .max_flat_workgroup_size: 1024
    .name:           _ZN9rocsparseL41csrgemm_numeric_fill_block_per_row_kernelILj1024ELj32ELj2048ELj137ELj32ElidEEvT5_PKS1_S3_NS_24const_host_device_scalarIT6_EEPKT4_S3_PKS5_S9_S3_SB_S6_S9_S3_SB_S9_S3_PS5_21rocsparse_index_base_SD_SD_SD_bbb
    .private_segment_fixed_size: 0
    .sgpr_count:     52
    .sgpr_spill_count: 0
    .symbol:         _ZN9rocsparseL41csrgemm_numeric_fill_block_per_row_kernelILj1024ELj32ELj2048ELj137ELj32ElidEEvT5_PKS1_S3_NS_24const_host_device_scalarIT6_EEPKT4_S3_PKS5_S9_S3_SB_S6_S9_S3_SB_S9_S3_PS5_21rocsparse_index_base_SD_SD_SD_bbb.kd
    .uniform_work_group_size: 1
    .uses_dynamic_stack: false
    .vgpr_count:     25
    .vgpr_spill_count: 0
    .wavefront_size: 32
  - .args:
      - .offset:         0
        .size:           4
        .value_kind:     by_value
      - .actual_access:  read_only
        .address_space:  global
        .offset:         8
        .size:           8
        .value_kind:     global_buffer
      - .actual_access:  read_only
        .address_space:  global
        .offset:         16
        .size:           8
        .value_kind:     global_buffer
      - .offset:         24
        .size:           8
        .value_kind:     by_value
      - .actual_access:  read_only
        .address_space:  global
        .offset:         32
        .size:           8
        .value_kind:     global_buffer
      - .actual_access:  read_only
        .address_space:  global
        .offset:         40
        .size:           8
        .value_kind:     global_buffer
      - .actual_access:  read_only
        .address_space:  global
        .offset:         48
        .size:           8
        .value_kind:     global_buffer
      - .actual_access:  read_only
        .address_space:  global
        .offset:         56
        .size:           8
        .value_kind:     global_buffer
      - .actual_access:  read_only
        .address_space:  global
        .offset:         64
        .size:           8
        .value_kind:     global_buffer
      - .actual_access:  read_only
        .address_space:  global
        .offset:         72
        .size:           8
        .value_kind:     global_buffer
      - .offset:         80
        .size:           8
        .value_kind:     by_value
      - .actual_access:  read_only
        .address_space:  global
        .offset:         88
        .size:           8
        .value_kind:     global_buffer
      - .actual_access:  read_only
        .address_space:  global
        .offset:         96
        .size:           8
        .value_kind:     global_buffer
      - .actual_access:  read_only
        .address_space:  global
        .offset:         104
        .size:           8
        .value_kind:     global_buffer
      - .actual_access:  read_only
        .address_space:  global
        .offset:         112
        .size:           8
        .value_kind:     global_buffer
      - .actual_access:  read_only
        .address_space:  global
        .offset:         120
        .size:           8
        .value_kind:     global_buffer
      - .actual_access:  write_only
        .address_space:  global
        .offset:         128
        .size:           8
        .value_kind:     global_buffer
      - .offset:         136
        .size:           4
        .value_kind:     by_value
      - .offset:         140
        .size:           4
        .value_kind:     by_value
      - .offset:         144
        .size:           4
        .value_kind:     by_value
      - .offset:         148
        .size:           4
        .value_kind:     by_value
      - .offset:         152
        .size:           1
        .value_kind:     by_value
      - .offset:         153
        .size:           1
        .value_kind:     by_value
      - .offset:         154
        .size:           1
        .value_kind:     by_value
    .group_segment_fixed_size: 0
    .kernarg_segment_align: 8
    .kernarg_segment_size: 156
    .language:       OpenCL C
    .language_version:
      - 2
      - 0
    .max_flat_workgroup_size: 1024
    .name:           _ZN9rocsparseL41csrgemm_numeric_fill_block_per_row_kernelILj1024ELj32ELj2048ELj137ELj64ElidEEvT5_PKS1_S3_NS_24const_host_device_scalarIT6_EEPKT4_S3_PKS5_S9_S3_SB_S6_S9_S3_SB_S9_S3_PS5_21rocsparse_index_base_SD_SD_SD_bbb
    .private_segment_fixed_size: 0
    .sgpr_count:     46
    .sgpr_spill_count: 0
    .symbol:         _ZN9rocsparseL41csrgemm_numeric_fill_block_per_row_kernelILj1024ELj32ELj2048ELj137ELj64ElidEEvT5_PKS1_S3_NS_24const_host_device_scalarIT6_EEPKT4_S3_PKS5_S9_S3_SB_S6_S9_S3_SB_S9_S3_PS5_21rocsparse_index_base_SD_SD_SD_bbb.kd
    .uniform_work_group_size: 1
    .uses_dynamic_stack: false
    .vgpr_count:     24
    .vgpr_spill_count: 0
    .wavefront_size: 32
  - .args:
      - .offset:         0
        .size:           4
        .value_kind:     by_value
      - .actual_access:  read_only
        .address_space:  global
        .offset:         8
        .size:           8
        .value_kind:     global_buffer
      - .actual_access:  read_only
        .address_space:  global
        .offset:         16
        .size:           8
        .value_kind:     global_buffer
      - .offset:         24
        .size:           8
        .value_kind:     by_value
      - .actual_access:  read_only
        .address_space:  global
        .offset:         32
        .size:           8
        .value_kind:     global_buffer
      - .actual_access:  read_only
        .address_space:  global
        .offset:         40
        .size:           8
        .value_kind:     global_buffer
      - .actual_access:  read_only
        .address_space:  global
        .offset:         48
        .size:           8
        .value_kind:     global_buffer
      - .actual_access:  read_only
        .address_space:  global
        .offset:         56
        .size:           8
        .value_kind:     global_buffer
      - .actual_access:  read_only
        .address_space:  global
        .offset:         64
        .size:           8
        .value_kind:     global_buffer
      - .actual_access:  read_only
        .address_space:  global
        .offset:         72
        .size:           8
        .value_kind:     global_buffer
      - .offset:         80
        .size:           8
        .value_kind:     by_value
      - .actual_access:  read_only
        .address_space:  global
        .offset:         88
        .size:           8
        .value_kind:     global_buffer
      - .actual_access:  read_only
        .address_space:  global
        .offset:         96
        .size:           8
        .value_kind:     global_buffer
      - .actual_access:  read_only
        .address_space:  global
        .offset:         104
        .size:           8
        .value_kind:     global_buffer
      - .actual_access:  read_only
        .address_space:  global
        .offset:         112
        .size:           8
        .value_kind:     global_buffer
      - .actual_access:  read_only
        .address_space:  global
        .offset:         120
        .size:           8
        .value_kind:     global_buffer
      - .actual_access:  write_only
        .address_space:  global
        .offset:         128
        .size:           8
        .value_kind:     global_buffer
      - .offset:         136
        .size:           4
        .value_kind:     by_value
      - .offset:         140
        .size:           4
        .value_kind:     by_value
      - .offset:         144
        .size:           4
        .value_kind:     by_value
      - .offset:         148
        .size:           4
        .value_kind:     by_value
      - .offset:         152
        .size:           1
        .value_kind:     by_value
      - .offset:         153
        .size:           1
        .value_kind:     by_value
      - .offset:         154
        .size:           1
        .value_kind:     by_value
    .group_segment_fixed_size: 0
    .kernarg_segment_align: 8
    .kernarg_segment_size: 156
    .language:       OpenCL C
    .language_version:
      - 2
      - 0
    .max_flat_workgroup_size: 1024
    .name:           _ZN9rocsparseL41csrgemm_numeric_fill_block_per_row_kernelILj1024ELj64ELj4096ELj137ELj32ElidEEvT5_PKS1_S3_NS_24const_host_device_scalarIT6_EEPKT4_S3_PKS5_S9_S3_SB_S6_S9_S3_SB_S9_S3_PS5_21rocsparse_index_base_SD_SD_SD_bbb
    .private_segment_fixed_size: 0
    .sgpr_count:     52
    .sgpr_spill_count: 0
    .symbol:         _ZN9rocsparseL41csrgemm_numeric_fill_block_per_row_kernelILj1024ELj64ELj4096ELj137ELj32ElidEEvT5_PKS1_S3_NS_24const_host_device_scalarIT6_EEPKT4_S3_PKS5_S9_S3_SB_S6_S9_S3_SB_S9_S3_PS5_21rocsparse_index_base_SD_SD_SD_bbb.kd
    .uniform_work_group_size: 1
    .uses_dynamic_stack: false
    .vgpr_count:     24
    .vgpr_spill_count: 0
    .wavefront_size: 32
  - .args:
      - .offset:         0
        .size:           4
        .value_kind:     by_value
      - .actual_access:  read_only
        .address_space:  global
        .offset:         8
        .size:           8
        .value_kind:     global_buffer
      - .actual_access:  read_only
        .address_space:  global
        .offset:         16
        .size:           8
        .value_kind:     global_buffer
      - .offset:         24
        .size:           8
        .value_kind:     by_value
      - .actual_access:  read_only
        .address_space:  global
        .offset:         32
        .size:           8
        .value_kind:     global_buffer
      - .actual_access:  read_only
        .address_space:  global
        .offset:         40
        .size:           8
        .value_kind:     global_buffer
      - .actual_access:  read_only
        .address_space:  global
        .offset:         48
        .size:           8
        .value_kind:     global_buffer
      - .actual_access:  read_only
        .address_space:  global
        .offset:         56
        .size:           8
        .value_kind:     global_buffer
      - .actual_access:  read_only
        .address_space:  global
        .offset:         64
        .size:           8
        .value_kind:     global_buffer
      - .actual_access:  read_only
        .address_space:  global
        .offset:         72
        .size:           8
        .value_kind:     global_buffer
      - .offset:         80
        .size:           8
        .value_kind:     by_value
      - .actual_access:  read_only
        .address_space:  global
        .offset:         88
        .size:           8
        .value_kind:     global_buffer
      - .actual_access:  read_only
        .address_space:  global
        .offset:         96
        .size:           8
        .value_kind:     global_buffer
      - .actual_access:  read_only
        .address_space:  global
        .offset:         104
        .size:           8
        .value_kind:     global_buffer
      - .actual_access:  read_only
        .address_space:  global
        .offset:         112
        .size:           8
        .value_kind:     global_buffer
      - .actual_access:  read_only
        .address_space:  global
        .offset:         120
        .size:           8
        .value_kind:     global_buffer
      - .actual_access:  write_only
        .address_space:  global
        .offset:         128
        .size:           8
        .value_kind:     global_buffer
      - .offset:         136
        .size:           4
        .value_kind:     by_value
      - .offset:         140
        .size:           4
        .value_kind:     by_value
      - .offset:         144
        .size:           4
        .value_kind:     by_value
      - .offset:         148
        .size:           4
        .value_kind:     by_value
      - .offset:         152
        .size:           1
        .value_kind:     by_value
      - .offset:         153
        .size:           1
        .value_kind:     by_value
      - .offset:         154
        .size:           1
        .value_kind:     by_value
    .group_segment_fixed_size: 0
    .kernarg_segment_align: 8
    .kernarg_segment_size: 156
    .language:       OpenCL C
    .language_version:
      - 2
      - 0
    .max_flat_workgroup_size: 1024
    .name:           _ZN9rocsparseL41csrgemm_numeric_fill_block_per_row_kernelILj1024ELj64ELj4096ELj137ELj64ElidEEvT5_PKS1_S3_NS_24const_host_device_scalarIT6_EEPKT4_S3_PKS5_S9_S3_SB_S6_S9_S3_SB_S9_S3_PS5_21rocsparse_index_base_SD_SD_SD_bbb
    .private_segment_fixed_size: 0
    .sgpr_count:     46
    .sgpr_spill_count: 0
    .symbol:         _ZN9rocsparseL41csrgemm_numeric_fill_block_per_row_kernelILj1024ELj64ELj4096ELj137ELj64ElidEEvT5_PKS1_S3_NS_24const_host_device_scalarIT6_EEPKT4_S3_PKS5_S9_S3_SB_S6_S9_S3_SB_S9_S3_PS5_21rocsparse_index_base_SD_SD_SD_bbb.kd
    .uniform_work_group_size: 1
    .uses_dynamic_stack: false
    .vgpr_count:     25
    .vgpr_spill_count: 0
    .wavefront_size: 32
  - .args:
      - .offset:         0
        .size:           4
        .value_kind:     by_value
      - .actual_access:  read_only
        .address_space:  global
        .offset:         8
        .size:           8
        .value_kind:     global_buffer
      - .actual_access:  read_only
        .address_space:  global
        .offset:         16
        .size:           8
        .value_kind:     global_buffer
      - .offset:         24
        .size:           8
        .value_kind:     by_value
      - .actual_access:  read_only
        .address_space:  global
        .offset:         32
        .size:           8
        .value_kind:     global_buffer
      - .actual_access:  read_only
        .address_space:  global
        .offset:         40
        .size:           8
        .value_kind:     global_buffer
      - .actual_access:  read_only
        .address_space:  global
        .offset:         48
        .size:           8
        .value_kind:     global_buffer
      - .actual_access:  read_only
        .address_space:  global
        .offset:         56
        .size:           8
        .value_kind:     global_buffer
      - .actual_access:  read_only
        .address_space:  global
        .offset:         64
        .size:           8
        .value_kind:     global_buffer
      - .actual_access:  read_only
        .address_space:  global
        .offset:         72
        .size:           8
        .value_kind:     global_buffer
      - .offset:         80
        .size:           8
        .value_kind:     by_value
      - .actual_access:  read_only
        .address_space:  global
        .offset:         88
        .size:           8
        .value_kind:     global_buffer
      - .actual_access:  read_only
        .address_space:  global
        .offset:         96
        .size:           8
        .value_kind:     global_buffer
      - .actual_access:  read_only
        .address_space:  global
        .offset:         104
        .size:           8
        .value_kind:     global_buffer
      - .actual_access:  read_only
        .address_space:  global
        .offset:         112
        .size:           8
        .value_kind:     global_buffer
      - .actual_access:  read_only
        .address_space:  global
        .offset:         120
        .size:           8
        .value_kind:     global_buffer
      - .actual_access:  write_only
        .address_space:  global
        .offset:         128
        .size:           8
        .value_kind:     global_buffer
      - .offset:         136
        .size:           4
        .value_kind:     by_value
      - .offset:         140
        .size:           4
        .value_kind:     by_value
      - .offset:         144
        .size:           4
        .value_kind:     by_value
      - .offset:         148
        .size:           4
        .value_kind:     by_value
      - .offset:         152
        .size:           1
        .value_kind:     by_value
      - .offset:         153
        .size:           1
        .value_kind:     by_value
      - .offset:         154
        .size:           1
        .value_kind:     by_value
    .group_segment_fixed_size: 0
    .kernarg_segment_align: 8
    .kernarg_segment_size: 156
    .language:       OpenCL C
    .language_version:
      - 2
      - 0
    .max_flat_workgroup_size: 1024
    .name:           _ZN9rocsparseL41csrgemm_numeric_fill_block_per_row_kernelILj1024ELj64ELj8192ELj137ELj32ElidEEvT5_PKS1_S3_NS_24const_host_device_scalarIT6_EEPKT4_S3_PKS5_S9_S3_SB_S6_S9_S3_SB_S9_S3_PS5_21rocsparse_index_base_SD_SD_SD_bbb
    .private_segment_fixed_size: 0
    .sgpr_count:     76
    .sgpr_spill_count: 0
    .symbol:         _ZN9rocsparseL41csrgemm_numeric_fill_block_per_row_kernelILj1024ELj64ELj8192ELj137ELj32ElidEEvT5_PKS1_S3_NS_24const_host_device_scalarIT6_EEPKT4_S3_PKS5_S9_S3_SB_S6_S9_S3_SB_S9_S3_PS5_21rocsparse_index_base_SD_SD_SD_bbb.kd
    .uniform_work_group_size: 1
    .uses_dynamic_stack: false
    .vgpr_count:     23
    .vgpr_spill_count: 0
    .wavefront_size: 32
  - .args:
      - .offset:         0
        .size:           4
        .value_kind:     by_value
      - .actual_access:  read_only
        .address_space:  global
        .offset:         8
        .size:           8
        .value_kind:     global_buffer
      - .actual_access:  read_only
        .address_space:  global
        .offset:         16
        .size:           8
        .value_kind:     global_buffer
      - .offset:         24
        .size:           8
        .value_kind:     by_value
      - .actual_access:  read_only
        .address_space:  global
        .offset:         32
        .size:           8
        .value_kind:     global_buffer
      - .actual_access:  read_only
        .address_space:  global
        .offset:         40
        .size:           8
        .value_kind:     global_buffer
      - .actual_access:  read_only
        .address_space:  global
        .offset:         48
        .size:           8
        .value_kind:     global_buffer
      - .actual_access:  read_only
        .address_space:  global
        .offset:         56
        .size:           8
        .value_kind:     global_buffer
      - .actual_access:  read_only
        .address_space:  global
        .offset:         64
        .size:           8
        .value_kind:     global_buffer
      - .actual_access:  read_only
        .address_space:  global
        .offset:         72
        .size:           8
        .value_kind:     global_buffer
      - .offset:         80
        .size:           8
        .value_kind:     by_value
      - .actual_access:  read_only
        .address_space:  global
        .offset:         88
        .size:           8
        .value_kind:     global_buffer
      - .actual_access:  read_only
        .address_space:  global
        .offset:         96
        .size:           8
        .value_kind:     global_buffer
      - .actual_access:  read_only
        .address_space:  global
        .offset:         104
        .size:           8
        .value_kind:     global_buffer
      - .actual_access:  read_only
        .address_space:  global
        .offset:         112
        .size:           8
        .value_kind:     global_buffer
      - .actual_access:  read_only
        .address_space:  global
        .offset:         120
        .size:           8
        .value_kind:     global_buffer
      - .actual_access:  write_only
        .address_space:  global
        .offset:         128
        .size:           8
        .value_kind:     global_buffer
      - .offset:         136
        .size:           4
        .value_kind:     by_value
      - .offset:         140
        .size:           4
        .value_kind:     by_value
      - .offset:         144
        .size:           4
        .value_kind:     by_value
      - .offset:         148
        .size:           4
        .value_kind:     by_value
      - .offset:         152
        .size:           1
        .value_kind:     by_value
      - .offset:         153
        .size:           1
        .value_kind:     by_value
      - .offset:         154
        .size:           1
        .value_kind:     by_value
    .group_segment_fixed_size: 0
    .kernarg_segment_align: 8
    .kernarg_segment_size: 156
    .language:       OpenCL C
    .language_version:
      - 2
      - 0
    .max_flat_workgroup_size: 1024
    .name:           _ZN9rocsparseL41csrgemm_numeric_fill_block_per_row_kernelILj1024ELj64ELj8192ELj137ELj64ElidEEvT5_PKS1_S3_NS_24const_host_device_scalarIT6_EEPKT4_S3_PKS5_S9_S3_SB_S6_S9_S3_SB_S9_S3_PS5_21rocsparse_index_base_SD_SD_SD_bbb
    .private_segment_fixed_size: 0
    .sgpr_count:     44
    .sgpr_spill_count: 0
    .symbol:         _ZN9rocsparseL41csrgemm_numeric_fill_block_per_row_kernelILj1024ELj64ELj8192ELj137ELj64ElidEEvT5_PKS1_S3_NS_24const_host_device_scalarIT6_EEPKT4_S3_PKS5_S9_S3_SB_S6_S9_S3_SB_S9_S3_PS5_21rocsparse_index_base_SD_SD_SD_bbb.kd
    .uniform_work_group_size: 1
    .uses_dynamic_stack: false
    .vgpr_count:     24
    .vgpr_spill_count: 0
    .wavefront_size: 32
  - .args:
      - .offset:         0
        .size:           4
        .value_kind:     by_value
      - .actual_access:  read_only
        .address_space:  global
        .offset:         8
        .size:           8
        .value_kind:     global_buffer
      - .actual_access:  read_only
        .address_space:  global
        .offset:         16
        .size:           8
        .value_kind:     global_buffer
      - .offset:         24
        .size:           8
        .value_kind:     by_value
      - .actual_access:  read_only
        .address_space:  global
        .offset:         32
        .size:           8
        .value_kind:     global_buffer
      - .actual_access:  read_only
        .address_space:  global
        .offset:         40
        .size:           8
        .value_kind:     global_buffer
      - .actual_access:  read_only
        .address_space:  global
        .offset:         48
        .size:           8
        .value_kind:     global_buffer
      - .actual_access:  read_only
        .address_space:  global
        .offset:         56
        .size:           8
        .value_kind:     global_buffer
      - .actual_access:  read_only
        .address_space:  global
        .offset:         64
        .size:           8
        .value_kind:     global_buffer
      - .actual_access:  read_only
        .address_space:  global
        .offset:         72
        .size:           8
        .value_kind:     global_buffer
      - .offset:         80
        .size:           8
        .value_kind:     by_value
      - .actual_access:  read_only
        .address_space:  global
        .offset:         88
        .size:           8
        .value_kind:     global_buffer
      - .actual_access:  read_only
        .address_space:  global
        .offset:         96
        .size:           8
        .value_kind:     global_buffer
      - .actual_access:  read_only
        .address_space:  global
        .offset:         104
        .size:           8
        .value_kind:     global_buffer
      - .actual_access:  read_only
        .address_space:  global
        .offset:         112
        .size:           8
        .value_kind:     global_buffer
      - .actual_access:  read_only
        .address_space:  global
        .offset:         120
        .size:           8
        .value_kind:     global_buffer
      - .actual_access:  write_only
        .address_space:  global
        .offset:         128
        .size:           8
        .value_kind:     global_buffer
      - .offset:         136
        .size:           4
        .value_kind:     by_value
      - .offset:         140
        .size:           4
        .value_kind:     by_value
      - .offset:         144
        .size:           4
        .value_kind:     by_value
      - .offset:         148
        .size:           4
        .value_kind:     by_value
      - .offset:         152
        .size:           1
        .value_kind:     by_value
      - .offset:         153
        .size:           1
        .value_kind:     by_value
      - .offset:         154
        .size:           1
        .value_kind:     by_value
    .group_segment_fixed_size: 0
    .kernarg_segment_align: 8
    .kernarg_segment_size: 156
    .language:       OpenCL C
    .language_version:
      - 2
      - 0
    .max_flat_workgroup_size: 1024
    .name:           _ZN9rocsparseL41csrgemm_numeric_fill_block_per_row_kernelILj1024ELj64ELj16384ELj137ELj32ElidEEvT5_PKS1_S3_NS_24const_host_device_scalarIT6_EEPKT4_S3_PKS5_S9_S3_SB_S6_S9_S3_SB_S9_S3_PS5_21rocsparse_index_base_SD_SD_SD_bbb
    .private_segment_fixed_size: 0
    .sgpr_count:     76
    .sgpr_spill_count: 0
    .symbol:         _ZN9rocsparseL41csrgemm_numeric_fill_block_per_row_kernelILj1024ELj64ELj16384ELj137ELj32ElidEEvT5_PKS1_S3_NS_24const_host_device_scalarIT6_EEPKT4_S3_PKS5_S9_S3_SB_S6_S9_S3_SB_S9_S3_PS5_21rocsparse_index_base_SD_SD_SD_bbb.kd
    .uniform_work_group_size: 1
    .uses_dynamic_stack: false
    .vgpr_count:     24
    .vgpr_spill_count: 0
    .wavefront_size: 32
  - .args:
      - .offset:         0
        .size:           4
        .value_kind:     by_value
      - .actual_access:  read_only
        .address_space:  global
        .offset:         8
        .size:           8
        .value_kind:     global_buffer
      - .actual_access:  read_only
        .address_space:  global
        .offset:         16
        .size:           8
        .value_kind:     global_buffer
      - .offset:         24
        .size:           8
        .value_kind:     by_value
      - .actual_access:  read_only
        .address_space:  global
        .offset:         32
        .size:           8
        .value_kind:     global_buffer
      - .actual_access:  read_only
        .address_space:  global
        .offset:         40
        .size:           8
        .value_kind:     global_buffer
      - .actual_access:  read_only
        .address_space:  global
        .offset:         48
        .size:           8
        .value_kind:     global_buffer
      - .actual_access:  read_only
        .address_space:  global
        .offset:         56
        .size:           8
        .value_kind:     global_buffer
      - .actual_access:  read_only
        .address_space:  global
        .offset:         64
        .size:           8
        .value_kind:     global_buffer
      - .actual_access:  read_only
        .address_space:  global
        .offset:         72
        .size:           8
        .value_kind:     global_buffer
      - .offset:         80
        .size:           8
        .value_kind:     by_value
      - .actual_access:  read_only
        .address_space:  global
        .offset:         88
        .size:           8
        .value_kind:     global_buffer
      - .actual_access:  read_only
        .address_space:  global
        .offset:         96
        .size:           8
        .value_kind:     global_buffer
      - .actual_access:  read_only
        .address_space:  global
        .offset:         104
        .size:           8
        .value_kind:     global_buffer
      - .actual_access:  read_only
        .address_space:  global
        .offset:         112
        .size:           8
        .value_kind:     global_buffer
      - .actual_access:  read_only
        .address_space:  global
        .offset:         120
        .size:           8
        .value_kind:     global_buffer
      - .actual_access:  write_only
        .address_space:  global
        .offset:         128
        .size:           8
        .value_kind:     global_buffer
      - .offset:         136
        .size:           4
        .value_kind:     by_value
      - .offset:         140
        .size:           4
        .value_kind:     by_value
      - .offset:         144
        .size:           4
        .value_kind:     by_value
      - .offset:         148
        .size:           4
        .value_kind:     by_value
      - .offset:         152
        .size:           1
        .value_kind:     by_value
      - .offset:         153
        .size:           1
        .value_kind:     by_value
      - .offset:         154
        .size:           1
        .value_kind:     by_value
    .group_segment_fixed_size: 0
    .kernarg_segment_align: 8
    .kernarg_segment_size: 156
    .language:       OpenCL C
    .language_version:
      - 2
      - 0
    .max_flat_workgroup_size: 1024
    .name:           _ZN9rocsparseL41csrgemm_numeric_fill_block_per_row_kernelILj1024ELj64ELj16384ELj137ELj64ElidEEvT5_PKS1_S3_NS_24const_host_device_scalarIT6_EEPKT4_S3_PKS5_S9_S3_SB_S6_S9_S3_SB_S9_S3_PS5_21rocsparse_index_base_SD_SD_SD_bbb
    .private_segment_fixed_size: 0
    .sgpr_count:     46
    .sgpr_spill_count: 0
    .symbol:         _ZN9rocsparseL41csrgemm_numeric_fill_block_per_row_kernelILj1024ELj64ELj16384ELj137ELj64ElidEEvT5_PKS1_S3_NS_24const_host_device_scalarIT6_EEPKT4_S3_PKS5_S9_S3_SB_S6_S9_S3_SB_S9_S3_PS5_21rocsparse_index_base_SD_SD_SD_bbb.kd
    .uniform_work_group_size: 1
    .uses_dynamic_stack: false
    .vgpr_count:     25
    .vgpr_spill_count: 0
    .wavefront_size: 32
  - .args:
      - .offset:         0
        .size:           4
        .value_kind:     by_value
      - .actual_access:  read_only
        .address_space:  global
        .offset:         8
        .size:           8
        .value_kind:     global_buffer
      - .actual_access:  read_only
        .address_space:  global
        .offset:         16
        .size:           8
        .value_kind:     global_buffer
      - .offset:         24
        .size:           8
        .value_kind:     by_value
      - .actual_access:  read_only
        .address_space:  global
        .offset:         32
        .size:           8
        .value_kind:     global_buffer
      - .actual_access:  read_only
        .address_space:  global
        .offset:         40
        .size:           8
        .value_kind:     global_buffer
      - .actual_access:  read_only
        .address_space:  global
        .offset:         48
        .size:           8
        .value_kind:     global_buffer
      - .actual_access:  read_only
        .address_space:  global
        .offset:         56
        .size:           8
        .value_kind:     global_buffer
      - .actual_access:  read_only
        .address_space:  global
        .offset:         64
        .size:           8
        .value_kind:     global_buffer
      - .actual_access:  read_only
        .address_space:  global
        .offset:         72
        .size:           8
        .value_kind:     global_buffer
      - .offset:         80
        .size:           8
        .value_kind:     by_value
      - .actual_access:  read_only
        .address_space:  global
        .offset:         88
        .size:           8
        .value_kind:     global_buffer
      - .actual_access:  read_only
        .address_space:  global
        .offset:         96
        .size:           8
        .value_kind:     global_buffer
      - .actual_access:  read_only
        .address_space:  global
        .offset:         104
        .size:           8
        .value_kind:     global_buffer
      - .actual_access:  read_only
        .address_space:  global
        .offset:         112
        .size:           8
        .value_kind:     global_buffer
      - .actual_access:  read_only
        .address_space:  global
        .offset:         120
        .size:           8
        .value_kind:     global_buffer
      - .actual_access:  write_only
        .address_space:  global
        .offset:         128
        .size:           8
        .value_kind:     global_buffer
      - .offset:         136
        .size:           4
        .value_kind:     by_value
      - .offset:         140
        .size:           4
        .value_kind:     by_value
      - .offset:         144
        .size:           4
        .value_kind:     by_value
      - .offset:         148
        .size:           4
        .value_kind:     by_value
      - .offset:         152
        .size:           1
        .value_kind:     by_value
      - .offset:         153
        .size:           1
        .value_kind:     by_value
      - .offset:         154
        .size:           1
        .value_kind:     by_value
    .group_segment_fixed_size: 0
    .kernarg_segment_align: 8
    .kernarg_segment_size: 156
    .language:       OpenCL C
    .language_version:
      - 2
      - 0
    .max_flat_workgroup_size: 1024
    .name:           _ZN9rocsparseL41csrgemm_numeric_fill_block_per_row_kernelILj1024ELj64ELj32768ELj137ELj32ElidEEvT5_PKS1_S3_NS_24const_host_device_scalarIT6_EEPKT4_S3_PKS5_S9_S3_SB_S6_S9_S3_SB_S9_S3_PS5_21rocsparse_index_base_SD_SD_SD_bbb
    .private_segment_fixed_size: 0
    .sgpr_count:     76
    .sgpr_spill_count: 0
    .symbol:         _ZN9rocsparseL41csrgemm_numeric_fill_block_per_row_kernelILj1024ELj64ELj32768ELj137ELj32ElidEEvT5_PKS1_S3_NS_24const_host_device_scalarIT6_EEPKT4_S3_PKS5_S9_S3_SB_S6_S9_S3_SB_S9_S3_PS5_21rocsparse_index_base_SD_SD_SD_bbb.kd
    .uniform_work_group_size: 1
    .uses_dynamic_stack: false
    .vgpr_count:     24
    .vgpr_spill_count: 0
    .wavefront_size: 32
  - .args:
      - .offset:         0
        .size:           4
        .value_kind:     by_value
      - .actual_access:  read_only
        .address_space:  global
        .offset:         8
        .size:           8
        .value_kind:     global_buffer
      - .actual_access:  read_only
        .address_space:  global
        .offset:         16
        .size:           8
        .value_kind:     global_buffer
      - .offset:         24
        .size:           8
        .value_kind:     by_value
      - .actual_access:  read_only
        .address_space:  global
        .offset:         32
        .size:           8
        .value_kind:     global_buffer
      - .actual_access:  read_only
        .address_space:  global
        .offset:         40
        .size:           8
        .value_kind:     global_buffer
      - .actual_access:  read_only
        .address_space:  global
        .offset:         48
        .size:           8
        .value_kind:     global_buffer
      - .actual_access:  read_only
        .address_space:  global
        .offset:         56
        .size:           8
        .value_kind:     global_buffer
      - .actual_access:  read_only
        .address_space:  global
        .offset:         64
        .size:           8
        .value_kind:     global_buffer
      - .actual_access:  read_only
        .address_space:  global
        .offset:         72
        .size:           8
        .value_kind:     global_buffer
      - .offset:         80
        .size:           8
        .value_kind:     by_value
      - .actual_access:  read_only
        .address_space:  global
        .offset:         88
        .size:           8
        .value_kind:     global_buffer
      - .actual_access:  read_only
        .address_space:  global
        .offset:         96
        .size:           8
        .value_kind:     global_buffer
      - .actual_access:  read_only
        .address_space:  global
        .offset:         104
        .size:           8
        .value_kind:     global_buffer
      - .actual_access:  read_only
        .address_space:  global
        .offset:         112
        .size:           8
        .value_kind:     global_buffer
      - .actual_access:  read_only
        .address_space:  global
        .offset:         120
        .size:           8
        .value_kind:     global_buffer
      - .actual_access:  write_only
        .address_space:  global
        .offset:         128
        .size:           8
        .value_kind:     global_buffer
      - .offset:         136
        .size:           4
        .value_kind:     by_value
      - .offset:         140
        .size:           4
        .value_kind:     by_value
      - .offset:         144
        .size:           4
        .value_kind:     by_value
      - .offset:         148
        .size:           4
        .value_kind:     by_value
      - .offset:         152
        .size:           1
        .value_kind:     by_value
      - .offset:         153
        .size:           1
        .value_kind:     by_value
      - .offset:         154
        .size:           1
        .value_kind:     by_value
    .group_segment_fixed_size: 0
    .kernarg_segment_align: 8
    .kernarg_segment_size: 156
    .language:       OpenCL C
    .language_version:
      - 2
      - 0
    .max_flat_workgroup_size: 1024
    .name:           _ZN9rocsparseL41csrgemm_numeric_fill_block_per_row_kernelILj1024ELj64ELj32768ELj137ELj64ElidEEvT5_PKS1_S3_NS_24const_host_device_scalarIT6_EEPKT4_S3_PKS5_S9_S3_SB_S6_S9_S3_SB_S9_S3_PS5_21rocsparse_index_base_SD_SD_SD_bbb
    .private_segment_fixed_size: 0
    .sgpr_count:     46
    .sgpr_spill_count: 0
    .symbol:         _ZN9rocsparseL41csrgemm_numeric_fill_block_per_row_kernelILj1024ELj64ELj32768ELj137ELj64ElidEEvT5_PKS1_S3_NS_24const_host_device_scalarIT6_EEPKT4_S3_PKS5_S9_S3_SB_S6_S9_S3_SB_S9_S3_PS5_21rocsparse_index_base_SD_SD_SD_bbb.kd
    .uniform_work_group_size: 1
    .uses_dynamic_stack: false
    .vgpr_count:     25
    .vgpr_spill_count: 0
    .wavefront_size: 32
  - .args:
      - .offset:         0
        .size:           4
        .value_kind:     by_value
      - .actual_access:  read_only
        .address_space:  global
        .offset:         8
        .size:           8
        .value_kind:     global_buffer
      - .actual_access:  read_only
        .address_space:  global
        .offset:         16
        .size:           8
        .value_kind:     global_buffer
      - .offset:         24
        .size:           8
        .value_kind:     by_value
      - .actual_access:  read_only
        .address_space:  global
        .offset:         32
        .size:           8
        .value_kind:     global_buffer
      - .actual_access:  read_only
        .address_space:  global
        .offset:         40
        .size:           8
        .value_kind:     global_buffer
      - .actual_access:  read_only
        .address_space:  global
        .offset:         48
        .size:           8
        .value_kind:     global_buffer
      - .actual_access:  read_only
        .address_space:  global
        .offset:         56
        .size:           8
        .value_kind:     global_buffer
      - .actual_access:  read_only
        .address_space:  global
        .offset:         64
        .size:           8
        .value_kind:     global_buffer
      - .actual_access:  read_only
        .address_space:  global
        .offset:         72
        .size:           8
        .value_kind:     global_buffer
      - .offset:         80
        .size:           8
        .value_kind:     by_value
      - .actual_access:  read_only
        .address_space:  global
        .offset:         88
        .size:           8
        .value_kind:     global_buffer
      - .actual_access:  read_only
        .address_space:  global
        .offset:         96
        .size:           8
        .value_kind:     global_buffer
      - .actual_access:  read_only
        .address_space:  global
        .offset:         104
        .size:           8
        .value_kind:     global_buffer
      - .actual_access:  read_only
        .address_space:  global
        .offset:         112
        .size:           8
        .value_kind:     global_buffer
      - .actual_access:  read_only
        .address_space:  global
        .offset:         120
        .size:           8
        .value_kind:     global_buffer
      - .actual_access:  write_only
        .address_space:  global
        .offset:         128
        .size:           8
        .value_kind:     global_buffer
      - .address_space:  global
        .offset:         136
        .size:           8
        .value_kind:     global_buffer
      - .offset:         144
        .size:           4
        .value_kind:     by_value
      - .offset:         148
        .size:           4
        .value_kind:     by_value
      - .offset:         152
        .size:           4
        .value_kind:     by_value
      - .offset:         156
        .size:           4
        .value_kind:     by_value
      - .offset:         160
        .size:           1
        .value_kind:     by_value
      - .offset:         161
        .size:           1
        .value_kind:     by_value
      - .offset:         162
        .size:           1
        .value_kind:     by_value
    .group_segment_fixed_size: 18440
    .kernarg_segment_align: 8
    .kernarg_segment_size: 164
    .language:       OpenCL C
    .language_version:
      - 2
      - 0
    .max_flat_workgroup_size: 512
    .name:           _ZN9rocsparseL51csrgemm_numeric_fill_block_per_row_multipass_kernelILj512ELj16ELj2048ELj32ElidEEvT4_PKS1_S3_NS_24const_host_device_scalarIT5_EEPKT3_S3_PKS5_S9_S3_SB_S6_S9_S3_SB_S9_S3_PS5_PS7_21rocsparse_index_base_SE_SE_SE_bbb
    .private_segment_fixed_size: 0
    .sgpr_count:     63
    .sgpr_spill_count: 0
    .symbol:         _ZN9rocsparseL51csrgemm_numeric_fill_block_per_row_multipass_kernelILj512ELj16ELj2048ELj32ElidEEvT4_PKS1_S3_NS_24const_host_device_scalarIT5_EEPKT3_S3_PKS5_S9_S3_SB_S6_S9_S3_SB_S9_S3_PS5_PS7_21rocsparse_index_base_SE_SE_SE_bbb.kd
    .uniform_work_group_size: 1
    .uses_dynamic_stack: false
    .vgpr_count:     47
    .vgpr_spill_count: 0
    .wavefront_size: 32
  - .args:
      - .offset:         0
        .size:           4
        .value_kind:     by_value
      - .actual_access:  read_only
        .address_space:  global
        .offset:         8
        .size:           8
        .value_kind:     global_buffer
      - .actual_access:  read_only
        .address_space:  global
        .offset:         16
        .size:           8
        .value_kind:     global_buffer
      - .offset:         24
        .size:           8
        .value_kind:     by_value
      - .actual_access:  read_only
        .address_space:  global
        .offset:         32
        .size:           8
        .value_kind:     global_buffer
      - .actual_access:  read_only
        .address_space:  global
        .offset:         40
        .size:           8
        .value_kind:     global_buffer
      - .actual_access:  read_only
        .address_space:  global
        .offset:         48
        .size:           8
        .value_kind:     global_buffer
      - .actual_access:  read_only
        .address_space:  global
        .offset:         56
        .size:           8
        .value_kind:     global_buffer
      - .actual_access:  read_only
        .address_space:  global
        .offset:         64
        .size:           8
        .value_kind:     global_buffer
      - .actual_access:  read_only
        .address_space:  global
        .offset:         72
        .size:           8
        .value_kind:     global_buffer
      - .offset:         80
        .size:           8
        .value_kind:     by_value
      - .actual_access:  read_only
        .address_space:  global
        .offset:         88
        .size:           8
        .value_kind:     global_buffer
      - .actual_access:  read_only
        .address_space:  global
        .offset:         96
        .size:           8
        .value_kind:     global_buffer
      - .actual_access:  read_only
        .address_space:  global
        .offset:         104
        .size:           8
        .value_kind:     global_buffer
      - .actual_access:  read_only
        .address_space:  global
        .offset:         112
        .size:           8
        .value_kind:     global_buffer
      - .actual_access:  read_only
        .address_space:  global
        .offset:         120
        .size:           8
        .value_kind:     global_buffer
      - .actual_access:  write_only
        .address_space:  global
        .offset:         128
        .size:           8
        .value_kind:     global_buffer
      - .address_space:  global
        .offset:         136
        .size:           8
        .value_kind:     global_buffer
      - .offset:         144
        .size:           4
        .value_kind:     by_value
      - .offset:         148
        .size:           4
        .value_kind:     by_value
      - .offset:         152
        .size:           4
        .value_kind:     by_value
      - .offset:         156
        .size:           4
        .value_kind:     by_value
      - .offset:         160
        .size:           1
        .value_kind:     by_value
      - .offset:         161
        .size:           1
        .value_kind:     by_value
      - .offset:         162
        .size:           1
        .value_kind:     by_value
    .group_segment_fixed_size: 18440
    .kernarg_segment_align: 8
    .kernarg_segment_size: 164
    .language:       OpenCL C
    .language_version:
      - 2
      - 0
    .max_flat_workgroup_size: 512
    .name:           _ZN9rocsparseL51csrgemm_numeric_fill_block_per_row_multipass_kernelILj512ELj16ELj2048ELj64ElidEEvT4_PKS1_S3_NS_24const_host_device_scalarIT5_EEPKT3_S3_PKS5_S9_S3_SB_S6_S9_S3_SB_S9_S3_PS5_PS7_21rocsparse_index_base_SE_SE_SE_bbb
    .private_segment_fixed_size: 0
    .sgpr_count:     55
    .sgpr_spill_count: 0
    .symbol:         _ZN9rocsparseL51csrgemm_numeric_fill_block_per_row_multipass_kernelILj512ELj16ELj2048ELj64ElidEEvT4_PKS1_S3_NS_24const_host_device_scalarIT5_EEPKT3_S3_PKS5_S9_S3_SB_S6_S9_S3_SB_S9_S3_PS5_PS7_21rocsparse_index_base_SE_SE_SE_bbb.kd
    .uniform_work_group_size: 1
    .uses_dynamic_stack: false
    .vgpr_count:     47
    .vgpr_spill_count: 0
    .wavefront_size: 32
  - .args:
      - .offset:         0
        .size:           4
        .value_kind:     by_value
      - .offset:         4
        .size:           4
        .value_kind:     by_value
      - .actual_access:  read_only
        .address_space:  global
        .offset:         8
        .size:           8
        .value_kind:     global_buffer
      - .actual_access:  read_only
        .address_space:  global
        .offset:         16
        .size:           8
        .value_kind:     global_buffer
      - .offset:         24
        .size:           8
        .value_kind:     by_value
      - .actual_access:  read_only
        .address_space:  global
        .offset:         32
        .size:           8
        .value_kind:     global_buffer
      - .actual_access:  read_only
        .address_space:  global
        .offset:         40
        .size:           8
        .value_kind:     global_buffer
      - .actual_access:  read_only
        .address_space:  global
        .offset:         48
        .size:           8
        .value_kind:     global_buffer
      - .actual_access:  read_only
        .address_space:  global
        .offset:         56
        .size:           8
        .value_kind:     global_buffer
      - .actual_access:  read_only
        .address_space:  global
        .offset:         64
        .size:           8
        .value_kind:     global_buffer
      - .actual_access:  read_only
        .address_space:  global
        .offset:         72
        .size:           8
        .value_kind:     global_buffer
      - .offset:         80
        .size:           8
        .value_kind:     by_value
      - .actual_access:  read_only
        .address_space:  global
        .offset:         88
        .size:           8
        .value_kind:     global_buffer
      - .actual_access:  read_only
        .address_space:  global
        .offset:         96
        .size:           8
        .value_kind:     global_buffer
      - .actual_access:  read_only
        .address_space:  global
        .offset:         104
        .size:           8
        .value_kind:     global_buffer
      - .actual_access:  read_only
        .address_space:  global
        .offset:         112
        .size:           8
        .value_kind:     global_buffer
      - .actual_access:  read_only
        .address_space:  global
        .offset:         120
        .size:           8
        .value_kind:     global_buffer
      - .actual_access:  write_only
        .address_space:  global
        .offset:         128
        .size:           8
        .value_kind:     global_buffer
      - .offset:         136
        .size:           4
        .value_kind:     by_value
      - .offset:         140
        .size:           4
        .value_kind:     by_value
      - .offset:         144
        .size:           4
        .value_kind:     by_value
      - .offset:         148
        .size:           4
        .value_kind:     by_value
      - .offset:         152
        .size:           1
        .value_kind:     by_value
      - .offset:         153
        .size:           1
        .value_kind:     by_value
      - .offset:         154
        .size:           1
        .value_kind:     by_value
    .group_segment_fixed_size: 6144
    .kernarg_segment_align: 8
    .kernarg_segment_size: 156
    .language:       OpenCL C
    .language_version:
      - 2
      - 0
    .max_flat_workgroup_size: 256
    .name:           _ZN9rocsparseL38csrgemm_numeric_fill_wf_per_row_kernelILj256ELj8ELj16ELj137Eli21rocsparse_complex_numIfEEEvT4_S3_PKS3_S5_NS_24const_host_device_scalarIT5_EEPKT3_S5_PKS7_SB_S5_SD_S8_SB_S5_SD_SB_S5_PS7_21rocsparse_index_base_SF_SF_SF_bbb
    .private_segment_fixed_size: 0
    .sgpr_count:     44
    .sgpr_spill_count: 0
    .symbol:         _ZN9rocsparseL38csrgemm_numeric_fill_wf_per_row_kernelILj256ELj8ELj16ELj137Eli21rocsparse_complex_numIfEEEvT4_S3_PKS3_S5_NS_24const_host_device_scalarIT5_EEPKT3_S5_PKS7_SB_S5_SD_S8_SB_S5_SD_SB_S5_PS7_21rocsparse_index_base_SF_SF_SF_bbb.kd
    .uniform_work_group_size: 1
    .uses_dynamic_stack: false
    .vgpr_count:     24
    .vgpr_spill_count: 0
    .wavefront_size: 32
  - .args:
      - .offset:         0
        .size:           4
        .value_kind:     by_value
      - .offset:         4
        .size:           4
        .value_kind:     by_value
      - .actual_access:  read_only
        .address_space:  global
        .offset:         8
        .size:           8
        .value_kind:     global_buffer
      - .actual_access:  read_only
        .address_space:  global
        .offset:         16
        .size:           8
        .value_kind:     global_buffer
      - .offset:         24
        .size:           8
        .value_kind:     by_value
      - .actual_access:  read_only
        .address_space:  global
        .offset:         32
        .size:           8
        .value_kind:     global_buffer
      - .actual_access:  read_only
        .address_space:  global
        .offset:         40
        .size:           8
        .value_kind:     global_buffer
      - .actual_access:  read_only
        .address_space:  global
        .offset:         48
        .size:           8
        .value_kind:     global_buffer
      - .actual_access:  read_only
        .address_space:  global
        .offset:         56
        .size:           8
        .value_kind:     global_buffer
      - .actual_access:  read_only
        .address_space:  global
        .offset:         64
        .size:           8
        .value_kind:     global_buffer
      - .actual_access:  read_only
        .address_space:  global
        .offset:         72
        .size:           8
        .value_kind:     global_buffer
      - .offset:         80
        .size:           8
        .value_kind:     by_value
      - .actual_access:  read_only
        .address_space:  global
        .offset:         88
        .size:           8
        .value_kind:     global_buffer
      - .actual_access:  read_only
        .address_space:  global
        .offset:         96
        .size:           8
        .value_kind:     global_buffer
      - .actual_access:  read_only
        .address_space:  global
        .offset:         104
        .size:           8
        .value_kind:     global_buffer
      - .actual_access:  read_only
        .address_space:  global
        .offset:         112
        .size:           8
        .value_kind:     global_buffer
      - .actual_access:  read_only
        .address_space:  global
        .offset:         120
        .size:           8
        .value_kind:     global_buffer
      - .actual_access:  write_only
        .address_space:  global
        .offset:         128
        .size:           8
        .value_kind:     global_buffer
      - .offset:         136
        .size:           4
        .value_kind:     by_value
      - .offset:         140
        .size:           4
        .value_kind:     by_value
      - .offset:         144
        .size:           4
        .value_kind:     by_value
      - .offset:         148
        .size:           4
        .value_kind:     by_value
      - .offset:         152
        .size:           1
        .value_kind:     by_value
      - .offset:         153
        .size:           1
        .value_kind:     by_value
      - .offset:         154
        .size:           1
        .value_kind:     by_value
    .group_segment_fixed_size: 6144
    .kernarg_segment_align: 8
    .kernarg_segment_size: 156
    .language:       OpenCL C
    .language_version:
      - 2
      - 0
    .max_flat_workgroup_size: 256
    .name:           _ZN9rocsparseL38csrgemm_numeric_fill_wf_per_row_kernelILj256ELj16ELj32ELj137Eli21rocsparse_complex_numIfEEEvT4_S3_PKS3_S5_NS_24const_host_device_scalarIT5_EEPKT3_S5_PKS7_SB_S5_SD_S8_SB_S5_SD_SB_S5_PS7_21rocsparse_index_base_SF_SF_SF_bbb
    .private_segment_fixed_size: 0
    .sgpr_count:     44
    .sgpr_spill_count: 0
    .symbol:         _ZN9rocsparseL38csrgemm_numeric_fill_wf_per_row_kernelILj256ELj16ELj32ELj137Eli21rocsparse_complex_numIfEEEvT4_S3_PKS3_S5_NS_24const_host_device_scalarIT5_EEPKT3_S5_PKS7_SB_S5_SD_S8_SB_S5_SD_SB_S5_PS7_21rocsparse_index_base_SF_SF_SF_bbb.kd
    .uniform_work_group_size: 1
    .uses_dynamic_stack: false
    .vgpr_count:     24
    .vgpr_spill_count: 0
    .wavefront_size: 32
  - .args:
      - .offset:         0
        .size:           4
        .value_kind:     by_value
      - .actual_access:  read_only
        .address_space:  global
        .offset:         8
        .size:           8
        .value_kind:     global_buffer
      - .actual_access:  read_only
        .address_space:  global
        .offset:         16
        .size:           8
        .value_kind:     global_buffer
      - .offset:         24
        .size:           8
        .value_kind:     by_value
      - .actual_access:  read_only
        .address_space:  global
        .offset:         32
        .size:           8
        .value_kind:     global_buffer
      - .actual_access:  read_only
        .address_space:  global
        .offset:         40
        .size:           8
        .value_kind:     global_buffer
      - .actual_access:  read_only
        .address_space:  global
        .offset:         48
        .size:           8
        .value_kind:     global_buffer
      - .actual_access:  read_only
        .address_space:  global
        .offset:         56
        .size:           8
        .value_kind:     global_buffer
      - .actual_access:  read_only
        .address_space:  global
        .offset:         64
        .size:           8
        .value_kind:     global_buffer
      - .actual_access:  read_only
        .address_space:  global
        .offset:         72
        .size:           8
        .value_kind:     global_buffer
      - .offset:         80
        .size:           8
        .value_kind:     by_value
      - .actual_access:  read_only
        .address_space:  global
        .offset:         88
        .size:           8
        .value_kind:     global_buffer
      - .actual_access:  read_only
        .address_space:  global
        .offset:         96
        .size:           8
        .value_kind:     global_buffer
      - .actual_access:  read_only
        .address_space:  global
        .offset:         104
        .size:           8
        .value_kind:     global_buffer
      - .actual_access:  read_only
        .address_space:  global
        .offset:         112
        .size:           8
        .value_kind:     global_buffer
      - .actual_access:  read_only
        .address_space:  global
        .offset:         120
        .size:           8
        .value_kind:     global_buffer
      - .actual_access:  write_only
        .address_space:  global
        .offset:         128
        .size:           8
        .value_kind:     global_buffer
      - .offset:         136
        .size:           4
        .value_kind:     by_value
      - .offset:         140
        .size:           4
        .value_kind:     by_value
      - .offset:         144
        .size:           4
        .value_kind:     by_value
      - .offset:         148
        .size:           4
        .value_kind:     by_value
      - .offset:         152
        .size:           1
        .value_kind:     by_value
      - .offset:         153
        .size:           1
        .value_kind:     by_value
      - .offset:         154
        .size:           1
        .value_kind:     by_value
    .group_segment_fixed_size: 0
    .kernarg_segment_align: 8
    .kernarg_segment_size: 156
    .language:       OpenCL C
    .language_version:
      - 2
      - 0
    .max_flat_workgroup_size: 128
    .name:           _ZN9rocsparseL41csrgemm_numeric_fill_block_per_row_kernelILj128ELj16ELj256ELj137ELj32Eli21rocsparse_complex_numIfEEEvT5_PKS3_S5_NS_24const_host_device_scalarIT6_EEPKT4_S5_PKS7_SB_S5_SD_S8_SB_S5_SD_SB_S5_PS7_21rocsparse_index_base_SF_SF_SF_bbb
    .private_segment_fixed_size: 0
    .sgpr_count:     50
    .sgpr_spill_count: 0
    .symbol:         _ZN9rocsparseL41csrgemm_numeric_fill_block_per_row_kernelILj128ELj16ELj256ELj137ELj32Eli21rocsparse_complex_numIfEEEvT5_PKS3_S5_NS_24const_host_device_scalarIT6_EEPKT4_S5_PKS7_SB_S5_SD_S8_SB_S5_SD_SB_S5_PS7_21rocsparse_index_base_SF_SF_SF_bbb.kd
    .uniform_work_group_size: 1
    .uses_dynamic_stack: false
    .vgpr_count:     20
    .vgpr_spill_count: 0
    .wavefront_size: 32
  - .args:
      - .offset:         0
        .size:           4
        .value_kind:     by_value
      - .actual_access:  read_only
        .address_space:  global
        .offset:         8
        .size:           8
        .value_kind:     global_buffer
      - .actual_access:  read_only
        .address_space:  global
        .offset:         16
        .size:           8
        .value_kind:     global_buffer
      - .offset:         24
        .size:           8
        .value_kind:     by_value
      - .actual_access:  read_only
        .address_space:  global
        .offset:         32
        .size:           8
        .value_kind:     global_buffer
      - .actual_access:  read_only
        .address_space:  global
        .offset:         40
        .size:           8
        .value_kind:     global_buffer
      - .actual_access:  read_only
        .address_space:  global
        .offset:         48
        .size:           8
        .value_kind:     global_buffer
      - .actual_access:  read_only
        .address_space:  global
        .offset:         56
        .size:           8
        .value_kind:     global_buffer
      - .actual_access:  read_only
        .address_space:  global
        .offset:         64
        .size:           8
        .value_kind:     global_buffer
      - .actual_access:  read_only
        .address_space:  global
        .offset:         72
        .size:           8
        .value_kind:     global_buffer
      - .offset:         80
        .size:           8
        .value_kind:     by_value
      - .actual_access:  read_only
        .address_space:  global
        .offset:         88
        .size:           8
        .value_kind:     global_buffer
      - .actual_access:  read_only
        .address_space:  global
        .offset:         96
        .size:           8
        .value_kind:     global_buffer
      - .actual_access:  read_only
        .address_space:  global
        .offset:         104
        .size:           8
        .value_kind:     global_buffer
      - .actual_access:  read_only
        .address_space:  global
        .offset:         112
        .size:           8
        .value_kind:     global_buffer
      - .actual_access:  read_only
        .address_space:  global
        .offset:         120
        .size:           8
        .value_kind:     global_buffer
      - .actual_access:  write_only
        .address_space:  global
        .offset:         128
        .size:           8
        .value_kind:     global_buffer
      - .offset:         136
        .size:           4
        .value_kind:     by_value
      - .offset:         140
        .size:           4
        .value_kind:     by_value
      - .offset:         144
        .size:           4
        .value_kind:     by_value
      - .offset:         148
        .size:           4
        .value_kind:     by_value
      - .offset:         152
        .size:           1
        .value_kind:     by_value
      - .offset:         153
        .size:           1
        .value_kind:     by_value
      - .offset:         154
        .size:           1
        .value_kind:     by_value
    .group_segment_fixed_size: 0
    .kernarg_segment_align: 8
    .kernarg_segment_size: 156
    .language:       OpenCL C
    .language_version:
      - 2
      - 0
    .max_flat_workgroup_size: 128
    .name:           _ZN9rocsparseL41csrgemm_numeric_fill_block_per_row_kernelILj128ELj16ELj256ELj137ELj64Eli21rocsparse_complex_numIfEEEvT5_PKS3_S5_NS_24const_host_device_scalarIT6_EEPKT4_S5_PKS7_SB_S5_SD_S8_SB_S5_SD_SB_S5_PS7_21rocsparse_index_base_SF_SF_SF_bbb
    .private_segment_fixed_size: 0
    .sgpr_count:     50
    .sgpr_spill_count: 0
    .symbol:         _ZN9rocsparseL41csrgemm_numeric_fill_block_per_row_kernelILj128ELj16ELj256ELj137ELj64Eli21rocsparse_complex_numIfEEEvT5_PKS3_S5_NS_24const_host_device_scalarIT6_EEPKT4_S5_PKS7_SB_S5_SD_S8_SB_S5_SD_SB_S5_PS7_21rocsparse_index_base_SF_SF_SF_bbb.kd
    .uniform_work_group_size: 1
    .uses_dynamic_stack: false
    .vgpr_count:     21
    .vgpr_spill_count: 0
    .wavefront_size: 32
  - .args:
      - .offset:         0
        .size:           4
        .value_kind:     by_value
      - .actual_access:  read_only
        .address_space:  global
        .offset:         8
        .size:           8
        .value_kind:     global_buffer
      - .actual_access:  read_only
        .address_space:  global
        .offset:         16
        .size:           8
        .value_kind:     global_buffer
      - .offset:         24
        .size:           8
        .value_kind:     by_value
      - .actual_access:  read_only
        .address_space:  global
        .offset:         32
        .size:           8
        .value_kind:     global_buffer
      - .actual_access:  read_only
        .address_space:  global
        .offset:         40
        .size:           8
        .value_kind:     global_buffer
      - .actual_access:  read_only
        .address_space:  global
        .offset:         48
        .size:           8
        .value_kind:     global_buffer
      - .actual_access:  read_only
        .address_space:  global
        .offset:         56
        .size:           8
        .value_kind:     global_buffer
      - .actual_access:  read_only
        .address_space:  global
        .offset:         64
        .size:           8
        .value_kind:     global_buffer
      - .actual_access:  read_only
        .address_space:  global
        .offset:         72
        .size:           8
        .value_kind:     global_buffer
      - .offset:         80
        .size:           8
        .value_kind:     by_value
      - .actual_access:  read_only
        .address_space:  global
        .offset:         88
        .size:           8
        .value_kind:     global_buffer
      - .actual_access:  read_only
        .address_space:  global
        .offset:         96
        .size:           8
        .value_kind:     global_buffer
      - .actual_access:  read_only
        .address_space:  global
        .offset:         104
        .size:           8
        .value_kind:     global_buffer
      - .actual_access:  read_only
        .address_space:  global
        .offset:         112
        .size:           8
        .value_kind:     global_buffer
      - .actual_access:  read_only
        .address_space:  global
        .offset:         120
        .size:           8
        .value_kind:     global_buffer
      - .actual_access:  write_only
        .address_space:  global
        .offset:         128
        .size:           8
        .value_kind:     global_buffer
      - .offset:         136
        .size:           4
        .value_kind:     by_value
      - .offset:         140
        .size:           4
        .value_kind:     by_value
      - .offset:         144
        .size:           4
        .value_kind:     by_value
      - .offset:         148
        .size:           4
        .value_kind:     by_value
      - .offset:         152
        .size:           1
        .value_kind:     by_value
      - .offset:         153
        .size:           1
        .value_kind:     by_value
      - .offset:         154
        .size:           1
        .value_kind:     by_value
    .group_segment_fixed_size: 0
    .kernarg_segment_align: 8
    .kernarg_segment_size: 156
    .language:       OpenCL C
    .language_version:
      - 2
      - 0
    .max_flat_workgroup_size: 256
    .name:           _ZN9rocsparseL41csrgemm_numeric_fill_block_per_row_kernelILj256ELj32ELj512ELj137ELj32Eli21rocsparse_complex_numIfEEEvT5_PKS3_S5_NS_24const_host_device_scalarIT6_EEPKT4_S5_PKS7_SB_S5_SD_S8_SB_S5_SD_SB_S5_PS7_21rocsparse_index_base_SF_SF_SF_bbb
    .private_segment_fixed_size: 0
    .sgpr_count:     50
    .sgpr_spill_count: 0
    .symbol:         _ZN9rocsparseL41csrgemm_numeric_fill_block_per_row_kernelILj256ELj32ELj512ELj137ELj32Eli21rocsparse_complex_numIfEEEvT5_PKS3_S5_NS_24const_host_device_scalarIT6_EEPKT4_S5_PKS7_SB_S5_SD_S8_SB_S5_SD_SB_S5_PS7_21rocsparse_index_base_SF_SF_SF_bbb.kd
    .uniform_work_group_size: 1
    .uses_dynamic_stack: false
    .vgpr_count:     21
    .vgpr_spill_count: 0
    .wavefront_size: 32
  - .args:
      - .offset:         0
        .size:           4
        .value_kind:     by_value
      - .actual_access:  read_only
        .address_space:  global
        .offset:         8
        .size:           8
        .value_kind:     global_buffer
      - .actual_access:  read_only
        .address_space:  global
        .offset:         16
        .size:           8
        .value_kind:     global_buffer
      - .offset:         24
        .size:           8
        .value_kind:     by_value
      - .actual_access:  read_only
        .address_space:  global
        .offset:         32
        .size:           8
        .value_kind:     global_buffer
      - .actual_access:  read_only
        .address_space:  global
        .offset:         40
        .size:           8
        .value_kind:     global_buffer
      - .actual_access:  read_only
        .address_space:  global
        .offset:         48
        .size:           8
        .value_kind:     global_buffer
      - .actual_access:  read_only
        .address_space:  global
        .offset:         56
        .size:           8
        .value_kind:     global_buffer
      - .actual_access:  read_only
        .address_space:  global
        .offset:         64
        .size:           8
        .value_kind:     global_buffer
      - .actual_access:  read_only
        .address_space:  global
        .offset:         72
        .size:           8
        .value_kind:     global_buffer
      - .offset:         80
        .size:           8
        .value_kind:     by_value
      - .actual_access:  read_only
        .address_space:  global
        .offset:         88
        .size:           8
        .value_kind:     global_buffer
      - .actual_access:  read_only
        .address_space:  global
        .offset:         96
        .size:           8
        .value_kind:     global_buffer
      - .actual_access:  read_only
        .address_space:  global
        .offset:         104
        .size:           8
        .value_kind:     global_buffer
      - .actual_access:  read_only
        .address_space:  global
        .offset:         112
        .size:           8
        .value_kind:     global_buffer
      - .actual_access:  read_only
        .address_space:  global
        .offset:         120
        .size:           8
        .value_kind:     global_buffer
      - .actual_access:  write_only
        .address_space:  global
        .offset:         128
        .size:           8
        .value_kind:     global_buffer
      - .offset:         136
        .size:           4
        .value_kind:     by_value
      - .offset:         140
        .size:           4
        .value_kind:     by_value
      - .offset:         144
        .size:           4
        .value_kind:     by_value
      - .offset:         148
        .size:           4
        .value_kind:     by_value
      - .offset:         152
        .size:           1
        .value_kind:     by_value
      - .offset:         153
        .size:           1
        .value_kind:     by_value
      - .offset:         154
        .size:           1
        .value_kind:     by_value
    .group_segment_fixed_size: 0
    .kernarg_segment_align: 8
    .kernarg_segment_size: 156
    .language:       OpenCL C
    .language_version:
      - 2
      - 0
    .max_flat_workgroup_size: 256
    .name:           _ZN9rocsparseL41csrgemm_numeric_fill_block_per_row_kernelILj256ELj32ELj512ELj137ELj64Eli21rocsparse_complex_numIfEEEvT5_PKS3_S5_NS_24const_host_device_scalarIT6_EEPKT4_S5_PKS7_SB_S5_SD_S8_SB_S5_SD_SB_S5_PS7_21rocsparse_index_base_SF_SF_SF_bbb
    .private_segment_fixed_size: 0
    .sgpr_count:     50
    .sgpr_spill_count: 0
    .symbol:         _ZN9rocsparseL41csrgemm_numeric_fill_block_per_row_kernelILj256ELj32ELj512ELj137ELj64Eli21rocsparse_complex_numIfEEEvT5_PKS3_S5_NS_24const_host_device_scalarIT6_EEPKT4_S5_PKS7_SB_S5_SD_S8_SB_S5_SD_SB_S5_PS7_21rocsparse_index_base_SF_SF_SF_bbb.kd
    .uniform_work_group_size: 1
    .uses_dynamic_stack: false
    .vgpr_count:     20
    .vgpr_spill_count: 0
    .wavefront_size: 32
  - .args:
      - .offset:         0
        .size:           4
        .value_kind:     by_value
      - .actual_access:  read_only
        .address_space:  global
        .offset:         8
        .size:           8
        .value_kind:     global_buffer
      - .actual_access:  read_only
        .address_space:  global
        .offset:         16
        .size:           8
        .value_kind:     global_buffer
      - .offset:         24
        .size:           8
        .value_kind:     by_value
      - .actual_access:  read_only
        .address_space:  global
        .offset:         32
        .size:           8
        .value_kind:     global_buffer
      - .actual_access:  read_only
        .address_space:  global
        .offset:         40
        .size:           8
        .value_kind:     global_buffer
      - .actual_access:  read_only
        .address_space:  global
        .offset:         48
        .size:           8
        .value_kind:     global_buffer
      - .actual_access:  read_only
        .address_space:  global
        .offset:         56
        .size:           8
        .value_kind:     global_buffer
      - .actual_access:  read_only
        .address_space:  global
        .offset:         64
        .size:           8
        .value_kind:     global_buffer
      - .actual_access:  read_only
        .address_space:  global
        .offset:         72
        .size:           8
        .value_kind:     global_buffer
      - .offset:         80
        .size:           8
        .value_kind:     by_value
      - .actual_access:  read_only
        .address_space:  global
        .offset:         88
        .size:           8
        .value_kind:     global_buffer
      - .actual_access:  read_only
        .address_space:  global
        .offset:         96
        .size:           8
        .value_kind:     global_buffer
      - .actual_access:  read_only
        .address_space:  global
        .offset:         104
        .size:           8
        .value_kind:     global_buffer
      - .actual_access:  read_only
        .address_space:  global
        .offset:         112
        .size:           8
        .value_kind:     global_buffer
      - .actual_access:  read_only
        .address_space:  global
        .offset:         120
        .size:           8
        .value_kind:     global_buffer
      - .actual_access:  write_only
        .address_space:  global
        .offset:         128
        .size:           8
        .value_kind:     global_buffer
      - .offset:         136
        .size:           4
        .value_kind:     by_value
      - .offset:         140
        .size:           4
        .value_kind:     by_value
      - .offset:         144
        .size:           4
        .value_kind:     by_value
      - .offset:         148
        .size:           4
        .value_kind:     by_value
      - .offset:         152
        .size:           1
        .value_kind:     by_value
      - .offset:         153
        .size:           1
        .value_kind:     by_value
      - .offset:         154
        .size:           1
        .value_kind:     by_value
    .group_segment_fixed_size: 0
    .kernarg_segment_align: 8
    .kernarg_segment_size: 156
    .language:       OpenCL C
    .language_version:
      - 2
      - 0
    .max_flat_workgroup_size: 512
    .name:           _ZN9rocsparseL41csrgemm_numeric_fill_block_per_row_kernelILj512ELj32ELj1024ELj137ELj32Eli21rocsparse_complex_numIfEEEvT5_PKS3_S5_NS_24const_host_device_scalarIT6_EEPKT4_S5_PKS7_SB_S5_SD_S8_SB_S5_SD_SB_S5_PS7_21rocsparse_index_base_SF_SF_SF_bbb
    .private_segment_fixed_size: 0
    .sgpr_count:     50
    .sgpr_spill_count: 0
    .symbol:         _ZN9rocsparseL41csrgemm_numeric_fill_block_per_row_kernelILj512ELj32ELj1024ELj137ELj32Eli21rocsparse_complex_numIfEEEvT5_PKS3_S5_NS_24const_host_device_scalarIT6_EEPKT4_S5_PKS7_SB_S5_SD_S8_SB_S5_SD_SB_S5_PS7_21rocsparse_index_base_SF_SF_SF_bbb.kd
    .uniform_work_group_size: 1
    .uses_dynamic_stack: false
    .vgpr_count:     21
    .vgpr_spill_count: 0
    .wavefront_size: 32
  - .args:
      - .offset:         0
        .size:           4
        .value_kind:     by_value
      - .actual_access:  read_only
        .address_space:  global
        .offset:         8
        .size:           8
        .value_kind:     global_buffer
      - .actual_access:  read_only
        .address_space:  global
        .offset:         16
        .size:           8
        .value_kind:     global_buffer
      - .offset:         24
        .size:           8
        .value_kind:     by_value
      - .actual_access:  read_only
        .address_space:  global
        .offset:         32
        .size:           8
        .value_kind:     global_buffer
      - .actual_access:  read_only
        .address_space:  global
        .offset:         40
        .size:           8
        .value_kind:     global_buffer
      - .actual_access:  read_only
        .address_space:  global
        .offset:         48
        .size:           8
        .value_kind:     global_buffer
      - .actual_access:  read_only
        .address_space:  global
        .offset:         56
        .size:           8
        .value_kind:     global_buffer
      - .actual_access:  read_only
        .address_space:  global
        .offset:         64
        .size:           8
        .value_kind:     global_buffer
      - .actual_access:  read_only
        .address_space:  global
        .offset:         72
        .size:           8
        .value_kind:     global_buffer
      - .offset:         80
        .size:           8
        .value_kind:     by_value
      - .actual_access:  read_only
        .address_space:  global
        .offset:         88
        .size:           8
        .value_kind:     global_buffer
      - .actual_access:  read_only
        .address_space:  global
        .offset:         96
        .size:           8
        .value_kind:     global_buffer
      - .actual_access:  read_only
        .address_space:  global
        .offset:         104
        .size:           8
        .value_kind:     global_buffer
      - .actual_access:  read_only
        .address_space:  global
        .offset:         112
        .size:           8
        .value_kind:     global_buffer
      - .actual_access:  read_only
        .address_space:  global
        .offset:         120
        .size:           8
        .value_kind:     global_buffer
      - .actual_access:  write_only
        .address_space:  global
        .offset:         128
        .size:           8
        .value_kind:     global_buffer
      - .offset:         136
        .size:           4
        .value_kind:     by_value
      - .offset:         140
        .size:           4
        .value_kind:     by_value
      - .offset:         144
        .size:           4
        .value_kind:     by_value
      - .offset:         148
        .size:           4
        .value_kind:     by_value
      - .offset:         152
        .size:           1
        .value_kind:     by_value
      - .offset:         153
        .size:           1
        .value_kind:     by_value
      - .offset:         154
        .size:           1
        .value_kind:     by_value
    .group_segment_fixed_size: 0
    .kernarg_segment_align: 8
    .kernarg_segment_size: 156
    .language:       OpenCL C
    .language_version:
      - 2
      - 0
    .max_flat_workgroup_size: 512
    .name:           _ZN9rocsparseL41csrgemm_numeric_fill_block_per_row_kernelILj512ELj32ELj1024ELj137ELj64Eli21rocsparse_complex_numIfEEEvT5_PKS3_S5_NS_24const_host_device_scalarIT6_EEPKT4_S5_PKS7_SB_S5_SD_S8_SB_S5_SD_SB_S5_PS7_21rocsparse_index_base_SF_SF_SF_bbb
    .private_segment_fixed_size: 0
    .sgpr_count:     50
    .sgpr_spill_count: 0
    .symbol:         _ZN9rocsparseL41csrgemm_numeric_fill_block_per_row_kernelILj512ELj32ELj1024ELj137ELj64Eli21rocsparse_complex_numIfEEEvT5_PKS3_S5_NS_24const_host_device_scalarIT6_EEPKT4_S5_PKS7_SB_S5_SD_S8_SB_S5_SD_SB_S5_PS7_21rocsparse_index_base_SF_SF_SF_bbb.kd
    .uniform_work_group_size: 1
    .uses_dynamic_stack: false
    .vgpr_count:     20
    .vgpr_spill_count: 0
    .wavefront_size: 32
  - .args:
      - .offset:         0
        .size:           4
        .value_kind:     by_value
      - .actual_access:  read_only
        .address_space:  global
        .offset:         8
        .size:           8
        .value_kind:     global_buffer
      - .actual_access:  read_only
        .address_space:  global
        .offset:         16
        .size:           8
        .value_kind:     global_buffer
      - .offset:         24
        .size:           8
        .value_kind:     by_value
      - .actual_access:  read_only
        .address_space:  global
        .offset:         32
        .size:           8
        .value_kind:     global_buffer
      - .actual_access:  read_only
        .address_space:  global
        .offset:         40
        .size:           8
        .value_kind:     global_buffer
      - .actual_access:  read_only
        .address_space:  global
        .offset:         48
        .size:           8
        .value_kind:     global_buffer
      - .actual_access:  read_only
        .address_space:  global
        .offset:         56
        .size:           8
        .value_kind:     global_buffer
      - .actual_access:  read_only
        .address_space:  global
        .offset:         64
        .size:           8
        .value_kind:     global_buffer
      - .actual_access:  read_only
        .address_space:  global
        .offset:         72
        .size:           8
        .value_kind:     global_buffer
      - .offset:         80
        .size:           8
        .value_kind:     by_value
      - .actual_access:  read_only
        .address_space:  global
        .offset:         88
        .size:           8
        .value_kind:     global_buffer
      - .actual_access:  read_only
        .address_space:  global
        .offset:         96
        .size:           8
        .value_kind:     global_buffer
      - .actual_access:  read_only
        .address_space:  global
        .offset:         104
        .size:           8
        .value_kind:     global_buffer
      - .actual_access:  read_only
        .address_space:  global
        .offset:         112
        .size:           8
        .value_kind:     global_buffer
      - .actual_access:  read_only
        .address_space:  global
        .offset:         120
        .size:           8
        .value_kind:     global_buffer
      - .actual_access:  write_only
        .address_space:  global
        .offset:         128
        .size:           8
        .value_kind:     global_buffer
      - .offset:         136
        .size:           4
        .value_kind:     by_value
      - .offset:         140
        .size:           4
        .value_kind:     by_value
      - .offset:         144
        .size:           4
        .value_kind:     by_value
      - .offset:         148
        .size:           4
        .value_kind:     by_value
      - .offset:         152
        .size:           1
        .value_kind:     by_value
      - .offset:         153
        .size:           1
        .value_kind:     by_value
      - .offset:         154
        .size:           1
        .value_kind:     by_value
    .group_segment_fixed_size: 0
    .kernarg_segment_align: 8
    .kernarg_segment_size: 156
    .language:       OpenCL C
    .language_version:
      - 2
      - 0
    .max_flat_workgroup_size: 1024
    .name:           _ZN9rocsparseL41csrgemm_numeric_fill_block_per_row_kernelILj1024ELj32ELj2048ELj137ELj32Eli21rocsparse_complex_numIfEEEvT5_PKS3_S5_NS_24const_host_device_scalarIT6_EEPKT4_S5_PKS7_SB_S5_SD_S8_SB_S5_SD_SB_S5_PS7_21rocsparse_index_base_SF_SF_SF_bbb
    .private_segment_fixed_size: 0
    .sgpr_count:     52
    .sgpr_spill_count: 0
    .symbol:         _ZN9rocsparseL41csrgemm_numeric_fill_block_per_row_kernelILj1024ELj32ELj2048ELj137ELj32Eli21rocsparse_complex_numIfEEEvT5_PKS3_S5_NS_24const_host_device_scalarIT6_EEPKT4_S5_PKS7_SB_S5_SD_S8_SB_S5_SD_SB_S5_PS7_21rocsparse_index_base_SF_SF_SF_bbb.kd
    .uniform_work_group_size: 1
    .uses_dynamic_stack: false
    .vgpr_count:     21
    .vgpr_spill_count: 0
    .wavefront_size: 32
  - .args:
      - .offset:         0
        .size:           4
        .value_kind:     by_value
      - .actual_access:  read_only
        .address_space:  global
        .offset:         8
        .size:           8
        .value_kind:     global_buffer
      - .actual_access:  read_only
        .address_space:  global
        .offset:         16
        .size:           8
        .value_kind:     global_buffer
      - .offset:         24
        .size:           8
        .value_kind:     by_value
      - .actual_access:  read_only
        .address_space:  global
        .offset:         32
        .size:           8
        .value_kind:     global_buffer
      - .actual_access:  read_only
        .address_space:  global
        .offset:         40
        .size:           8
        .value_kind:     global_buffer
      - .actual_access:  read_only
        .address_space:  global
        .offset:         48
        .size:           8
        .value_kind:     global_buffer
      - .actual_access:  read_only
        .address_space:  global
        .offset:         56
        .size:           8
        .value_kind:     global_buffer
      - .actual_access:  read_only
        .address_space:  global
        .offset:         64
        .size:           8
        .value_kind:     global_buffer
      - .actual_access:  read_only
        .address_space:  global
        .offset:         72
        .size:           8
        .value_kind:     global_buffer
      - .offset:         80
        .size:           8
        .value_kind:     by_value
      - .actual_access:  read_only
        .address_space:  global
        .offset:         88
        .size:           8
        .value_kind:     global_buffer
      - .actual_access:  read_only
        .address_space:  global
        .offset:         96
        .size:           8
        .value_kind:     global_buffer
      - .actual_access:  read_only
        .address_space:  global
        .offset:         104
        .size:           8
        .value_kind:     global_buffer
      - .actual_access:  read_only
        .address_space:  global
        .offset:         112
        .size:           8
        .value_kind:     global_buffer
      - .actual_access:  read_only
        .address_space:  global
        .offset:         120
        .size:           8
        .value_kind:     global_buffer
      - .actual_access:  write_only
        .address_space:  global
        .offset:         128
        .size:           8
        .value_kind:     global_buffer
      - .offset:         136
        .size:           4
        .value_kind:     by_value
      - .offset:         140
        .size:           4
        .value_kind:     by_value
      - .offset:         144
        .size:           4
        .value_kind:     by_value
      - .offset:         148
        .size:           4
        .value_kind:     by_value
      - .offset:         152
        .size:           1
        .value_kind:     by_value
      - .offset:         153
        .size:           1
        .value_kind:     by_value
      - .offset:         154
        .size:           1
        .value_kind:     by_value
    .group_segment_fixed_size: 0
    .kernarg_segment_align: 8
    .kernarg_segment_size: 156
    .language:       OpenCL C
    .language_version:
      - 2
      - 0
    .max_flat_workgroup_size: 1024
    .name:           _ZN9rocsparseL41csrgemm_numeric_fill_block_per_row_kernelILj1024ELj32ELj2048ELj137ELj64Eli21rocsparse_complex_numIfEEEvT5_PKS3_S5_NS_24const_host_device_scalarIT6_EEPKT4_S5_PKS7_SB_S5_SD_S8_SB_S5_SD_SB_S5_PS7_21rocsparse_index_base_SF_SF_SF_bbb
    .private_segment_fixed_size: 0
    .sgpr_count:     50
    .sgpr_spill_count: 0
    .symbol:         _ZN9rocsparseL41csrgemm_numeric_fill_block_per_row_kernelILj1024ELj32ELj2048ELj137ELj64Eli21rocsparse_complex_numIfEEEvT5_PKS3_S5_NS_24const_host_device_scalarIT6_EEPKT4_S5_PKS7_SB_S5_SD_S8_SB_S5_SD_SB_S5_PS7_21rocsparse_index_base_SF_SF_SF_bbb.kd
    .uniform_work_group_size: 1
    .uses_dynamic_stack: false
    .vgpr_count:     20
    .vgpr_spill_count: 0
    .wavefront_size: 32
  - .args:
      - .offset:         0
        .size:           4
        .value_kind:     by_value
      - .actual_access:  read_only
        .address_space:  global
        .offset:         8
        .size:           8
        .value_kind:     global_buffer
      - .actual_access:  read_only
        .address_space:  global
        .offset:         16
        .size:           8
        .value_kind:     global_buffer
      - .offset:         24
        .size:           8
        .value_kind:     by_value
      - .actual_access:  read_only
        .address_space:  global
        .offset:         32
        .size:           8
        .value_kind:     global_buffer
      - .actual_access:  read_only
        .address_space:  global
        .offset:         40
        .size:           8
        .value_kind:     global_buffer
      - .actual_access:  read_only
        .address_space:  global
        .offset:         48
        .size:           8
        .value_kind:     global_buffer
      - .actual_access:  read_only
        .address_space:  global
        .offset:         56
        .size:           8
        .value_kind:     global_buffer
      - .actual_access:  read_only
        .address_space:  global
        .offset:         64
        .size:           8
        .value_kind:     global_buffer
      - .actual_access:  read_only
        .address_space:  global
        .offset:         72
        .size:           8
        .value_kind:     global_buffer
      - .offset:         80
        .size:           8
        .value_kind:     by_value
      - .actual_access:  read_only
        .address_space:  global
        .offset:         88
        .size:           8
        .value_kind:     global_buffer
      - .actual_access:  read_only
        .address_space:  global
        .offset:         96
        .size:           8
        .value_kind:     global_buffer
      - .actual_access:  read_only
        .address_space:  global
        .offset:         104
        .size:           8
        .value_kind:     global_buffer
      - .actual_access:  read_only
        .address_space:  global
        .offset:         112
        .size:           8
        .value_kind:     global_buffer
      - .actual_access:  read_only
        .address_space:  global
        .offset:         120
        .size:           8
        .value_kind:     global_buffer
      - .actual_access:  write_only
        .address_space:  global
        .offset:         128
        .size:           8
        .value_kind:     global_buffer
      - .offset:         136
        .size:           4
        .value_kind:     by_value
      - .offset:         140
        .size:           4
        .value_kind:     by_value
      - .offset:         144
        .size:           4
        .value_kind:     by_value
      - .offset:         148
        .size:           4
        .value_kind:     by_value
      - .offset:         152
        .size:           1
        .value_kind:     by_value
      - .offset:         153
        .size:           1
        .value_kind:     by_value
      - .offset:         154
        .size:           1
        .value_kind:     by_value
    .group_segment_fixed_size: 0
    .kernarg_segment_align: 8
    .kernarg_segment_size: 156
    .language:       OpenCL C
    .language_version:
      - 2
      - 0
    .max_flat_workgroup_size: 1024
    .name:           _ZN9rocsparseL41csrgemm_numeric_fill_block_per_row_kernelILj1024ELj64ELj4096ELj137ELj32Eli21rocsparse_complex_numIfEEEvT5_PKS3_S5_NS_24const_host_device_scalarIT6_EEPKT4_S5_PKS7_SB_S5_SD_S8_SB_S5_SD_SB_S5_PS7_21rocsparse_index_base_SF_SF_SF_bbb
    .private_segment_fixed_size: 0
    .sgpr_count:     52
    .sgpr_spill_count: 0
    .symbol:         _ZN9rocsparseL41csrgemm_numeric_fill_block_per_row_kernelILj1024ELj64ELj4096ELj137ELj32Eli21rocsparse_complex_numIfEEEvT5_PKS3_S5_NS_24const_host_device_scalarIT6_EEPKT4_S5_PKS7_SB_S5_SD_S8_SB_S5_SD_SB_S5_PS7_21rocsparse_index_base_SF_SF_SF_bbb.kd
    .uniform_work_group_size: 1
    .uses_dynamic_stack: false
    .vgpr_count:     20
    .vgpr_spill_count: 0
    .wavefront_size: 32
  - .args:
      - .offset:         0
        .size:           4
        .value_kind:     by_value
      - .actual_access:  read_only
        .address_space:  global
        .offset:         8
        .size:           8
        .value_kind:     global_buffer
      - .actual_access:  read_only
        .address_space:  global
        .offset:         16
        .size:           8
        .value_kind:     global_buffer
      - .offset:         24
        .size:           8
        .value_kind:     by_value
      - .actual_access:  read_only
        .address_space:  global
        .offset:         32
        .size:           8
        .value_kind:     global_buffer
      - .actual_access:  read_only
        .address_space:  global
        .offset:         40
        .size:           8
        .value_kind:     global_buffer
      - .actual_access:  read_only
        .address_space:  global
        .offset:         48
        .size:           8
        .value_kind:     global_buffer
      - .actual_access:  read_only
        .address_space:  global
        .offset:         56
        .size:           8
        .value_kind:     global_buffer
      - .actual_access:  read_only
        .address_space:  global
        .offset:         64
        .size:           8
        .value_kind:     global_buffer
      - .actual_access:  read_only
        .address_space:  global
        .offset:         72
        .size:           8
        .value_kind:     global_buffer
      - .offset:         80
        .size:           8
        .value_kind:     by_value
      - .actual_access:  read_only
        .address_space:  global
        .offset:         88
        .size:           8
        .value_kind:     global_buffer
      - .actual_access:  read_only
        .address_space:  global
        .offset:         96
        .size:           8
        .value_kind:     global_buffer
      - .actual_access:  read_only
        .address_space:  global
        .offset:         104
        .size:           8
        .value_kind:     global_buffer
      - .actual_access:  read_only
        .address_space:  global
        .offset:         112
        .size:           8
        .value_kind:     global_buffer
      - .actual_access:  read_only
        .address_space:  global
        .offset:         120
        .size:           8
        .value_kind:     global_buffer
      - .actual_access:  write_only
        .address_space:  global
        .offset:         128
        .size:           8
        .value_kind:     global_buffer
      - .offset:         136
        .size:           4
        .value_kind:     by_value
      - .offset:         140
        .size:           4
        .value_kind:     by_value
      - .offset:         144
        .size:           4
        .value_kind:     by_value
      - .offset:         148
        .size:           4
        .value_kind:     by_value
      - .offset:         152
        .size:           1
        .value_kind:     by_value
      - .offset:         153
        .size:           1
        .value_kind:     by_value
      - .offset:         154
        .size:           1
        .value_kind:     by_value
    .group_segment_fixed_size: 0
    .kernarg_segment_align: 8
    .kernarg_segment_size: 156
    .language:       OpenCL C
    .language_version:
      - 2
      - 0
    .max_flat_workgroup_size: 1024
    .name:           _ZN9rocsparseL41csrgemm_numeric_fill_block_per_row_kernelILj1024ELj64ELj4096ELj137ELj64Eli21rocsparse_complex_numIfEEEvT5_PKS3_S5_NS_24const_host_device_scalarIT6_EEPKT4_S5_PKS7_SB_S5_SD_S8_SB_S5_SD_SB_S5_PS7_21rocsparse_index_base_SF_SF_SF_bbb
    .private_segment_fixed_size: 0
    .sgpr_count:     50
    .sgpr_spill_count: 0
    .symbol:         _ZN9rocsparseL41csrgemm_numeric_fill_block_per_row_kernelILj1024ELj64ELj4096ELj137ELj64Eli21rocsparse_complex_numIfEEEvT5_PKS3_S5_NS_24const_host_device_scalarIT6_EEPKT4_S5_PKS7_SB_S5_SD_S8_SB_S5_SD_SB_S5_PS7_21rocsparse_index_base_SF_SF_SF_bbb.kd
    .uniform_work_group_size: 1
    .uses_dynamic_stack: false
    .vgpr_count:     21
    .vgpr_spill_count: 0
    .wavefront_size: 32
  - .args:
      - .offset:         0
        .size:           4
        .value_kind:     by_value
      - .actual_access:  read_only
        .address_space:  global
        .offset:         8
        .size:           8
        .value_kind:     global_buffer
      - .actual_access:  read_only
        .address_space:  global
        .offset:         16
        .size:           8
        .value_kind:     global_buffer
      - .offset:         24
        .size:           8
        .value_kind:     by_value
      - .actual_access:  read_only
        .address_space:  global
        .offset:         32
        .size:           8
        .value_kind:     global_buffer
      - .actual_access:  read_only
        .address_space:  global
        .offset:         40
        .size:           8
        .value_kind:     global_buffer
      - .actual_access:  read_only
        .address_space:  global
        .offset:         48
        .size:           8
        .value_kind:     global_buffer
      - .actual_access:  read_only
        .address_space:  global
        .offset:         56
        .size:           8
        .value_kind:     global_buffer
      - .actual_access:  read_only
        .address_space:  global
        .offset:         64
        .size:           8
        .value_kind:     global_buffer
      - .actual_access:  read_only
        .address_space:  global
        .offset:         72
        .size:           8
        .value_kind:     global_buffer
      - .offset:         80
        .size:           8
        .value_kind:     by_value
      - .actual_access:  read_only
        .address_space:  global
        .offset:         88
        .size:           8
        .value_kind:     global_buffer
      - .actual_access:  read_only
        .address_space:  global
        .offset:         96
        .size:           8
        .value_kind:     global_buffer
      - .actual_access:  read_only
        .address_space:  global
        .offset:         104
        .size:           8
        .value_kind:     global_buffer
      - .actual_access:  read_only
        .address_space:  global
        .offset:         112
        .size:           8
        .value_kind:     global_buffer
      - .actual_access:  read_only
        .address_space:  global
        .offset:         120
        .size:           8
        .value_kind:     global_buffer
      - .actual_access:  write_only
        .address_space:  global
        .offset:         128
        .size:           8
        .value_kind:     global_buffer
      - .offset:         136
        .size:           4
        .value_kind:     by_value
      - .offset:         140
        .size:           4
        .value_kind:     by_value
      - .offset:         144
        .size:           4
        .value_kind:     by_value
      - .offset:         148
        .size:           4
        .value_kind:     by_value
      - .offset:         152
        .size:           1
        .value_kind:     by_value
      - .offset:         153
        .size:           1
        .value_kind:     by_value
      - .offset:         154
        .size:           1
        .value_kind:     by_value
    .group_segment_fixed_size: 0
    .kernarg_segment_align: 8
    .kernarg_segment_size: 156
    .language:       OpenCL C
    .language_version:
      - 2
      - 0
    .max_flat_workgroup_size: 1024
    .name:           _ZN9rocsparseL41csrgemm_numeric_fill_block_per_row_kernelILj1024ELj64ELj8192ELj137ELj32Eli21rocsparse_complex_numIfEEEvT5_PKS3_S5_NS_24const_host_device_scalarIT6_EEPKT4_S5_PKS7_SB_S5_SD_S8_SB_S5_SD_SB_S5_PS7_21rocsparse_index_base_SF_SF_SF_bbb
    .private_segment_fixed_size: 0
    .sgpr_count:     76
    .sgpr_spill_count: 0
    .symbol:         _ZN9rocsparseL41csrgemm_numeric_fill_block_per_row_kernelILj1024ELj64ELj8192ELj137ELj32Eli21rocsparse_complex_numIfEEEvT5_PKS3_S5_NS_24const_host_device_scalarIT6_EEPKT4_S5_PKS7_SB_S5_SD_S8_SB_S5_SD_SB_S5_PS7_21rocsparse_index_base_SF_SF_SF_bbb.kd
    .uniform_work_group_size: 1
    .uses_dynamic_stack: false
    .vgpr_count:     19
    .vgpr_spill_count: 0
    .wavefront_size: 32
  - .args:
      - .offset:         0
        .size:           4
        .value_kind:     by_value
      - .actual_access:  read_only
        .address_space:  global
        .offset:         8
        .size:           8
        .value_kind:     global_buffer
      - .actual_access:  read_only
        .address_space:  global
        .offset:         16
        .size:           8
        .value_kind:     global_buffer
      - .offset:         24
        .size:           8
        .value_kind:     by_value
      - .actual_access:  read_only
        .address_space:  global
        .offset:         32
        .size:           8
        .value_kind:     global_buffer
      - .actual_access:  read_only
        .address_space:  global
        .offset:         40
        .size:           8
        .value_kind:     global_buffer
      - .actual_access:  read_only
        .address_space:  global
        .offset:         48
        .size:           8
        .value_kind:     global_buffer
      - .actual_access:  read_only
        .address_space:  global
        .offset:         56
        .size:           8
        .value_kind:     global_buffer
      - .actual_access:  read_only
        .address_space:  global
        .offset:         64
        .size:           8
        .value_kind:     global_buffer
      - .actual_access:  read_only
        .address_space:  global
        .offset:         72
        .size:           8
        .value_kind:     global_buffer
      - .offset:         80
        .size:           8
        .value_kind:     by_value
      - .actual_access:  read_only
        .address_space:  global
        .offset:         88
        .size:           8
        .value_kind:     global_buffer
      - .actual_access:  read_only
        .address_space:  global
        .offset:         96
        .size:           8
        .value_kind:     global_buffer
      - .actual_access:  read_only
        .address_space:  global
        .offset:         104
        .size:           8
        .value_kind:     global_buffer
      - .actual_access:  read_only
        .address_space:  global
        .offset:         112
        .size:           8
        .value_kind:     global_buffer
      - .actual_access:  read_only
        .address_space:  global
        .offset:         120
        .size:           8
        .value_kind:     global_buffer
      - .actual_access:  write_only
        .address_space:  global
        .offset:         128
        .size:           8
        .value_kind:     global_buffer
      - .offset:         136
        .size:           4
        .value_kind:     by_value
      - .offset:         140
        .size:           4
        .value_kind:     by_value
      - .offset:         144
        .size:           4
        .value_kind:     by_value
      - .offset:         148
        .size:           4
        .value_kind:     by_value
      - .offset:         152
        .size:           1
        .value_kind:     by_value
      - .offset:         153
        .size:           1
        .value_kind:     by_value
      - .offset:         154
        .size:           1
        .value_kind:     by_value
    .group_segment_fixed_size: 0
    .kernarg_segment_align: 8
    .kernarg_segment_size: 156
    .language:       OpenCL C
    .language_version:
      - 2
      - 0
    .max_flat_workgroup_size: 1024
    .name:           _ZN9rocsparseL41csrgemm_numeric_fill_block_per_row_kernelILj1024ELj64ELj8192ELj137ELj64Eli21rocsparse_complex_numIfEEEvT5_PKS3_S5_NS_24const_host_device_scalarIT6_EEPKT4_S5_PKS7_SB_S5_SD_S8_SB_S5_SD_SB_S5_PS7_21rocsparse_index_base_SF_SF_SF_bbb
    .private_segment_fixed_size: 0
    .sgpr_count:     50
    .sgpr_spill_count: 0
    .symbol:         _ZN9rocsparseL41csrgemm_numeric_fill_block_per_row_kernelILj1024ELj64ELj8192ELj137ELj64Eli21rocsparse_complex_numIfEEEvT5_PKS3_S5_NS_24const_host_device_scalarIT6_EEPKT4_S5_PKS7_SB_S5_SD_S8_SB_S5_SD_SB_S5_PS7_21rocsparse_index_base_SF_SF_SF_bbb.kd
    .uniform_work_group_size: 1
    .uses_dynamic_stack: false
    .vgpr_count:     20
    .vgpr_spill_count: 0
    .wavefront_size: 32
  - .args:
      - .offset:         0
        .size:           4
        .value_kind:     by_value
      - .actual_access:  read_only
        .address_space:  global
        .offset:         8
        .size:           8
        .value_kind:     global_buffer
      - .actual_access:  read_only
        .address_space:  global
        .offset:         16
        .size:           8
        .value_kind:     global_buffer
      - .offset:         24
        .size:           8
        .value_kind:     by_value
      - .actual_access:  read_only
        .address_space:  global
        .offset:         32
        .size:           8
        .value_kind:     global_buffer
      - .actual_access:  read_only
        .address_space:  global
        .offset:         40
        .size:           8
        .value_kind:     global_buffer
      - .actual_access:  read_only
        .address_space:  global
        .offset:         48
        .size:           8
        .value_kind:     global_buffer
      - .actual_access:  read_only
        .address_space:  global
        .offset:         56
        .size:           8
        .value_kind:     global_buffer
      - .actual_access:  read_only
        .address_space:  global
        .offset:         64
        .size:           8
        .value_kind:     global_buffer
      - .actual_access:  read_only
        .address_space:  global
        .offset:         72
        .size:           8
        .value_kind:     global_buffer
      - .offset:         80
        .size:           8
        .value_kind:     by_value
      - .actual_access:  read_only
        .address_space:  global
        .offset:         88
        .size:           8
        .value_kind:     global_buffer
      - .actual_access:  read_only
        .address_space:  global
        .offset:         96
        .size:           8
        .value_kind:     global_buffer
      - .actual_access:  read_only
        .address_space:  global
        .offset:         104
        .size:           8
        .value_kind:     global_buffer
      - .actual_access:  read_only
        .address_space:  global
        .offset:         112
        .size:           8
        .value_kind:     global_buffer
      - .actual_access:  read_only
        .address_space:  global
        .offset:         120
        .size:           8
        .value_kind:     global_buffer
      - .actual_access:  write_only
        .address_space:  global
        .offset:         128
        .size:           8
        .value_kind:     global_buffer
      - .offset:         136
        .size:           4
        .value_kind:     by_value
      - .offset:         140
        .size:           4
        .value_kind:     by_value
      - .offset:         144
        .size:           4
        .value_kind:     by_value
      - .offset:         148
        .size:           4
        .value_kind:     by_value
      - .offset:         152
        .size:           1
        .value_kind:     by_value
      - .offset:         153
        .size:           1
        .value_kind:     by_value
      - .offset:         154
        .size:           1
        .value_kind:     by_value
    .group_segment_fixed_size: 0
    .kernarg_segment_align: 8
    .kernarg_segment_size: 156
    .language:       OpenCL C
    .language_version:
      - 2
      - 0
    .max_flat_workgroup_size: 1024
    .name:           _ZN9rocsparseL41csrgemm_numeric_fill_block_per_row_kernelILj1024ELj64ELj16384ELj137ELj32Eli21rocsparse_complex_numIfEEEvT5_PKS3_S5_NS_24const_host_device_scalarIT6_EEPKT4_S5_PKS7_SB_S5_SD_S8_SB_S5_SD_SB_S5_PS7_21rocsparse_index_base_SF_SF_SF_bbb
    .private_segment_fixed_size: 0
    .sgpr_count:     76
    .sgpr_spill_count: 0
    .symbol:         _ZN9rocsparseL41csrgemm_numeric_fill_block_per_row_kernelILj1024ELj64ELj16384ELj137ELj32Eli21rocsparse_complex_numIfEEEvT5_PKS3_S5_NS_24const_host_device_scalarIT6_EEPKT4_S5_PKS7_SB_S5_SD_S8_SB_S5_SD_SB_S5_PS7_21rocsparse_index_base_SF_SF_SF_bbb.kd
    .uniform_work_group_size: 1
    .uses_dynamic_stack: false
    .vgpr_count:     20
    .vgpr_spill_count: 0
    .wavefront_size: 32
  - .args:
      - .offset:         0
        .size:           4
        .value_kind:     by_value
      - .actual_access:  read_only
        .address_space:  global
        .offset:         8
        .size:           8
        .value_kind:     global_buffer
      - .actual_access:  read_only
        .address_space:  global
        .offset:         16
        .size:           8
        .value_kind:     global_buffer
      - .offset:         24
        .size:           8
        .value_kind:     by_value
      - .actual_access:  read_only
        .address_space:  global
        .offset:         32
        .size:           8
        .value_kind:     global_buffer
      - .actual_access:  read_only
        .address_space:  global
        .offset:         40
        .size:           8
        .value_kind:     global_buffer
      - .actual_access:  read_only
        .address_space:  global
        .offset:         48
        .size:           8
        .value_kind:     global_buffer
      - .actual_access:  read_only
        .address_space:  global
        .offset:         56
        .size:           8
        .value_kind:     global_buffer
      - .actual_access:  read_only
        .address_space:  global
        .offset:         64
        .size:           8
        .value_kind:     global_buffer
      - .actual_access:  read_only
        .address_space:  global
        .offset:         72
        .size:           8
        .value_kind:     global_buffer
      - .offset:         80
        .size:           8
        .value_kind:     by_value
      - .actual_access:  read_only
        .address_space:  global
        .offset:         88
        .size:           8
        .value_kind:     global_buffer
      - .actual_access:  read_only
        .address_space:  global
        .offset:         96
        .size:           8
        .value_kind:     global_buffer
      - .actual_access:  read_only
        .address_space:  global
        .offset:         104
        .size:           8
        .value_kind:     global_buffer
      - .actual_access:  read_only
        .address_space:  global
        .offset:         112
        .size:           8
        .value_kind:     global_buffer
      - .actual_access:  read_only
        .address_space:  global
        .offset:         120
        .size:           8
        .value_kind:     global_buffer
      - .actual_access:  write_only
        .address_space:  global
        .offset:         128
        .size:           8
        .value_kind:     global_buffer
      - .offset:         136
        .size:           4
        .value_kind:     by_value
      - .offset:         140
        .size:           4
        .value_kind:     by_value
      - .offset:         144
        .size:           4
        .value_kind:     by_value
      - .offset:         148
        .size:           4
        .value_kind:     by_value
      - .offset:         152
        .size:           1
        .value_kind:     by_value
      - .offset:         153
        .size:           1
        .value_kind:     by_value
      - .offset:         154
        .size:           1
        .value_kind:     by_value
    .group_segment_fixed_size: 0
    .kernarg_segment_align: 8
    .kernarg_segment_size: 156
    .language:       OpenCL C
    .language_version:
      - 2
      - 0
    .max_flat_workgroup_size: 1024
    .name:           _ZN9rocsparseL41csrgemm_numeric_fill_block_per_row_kernelILj1024ELj64ELj16384ELj137ELj64Eli21rocsparse_complex_numIfEEEvT5_PKS3_S5_NS_24const_host_device_scalarIT6_EEPKT4_S5_PKS7_SB_S5_SD_S8_SB_S5_SD_SB_S5_PS7_21rocsparse_index_base_SF_SF_SF_bbb
    .private_segment_fixed_size: 0
    .sgpr_count:     50
    .sgpr_spill_count: 0
    .symbol:         _ZN9rocsparseL41csrgemm_numeric_fill_block_per_row_kernelILj1024ELj64ELj16384ELj137ELj64Eli21rocsparse_complex_numIfEEEvT5_PKS3_S5_NS_24const_host_device_scalarIT6_EEPKT4_S5_PKS7_SB_S5_SD_S8_SB_S5_SD_SB_S5_PS7_21rocsparse_index_base_SF_SF_SF_bbb.kd
    .uniform_work_group_size: 1
    .uses_dynamic_stack: false
    .vgpr_count:     21
    .vgpr_spill_count: 0
    .wavefront_size: 32
  - .args:
      - .offset:         0
        .size:           4
        .value_kind:     by_value
      - .actual_access:  read_only
        .address_space:  global
        .offset:         8
        .size:           8
        .value_kind:     global_buffer
      - .actual_access:  read_only
        .address_space:  global
        .offset:         16
        .size:           8
        .value_kind:     global_buffer
      - .offset:         24
        .size:           8
        .value_kind:     by_value
      - .actual_access:  read_only
        .address_space:  global
        .offset:         32
        .size:           8
        .value_kind:     global_buffer
      - .actual_access:  read_only
        .address_space:  global
        .offset:         40
        .size:           8
        .value_kind:     global_buffer
      - .actual_access:  read_only
        .address_space:  global
        .offset:         48
        .size:           8
        .value_kind:     global_buffer
      - .actual_access:  read_only
        .address_space:  global
        .offset:         56
        .size:           8
        .value_kind:     global_buffer
      - .actual_access:  read_only
        .address_space:  global
        .offset:         64
        .size:           8
        .value_kind:     global_buffer
      - .actual_access:  read_only
        .address_space:  global
        .offset:         72
        .size:           8
        .value_kind:     global_buffer
      - .offset:         80
        .size:           8
        .value_kind:     by_value
      - .actual_access:  read_only
        .address_space:  global
        .offset:         88
        .size:           8
        .value_kind:     global_buffer
      - .actual_access:  read_only
        .address_space:  global
        .offset:         96
        .size:           8
        .value_kind:     global_buffer
      - .actual_access:  read_only
        .address_space:  global
        .offset:         104
        .size:           8
        .value_kind:     global_buffer
      - .actual_access:  read_only
        .address_space:  global
        .offset:         112
        .size:           8
        .value_kind:     global_buffer
      - .actual_access:  read_only
        .address_space:  global
        .offset:         120
        .size:           8
        .value_kind:     global_buffer
      - .actual_access:  write_only
        .address_space:  global
        .offset:         128
        .size:           8
        .value_kind:     global_buffer
      - .offset:         136
        .size:           4
        .value_kind:     by_value
      - .offset:         140
        .size:           4
        .value_kind:     by_value
      - .offset:         144
        .size:           4
        .value_kind:     by_value
      - .offset:         148
        .size:           4
        .value_kind:     by_value
      - .offset:         152
        .size:           1
        .value_kind:     by_value
      - .offset:         153
        .size:           1
        .value_kind:     by_value
      - .offset:         154
        .size:           1
        .value_kind:     by_value
    .group_segment_fixed_size: 0
    .kernarg_segment_align: 8
    .kernarg_segment_size: 156
    .language:       OpenCL C
    .language_version:
      - 2
      - 0
    .max_flat_workgroup_size: 1024
    .name:           _ZN9rocsparseL41csrgemm_numeric_fill_block_per_row_kernelILj1024ELj64ELj32768ELj137ELj32Eli21rocsparse_complex_numIfEEEvT5_PKS3_S5_NS_24const_host_device_scalarIT6_EEPKT4_S5_PKS7_SB_S5_SD_S8_SB_S5_SD_SB_S5_PS7_21rocsparse_index_base_SF_SF_SF_bbb
    .private_segment_fixed_size: 0
    .sgpr_count:     76
    .sgpr_spill_count: 0
    .symbol:         _ZN9rocsparseL41csrgemm_numeric_fill_block_per_row_kernelILj1024ELj64ELj32768ELj137ELj32Eli21rocsparse_complex_numIfEEEvT5_PKS3_S5_NS_24const_host_device_scalarIT6_EEPKT4_S5_PKS7_SB_S5_SD_S8_SB_S5_SD_SB_S5_PS7_21rocsparse_index_base_SF_SF_SF_bbb.kd
    .uniform_work_group_size: 1
    .uses_dynamic_stack: false
    .vgpr_count:     20
    .vgpr_spill_count: 0
    .wavefront_size: 32
  - .args:
      - .offset:         0
        .size:           4
        .value_kind:     by_value
      - .actual_access:  read_only
        .address_space:  global
        .offset:         8
        .size:           8
        .value_kind:     global_buffer
      - .actual_access:  read_only
        .address_space:  global
        .offset:         16
        .size:           8
        .value_kind:     global_buffer
      - .offset:         24
        .size:           8
        .value_kind:     by_value
      - .actual_access:  read_only
        .address_space:  global
        .offset:         32
        .size:           8
        .value_kind:     global_buffer
      - .actual_access:  read_only
        .address_space:  global
        .offset:         40
        .size:           8
        .value_kind:     global_buffer
      - .actual_access:  read_only
        .address_space:  global
        .offset:         48
        .size:           8
        .value_kind:     global_buffer
      - .actual_access:  read_only
        .address_space:  global
        .offset:         56
        .size:           8
        .value_kind:     global_buffer
      - .actual_access:  read_only
        .address_space:  global
        .offset:         64
        .size:           8
        .value_kind:     global_buffer
      - .actual_access:  read_only
        .address_space:  global
        .offset:         72
        .size:           8
        .value_kind:     global_buffer
      - .offset:         80
        .size:           8
        .value_kind:     by_value
      - .actual_access:  read_only
        .address_space:  global
        .offset:         88
        .size:           8
        .value_kind:     global_buffer
      - .actual_access:  read_only
        .address_space:  global
        .offset:         96
        .size:           8
        .value_kind:     global_buffer
      - .actual_access:  read_only
        .address_space:  global
        .offset:         104
        .size:           8
        .value_kind:     global_buffer
      - .actual_access:  read_only
        .address_space:  global
        .offset:         112
        .size:           8
        .value_kind:     global_buffer
      - .actual_access:  read_only
        .address_space:  global
        .offset:         120
        .size:           8
        .value_kind:     global_buffer
      - .actual_access:  write_only
        .address_space:  global
        .offset:         128
        .size:           8
        .value_kind:     global_buffer
      - .offset:         136
        .size:           4
        .value_kind:     by_value
      - .offset:         140
        .size:           4
        .value_kind:     by_value
      - .offset:         144
        .size:           4
        .value_kind:     by_value
      - .offset:         148
        .size:           4
        .value_kind:     by_value
      - .offset:         152
        .size:           1
        .value_kind:     by_value
      - .offset:         153
        .size:           1
        .value_kind:     by_value
      - .offset:         154
        .size:           1
        .value_kind:     by_value
    .group_segment_fixed_size: 0
    .kernarg_segment_align: 8
    .kernarg_segment_size: 156
    .language:       OpenCL C
    .language_version:
      - 2
      - 0
    .max_flat_workgroup_size: 1024
    .name:           _ZN9rocsparseL41csrgemm_numeric_fill_block_per_row_kernelILj1024ELj64ELj32768ELj137ELj64Eli21rocsparse_complex_numIfEEEvT5_PKS3_S5_NS_24const_host_device_scalarIT6_EEPKT4_S5_PKS7_SB_S5_SD_S8_SB_S5_SD_SB_S5_PS7_21rocsparse_index_base_SF_SF_SF_bbb
    .private_segment_fixed_size: 0
    .sgpr_count:     50
    .sgpr_spill_count: 0
    .symbol:         _ZN9rocsparseL41csrgemm_numeric_fill_block_per_row_kernelILj1024ELj64ELj32768ELj137ELj64Eli21rocsparse_complex_numIfEEEvT5_PKS3_S5_NS_24const_host_device_scalarIT6_EEPKT4_S5_PKS7_SB_S5_SD_S8_SB_S5_SD_SB_S5_PS7_21rocsparse_index_base_SF_SF_SF_bbb.kd
    .uniform_work_group_size: 1
    .uses_dynamic_stack: false
    .vgpr_count:     21
    .vgpr_spill_count: 0
    .wavefront_size: 32
  - .args:
      - .offset:         0
        .size:           4
        .value_kind:     by_value
      - .actual_access:  read_only
        .address_space:  global
        .offset:         8
        .size:           8
        .value_kind:     global_buffer
      - .actual_access:  read_only
        .address_space:  global
        .offset:         16
        .size:           8
        .value_kind:     global_buffer
      - .offset:         24
        .size:           8
        .value_kind:     by_value
      - .actual_access:  read_only
        .address_space:  global
        .offset:         32
        .size:           8
        .value_kind:     global_buffer
      - .actual_access:  read_only
        .address_space:  global
        .offset:         40
        .size:           8
        .value_kind:     global_buffer
      - .actual_access:  read_only
        .address_space:  global
        .offset:         48
        .size:           8
        .value_kind:     global_buffer
      - .actual_access:  read_only
        .address_space:  global
        .offset:         56
        .size:           8
        .value_kind:     global_buffer
      - .actual_access:  read_only
        .address_space:  global
        .offset:         64
        .size:           8
        .value_kind:     global_buffer
      - .actual_access:  read_only
        .address_space:  global
        .offset:         72
        .size:           8
        .value_kind:     global_buffer
      - .offset:         80
        .size:           8
        .value_kind:     by_value
      - .actual_access:  read_only
        .address_space:  global
        .offset:         88
        .size:           8
        .value_kind:     global_buffer
      - .actual_access:  read_only
        .address_space:  global
        .offset:         96
        .size:           8
        .value_kind:     global_buffer
      - .actual_access:  read_only
        .address_space:  global
        .offset:         104
        .size:           8
        .value_kind:     global_buffer
      - .actual_access:  read_only
        .address_space:  global
        .offset:         112
        .size:           8
        .value_kind:     global_buffer
      - .actual_access:  read_only
        .address_space:  global
        .offset:         120
        .size:           8
        .value_kind:     global_buffer
      - .actual_access:  write_only
        .address_space:  global
        .offset:         128
        .size:           8
        .value_kind:     global_buffer
      - .address_space:  global
        .offset:         136
        .size:           8
        .value_kind:     global_buffer
      - .offset:         144
        .size:           4
        .value_kind:     by_value
      - .offset:         148
        .size:           4
        .value_kind:     by_value
      - .offset:         152
        .size:           4
        .value_kind:     by_value
      - .offset:         156
        .size:           4
        .value_kind:     by_value
      - .offset:         160
        .size:           1
        .value_kind:     by_value
      - .offset:         161
        .size:           1
        .value_kind:     by_value
      - .offset:         162
        .size:           1
        .value_kind:     by_value
    .group_segment_fixed_size: 18436
    .kernarg_segment_align: 8
    .kernarg_segment_size: 164
    .language:       OpenCL C
    .language_version:
      - 2
      - 0
    .max_flat_workgroup_size: 512
    .name:           _ZN9rocsparseL51csrgemm_numeric_fill_block_per_row_multipass_kernelILj512ELj16ELj2048ELj32Eli21rocsparse_complex_numIfEEEvT4_PKS3_S5_NS_24const_host_device_scalarIT5_EEPKT3_S5_PKS7_SB_S5_SD_S8_SB_S5_SD_SB_S5_PS7_PS9_21rocsparse_index_base_SG_SG_SG_bbb
    .private_segment_fixed_size: 0
    .sgpr_count:     67
    .sgpr_spill_count: 0
    .symbol:         _ZN9rocsparseL51csrgemm_numeric_fill_block_per_row_multipass_kernelILj512ELj16ELj2048ELj32Eli21rocsparse_complex_numIfEEEvT4_PKS3_S5_NS_24const_host_device_scalarIT5_EEPKT3_S5_PKS7_SB_S5_SD_S8_SB_S5_SD_SB_S5_PS7_PS9_21rocsparse_index_base_SG_SG_SG_bbb.kd
    .uniform_work_group_size: 1
    .uses_dynamic_stack: false
    .vgpr_count:     44
    .vgpr_spill_count: 0
    .wavefront_size: 32
  - .args:
      - .offset:         0
        .size:           4
        .value_kind:     by_value
      - .actual_access:  read_only
        .address_space:  global
        .offset:         8
        .size:           8
        .value_kind:     global_buffer
      - .actual_access:  read_only
        .address_space:  global
        .offset:         16
        .size:           8
        .value_kind:     global_buffer
      - .offset:         24
        .size:           8
        .value_kind:     by_value
      - .actual_access:  read_only
        .address_space:  global
        .offset:         32
        .size:           8
        .value_kind:     global_buffer
      - .actual_access:  read_only
        .address_space:  global
        .offset:         40
        .size:           8
        .value_kind:     global_buffer
      - .actual_access:  read_only
        .address_space:  global
        .offset:         48
        .size:           8
        .value_kind:     global_buffer
      - .actual_access:  read_only
        .address_space:  global
        .offset:         56
        .size:           8
        .value_kind:     global_buffer
      - .actual_access:  read_only
        .address_space:  global
        .offset:         64
        .size:           8
        .value_kind:     global_buffer
      - .actual_access:  read_only
        .address_space:  global
        .offset:         72
        .size:           8
        .value_kind:     global_buffer
      - .offset:         80
        .size:           8
        .value_kind:     by_value
      - .actual_access:  read_only
        .address_space:  global
        .offset:         88
        .size:           8
        .value_kind:     global_buffer
      - .actual_access:  read_only
        .address_space:  global
        .offset:         96
        .size:           8
        .value_kind:     global_buffer
      - .actual_access:  read_only
        .address_space:  global
        .offset:         104
        .size:           8
        .value_kind:     global_buffer
      - .actual_access:  read_only
        .address_space:  global
        .offset:         112
        .size:           8
        .value_kind:     global_buffer
      - .actual_access:  read_only
        .address_space:  global
        .offset:         120
        .size:           8
        .value_kind:     global_buffer
      - .actual_access:  write_only
        .address_space:  global
        .offset:         128
        .size:           8
        .value_kind:     global_buffer
      - .address_space:  global
        .offset:         136
        .size:           8
        .value_kind:     global_buffer
      - .offset:         144
        .size:           4
        .value_kind:     by_value
      - .offset:         148
        .size:           4
        .value_kind:     by_value
      - .offset:         152
        .size:           4
        .value_kind:     by_value
      - .offset:         156
        .size:           4
        .value_kind:     by_value
      - .offset:         160
        .size:           1
        .value_kind:     by_value
      - .offset:         161
        .size:           1
        .value_kind:     by_value
      - .offset:         162
        .size:           1
        .value_kind:     by_value
    .group_segment_fixed_size: 18436
    .kernarg_segment_align: 8
    .kernarg_segment_size: 164
    .language:       OpenCL C
    .language_version:
      - 2
      - 0
    .max_flat_workgroup_size: 512
    .name:           _ZN9rocsparseL51csrgemm_numeric_fill_block_per_row_multipass_kernelILj512ELj16ELj2048ELj64Eli21rocsparse_complex_numIfEEEvT4_PKS3_S5_NS_24const_host_device_scalarIT5_EEPKT3_S5_PKS7_SB_S5_SD_S8_SB_S5_SD_SB_S5_PS7_PS9_21rocsparse_index_base_SG_SG_SG_bbb
    .private_segment_fixed_size: 0
    .sgpr_count:     59
    .sgpr_spill_count: 0
    .symbol:         _ZN9rocsparseL51csrgemm_numeric_fill_block_per_row_multipass_kernelILj512ELj16ELj2048ELj64Eli21rocsparse_complex_numIfEEEvT4_PKS3_S5_NS_24const_host_device_scalarIT5_EEPKT3_S5_PKS7_SB_S5_SD_S8_SB_S5_SD_SB_S5_PS7_PS9_21rocsparse_index_base_SG_SG_SG_bbb.kd
    .uniform_work_group_size: 1
    .uses_dynamic_stack: false
    .vgpr_count:     44
    .vgpr_spill_count: 0
    .wavefront_size: 32
  - .args:
      - .offset:         0
        .size:           4
        .value_kind:     by_value
      - .offset:         4
        .size:           4
        .value_kind:     by_value
      - .actual_access:  read_only
        .address_space:  global
        .offset:         8
        .size:           8
        .value_kind:     global_buffer
      - .actual_access:  read_only
        .address_space:  global
        .offset:         16
        .size:           8
        .value_kind:     global_buffer
      - .offset:         24
        .size:           16
        .value_kind:     by_value
      - .actual_access:  read_only
        .address_space:  global
        .offset:         40
        .size:           8
        .value_kind:     global_buffer
      - .actual_access:  read_only
        .address_space:  global
        .offset:         48
        .size:           8
        .value_kind:     global_buffer
      - .actual_access:  read_only
        .address_space:  global
        .offset:         56
        .size:           8
        .value_kind:     global_buffer
      - .actual_access:  read_only
        .address_space:  global
        .offset:         64
        .size:           8
        .value_kind:     global_buffer
      - .actual_access:  read_only
        .address_space:  global
        .offset:         72
        .size:           8
        .value_kind:     global_buffer
      - .actual_access:  read_only
        .address_space:  global
        .offset:         80
        .size:           8
        .value_kind:     global_buffer
      - .offset:         88
        .size:           16
        .value_kind:     by_value
      - .actual_access:  read_only
        .address_space:  global
        .offset:         104
        .size:           8
        .value_kind:     global_buffer
      - .actual_access:  read_only
        .address_space:  global
        .offset:         112
        .size:           8
        .value_kind:     global_buffer
      - .actual_access:  read_only
        .address_space:  global
        .offset:         120
        .size:           8
        .value_kind:     global_buffer
      - .actual_access:  read_only
        .address_space:  global
        .offset:         128
        .size:           8
        .value_kind:     global_buffer
      - .actual_access:  read_only
        .address_space:  global
        .offset:         136
        .size:           8
        .value_kind:     global_buffer
      - .actual_access:  write_only
        .address_space:  global
        .offset:         144
        .size:           8
        .value_kind:     global_buffer
      - .offset:         152
        .size:           4
        .value_kind:     by_value
      - .offset:         156
        .size:           4
        .value_kind:     by_value
      - .offset:         160
        .size:           4
        .value_kind:     by_value
      - .offset:         164
        .size:           4
        .value_kind:     by_value
      - .offset:         168
        .size:           1
        .value_kind:     by_value
      - .offset:         169
        .size:           1
        .value_kind:     by_value
      - .offset:         170
        .size:           1
        .value_kind:     by_value
    .group_segment_fixed_size: 10240
    .kernarg_segment_align: 8
    .kernarg_segment_size: 172
    .language:       OpenCL C
    .language_version:
      - 2
      - 0
    .max_flat_workgroup_size: 256
    .name:           _ZN9rocsparseL38csrgemm_numeric_fill_wf_per_row_kernelILj256ELj8ELj16ELj137Eli21rocsparse_complex_numIdEEEvT4_S3_PKS3_S5_NS_24const_host_device_scalarIT5_EEPKT3_S5_PKS7_SB_S5_SD_S8_SB_S5_SD_SB_S5_PS7_21rocsparse_index_base_SF_SF_SF_bbb
    .private_segment_fixed_size: 24
    .sgpr_count:     40
    .sgpr_spill_count: 0
    .symbol:         _ZN9rocsparseL38csrgemm_numeric_fill_wf_per_row_kernelILj256ELj8ELj16ELj137Eli21rocsparse_complex_numIdEEEvT4_S3_PKS3_S5_NS_24const_host_device_scalarIT5_EEPKT3_S5_PKS7_SB_S5_SD_S8_SB_S5_SD_SB_S5_PS7_21rocsparse_index_base_SF_SF_SF_bbb.kd
    .uniform_work_group_size: 1
    .uses_dynamic_stack: false
    .vgpr_count:     36
    .vgpr_spill_count: 0
    .wavefront_size: 32
  - .args:
      - .offset:         0
        .size:           4
        .value_kind:     by_value
      - .offset:         4
        .size:           4
        .value_kind:     by_value
      - .actual_access:  read_only
        .address_space:  global
        .offset:         8
        .size:           8
        .value_kind:     global_buffer
      - .actual_access:  read_only
        .address_space:  global
        .offset:         16
        .size:           8
        .value_kind:     global_buffer
      - .offset:         24
        .size:           16
        .value_kind:     by_value
      - .actual_access:  read_only
        .address_space:  global
        .offset:         40
        .size:           8
        .value_kind:     global_buffer
      - .actual_access:  read_only
        .address_space:  global
        .offset:         48
        .size:           8
        .value_kind:     global_buffer
      - .actual_access:  read_only
        .address_space:  global
        .offset:         56
        .size:           8
        .value_kind:     global_buffer
      - .actual_access:  read_only
        .address_space:  global
        .offset:         64
        .size:           8
        .value_kind:     global_buffer
      - .actual_access:  read_only
        .address_space:  global
        .offset:         72
        .size:           8
        .value_kind:     global_buffer
      - .actual_access:  read_only
        .address_space:  global
        .offset:         80
        .size:           8
        .value_kind:     global_buffer
      - .offset:         88
        .size:           16
        .value_kind:     by_value
      - .actual_access:  read_only
        .address_space:  global
        .offset:         104
        .size:           8
        .value_kind:     global_buffer
      - .actual_access:  read_only
        .address_space:  global
        .offset:         112
        .size:           8
        .value_kind:     global_buffer
      - .actual_access:  read_only
        .address_space:  global
        .offset:         120
        .size:           8
        .value_kind:     global_buffer
      - .actual_access:  read_only
        .address_space:  global
        .offset:         128
        .size:           8
        .value_kind:     global_buffer
      - .actual_access:  read_only
        .address_space:  global
        .offset:         136
        .size:           8
        .value_kind:     global_buffer
      - .actual_access:  write_only
        .address_space:  global
        .offset:         144
        .size:           8
        .value_kind:     global_buffer
      - .offset:         152
        .size:           4
        .value_kind:     by_value
      - .offset:         156
        .size:           4
        .value_kind:     by_value
      - .offset:         160
        .size:           4
        .value_kind:     by_value
      - .offset:         164
        .size:           4
        .value_kind:     by_value
      - .offset:         168
        .size:           1
        .value_kind:     by_value
      - .offset:         169
        .size:           1
        .value_kind:     by_value
      - .offset:         170
        .size:           1
        .value_kind:     by_value
    .group_segment_fixed_size: 10240
    .kernarg_segment_align: 8
    .kernarg_segment_size: 172
    .language:       OpenCL C
    .language_version:
      - 2
      - 0
    .max_flat_workgroup_size: 256
    .name:           _ZN9rocsparseL38csrgemm_numeric_fill_wf_per_row_kernelILj256ELj16ELj32ELj137Eli21rocsparse_complex_numIdEEEvT4_S3_PKS3_S5_NS_24const_host_device_scalarIT5_EEPKT3_S5_PKS7_SB_S5_SD_S8_SB_S5_SD_SB_S5_PS7_21rocsparse_index_base_SF_SF_SF_bbb
    .private_segment_fixed_size: 24
    .sgpr_count:     40
    .sgpr_spill_count: 0
    .symbol:         _ZN9rocsparseL38csrgemm_numeric_fill_wf_per_row_kernelILj256ELj16ELj32ELj137Eli21rocsparse_complex_numIdEEEvT4_S3_PKS3_S5_NS_24const_host_device_scalarIT5_EEPKT3_S5_PKS7_SB_S5_SD_S8_SB_S5_SD_SB_S5_PS7_21rocsparse_index_base_SF_SF_SF_bbb.kd
    .uniform_work_group_size: 1
    .uses_dynamic_stack: false
    .vgpr_count:     36
    .vgpr_spill_count: 0
    .wavefront_size: 32
  - .args:
      - .offset:         0
        .size:           4
        .value_kind:     by_value
      - .actual_access:  read_only
        .address_space:  global
        .offset:         8
        .size:           8
        .value_kind:     global_buffer
      - .actual_access:  read_only
        .address_space:  global
        .offset:         16
        .size:           8
        .value_kind:     global_buffer
      - .offset:         24
        .size:           16
        .value_kind:     by_value
      - .actual_access:  read_only
        .address_space:  global
        .offset:         40
        .size:           8
        .value_kind:     global_buffer
      - .actual_access:  read_only
        .address_space:  global
        .offset:         48
        .size:           8
        .value_kind:     global_buffer
      - .actual_access:  read_only
        .address_space:  global
        .offset:         56
        .size:           8
        .value_kind:     global_buffer
      - .actual_access:  read_only
        .address_space:  global
        .offset:         64
        .size:           8
        .value_kind:     global_buffer
      - .actual_access:  read_only
        .address_space:  global
        .offset:         72
        .size:           8
        .value_kind:     global_buffer
      - .actual_access:  read_only
        .address_space:  global
        .offset:         80
        .size:           8
        .value_kind:     global_buffer
      - .offset:         88
        .size:           16
        .value_kind:     by_value
      - .actual_access:  read_only
        .address_space:  global
        .offset:         104
        .size:           8
        .value_kind:     global_buffer
      - .actual_access:  read_only
        .address_space:  global
        .offset:         112
        .size:           8
        .value_kind:     global_buffer
      - .actual_access:  read_only
        .address_space:  global
        .offset:         120
        .size:           8
        .value_kind:     global_buffer
      - .actual_access:  read_only
        .address_space:  global
        .offset:         128
        .size:           8
        .value_kind:     global_buffer
      - .actual_access:  read_only
        .address_space:  global
        .offset:         136
        .size:           8
        .value_kind:     global_buffer
      - .actual_access:  write_only
        .address_space:  global
        .offset:         144
        .size:           8
        .value_kind:     global_buffer
      - .offset:         152
        .size:           4
        .value_kind:     by_value
      - .offset:         156
        .size:           4
        .value_kind:     by_value
      - .offset:         160
        .size:           4
        .value_kind:     by_value
      - .offset:         164
        .size:           4
        .value_kind:     by_value
      - .offset:         168
        .size:           1
        .value_kind:     by_value
      - .offset:         169
        .size:           1
        .value_kind:     by_value
      - .offset:         170
        .size:           1
        .value_kind:     by_value
    .group_segment_fixed_size: 0
    .kernarg_segment_align: 8
    .kernarg_segment_size: 172
    .language:       OpenCL C
    .language_version:
      - 2
      - 0
    .max_flat_workgroup_size: 128
    .name:           _ZN9rocsparseL41csrgemm_numeric_fill_block_per_row_kernelILj128ELj16ELj256ELj137ELj32Eli21rocsparse_complex_numIdEEEvT5_PKS3_S5_NS_24const_host_device_scalarIT6_EEPKT4_S5_PKS7_SB_S5_SD_S8_SB_S5_SD_SB_S5_PS7_21rocsparse_index_base_SF_SF_SF_bbb
    .private_segment_fixed_size: 40
    .sgpr_count:     44
    .sgpr_spill_count: 0
    .symbol:         _ZN9rocsparseL41csrgemm_numeric_fill_block_per_row_kernelILj128ELj16ELj256ELj137ELj32Eli21rocsparse_complex_numIdEEEvT5_PKS3_S5_NS_24const_host_device_scalarIT6_EEPKT4_S5_PKS7_SB_S5_SD_S8_SB_S5_SD_SB_S5_PS7_21rocsparse_index_base_SF_SF_SF_bbb.kd
    .uniform_work_group_size: 1
    .uses_dynamic_stack: false
    .vgpr_count:     33
    .vgpr_spill_count: 0
    .wavefront_size: 32
  - .args:
      - .offset:         0
        .size:           4
        .value_kind:     by_value
      - .actual_access:  read_only
        .address_space:  global
        .offset:         8
        .size:           8
        .value_kind:     global_buffer
      - .actual_access:  read_only
        .address_space:  global
        .offset:         16
        .size:           8
        .value_kind:     global_buffer
      - .offset:         24
        .size:           16
        .value_kind:     by_value
      - .actual_access:  read_only
        .address_space:  global
        .offset:         40
        .size:           8
        .value_kind:     global_buffer
      - .actual_access:  read_only
        .address_space:  global
        .offset:         48
        .size:           8
        .value_kind:     global_buffer
      - .actual_access:  read_only
        .address_space:  global
        .offset:         56
        .size:           8
        .value_kind:     global_buffer
      - .actual_access:  read_only
        .address_space:  global
        .offset:         64
        .size:           8
        .value_kind:     global_buffer
      - .actual_access:  read_only
        .address_space:  global
        .offset:         72
        .size:           8
        .value_kind:     global_buffer
      - .actual_access:  read_only
        .address_space:  global
        .offset:         80
        .size:           8
        .value_kind:     global_buffer
      - .offset:         88
        .size:           16
        .value_kind:     by_value
      - .actual_access:  read_only
        .address_space:  global
        .offset:         104
        .size:           8
        .value_kind:     global_buffer
      - .actual_access:  read_only
        .address_space:  global
        .offset:         112
        .size:           8
        .value_kind:     global_buffer
      - .actual_access:  read_only
        .address_space:  global
        .offset:         120
        .size:           8
        .value_kind:     global_buffer
      - .actual_access:  read_only
        .address_space:  global
        .offset:         128
        .size:           8
        .value_kind:     global_buffer
      - .actual_access:  read_only
        .address_space:  global
        .offset:         136
        .size:           8
        .value_kind:     global_buffer
      - .actual_access:  write_only
        .address_space:  global
        .offset:         144
        .size:           8
        .value_kind:     global_buffer
      - .offset:         152
        .size:           4
        .value_kind:     by_value
      - .offset:         156
        .size:           4
        .value_kind:     by_value
      - .offset:         160
        .size:           4
        .value_kind:     by_value
      - .offset:         164
        .size:           4
        .value_kind:     by_value
      - .offset:         168
        .size:           1
        .value_kind:     by_value
      - .offset:         169
        .size:           1
        .value_kind:     by_value
      - .offset:         170
        .size:           1
        .value_kind:     by_value
    .group_segment_fixed_size: 0
    .kernarg_segment_align: 8
    .kernarg_segment_size: 172
    .language:       OpenCL C
    .language_version:
      - 2
      - 0
    .max_flat_workgroup_size: 128
    .name:           _ZN9rocsparseL41csrgemm_numeric_fill_block_per_row_kernelILj128ELj16ELj256ELj137ELj64Eli21rocsparse_complex_numIdEEEvT5_PKS3_S5_NS_24const_host_device_scalarIT6_EEPKT4_S5_PKS7_SB_S5_SD_S8_SB_S5_SD_SB_S5_PS7_21rocsparse_index_base_SF_SF_SF_bbb
    .private_segment_fixed_size: 40
    .sgpr_count:     44
    .sgpr_spill_count: 0
    .symbol:         _ZN9rocsparseL41csrgemm_numeric_fill_block_per_row_kernelILj128ELj16ELj256ELj137ELj64Eli21rocsparse_complex_numIdEEEvT5_PKS3_S5_NS_24const_host_device_scalarIT6_EEPKT4_S5_PKS7_SB_S5_SD_S8_SB_S5_SD_SB_S5_PS7_21rocsparse_index_base_SF_SF_SF_bbb.kd
    .uniform_work_group_size: 1
    .uses_dynamic_stack: false
    .vgpr_count:     34
    .vgpr_spill_count: 0
    .wavefront_size: 32
  - .args:
      - .offset:         0
        .size:           4
        .value_kind:     by_value
      - .actual_access:  read_only
        .address_space:  global
        .offset:         8
        .size:           8
        .value_kind:     global_buffer
      - .actual_access:  read_only
        .address_space:  global
        .offset:         16
        .size:           8
        .value_kind:     global_buffer
      - .offset:         24
        .size:           16
        .value_kind:     by_value
      - .actual_access:  read_only
        .address_space:  global
        .offset:         40
        .size:           8
        .value_kind:     global_buffer
      - .actual_access:  read_only
        .address_space:  global
        .offset:         48
        .size:           8
        .value_kind:     global_buffer
      - .actual_access:  read_only
        .address_space:  global
        .offset:         56
        .size:           8
        .value_kind:     global_buffer
      - .actual_access:  read_only
        .address_space:  global
        .offset:         64
        .size:           8
        .value_kind:     global_buffer
      - .actual_access:  read_only
        .address_space:  global
        .offset:         72
        .size:           8
        .value_kind:     global_buffer
      - .actual_access:  read_only
        .address_space:  global
        .offset:         80
        .size:           8
        .value_kind:     global_buffer
      - .offset:         88
        .size:           16
        .value_kind:     by_value
      - .actual_access:  read_only
        .address_space:  global
        .offset:         104
        .size:           8
        .value_kind:     global_buffer
      - .actual_access:  read_only
        .address_space:  global
        .offset:         112
        .size:           8
        .value_kind:     global_buffer
      - .actual_access:  read_only
        .address_space:  global
        .offset:         120
        .size:           8
        .value_kind:     global_buffer
      - .actual_access:  read_only
        .address_space:  global
        .offset:         128
        .size:           8
        .value_kind:     global_buffer
      - .actual_access:  read_only
        .address_space:  global
        .offset:         136
        .size:           8
        .value_kind:     global_buffer
      - .actual_access:  write_only
        .address_space:  global
        .offset:         144
        .size:           8
        .value_kind:     global_buffer
      - .offset:         152
        .size:           4
        .value_kind:     by_value
      - .offset:         156
        .size:           4
        .value_kind:     by_value
      - .offset:         160
        .size:           4
        .value_kind:     by_value
      - .offset:         164
        .size:           4
        .value_kind:     by_value
      - .offset:         168
        .size:           1
        .value_kind:     by_value
      - .offset:         169
        .size:           1
        .value_kind:     by_value
      - .offset:         170
        .size:           1
        .value_kind:     by_value
    .group_segment_fixed_size: 0
    .kernarg_segment_align: 8
    .kernarg_segment_size: 172
    .language:       OpenCL C
    .language_version:
      - 2
      - 0
    .max_flat_workgroup_size: 256
    .name:           _ZN9rocsparseL41csrgemm_numeric_fill_block_per_row_kernelILj256ELj32ELj512ELj137ELj32Eli21rocsparse_complex_numIdEEEvT5_PKS3_S5_NS_24const_host_device_scalarIT6_EEPKT4_S5_PKS7_SB_S5_SD_S8_SB_S5_SD_SB_S5_PS7_21rocsparse_index_base_SF_SF_SF_bbb
    .private_segment_fixed_size: 40
    .sgpr_count:     44
    .sgpr_spill_count: 0
    .symbol:         _ZN9rocsparseL41csrgemm_numeric_fill_block_per_row_kernelILj256ELj32ELj512ELj137ELj32Eli21rocsparse_complex_numIdEEEvT5_PKS3_S5_NS_24const_host_device_scalarIT6_EEPKT4_S5_PKS7_SB_S5_SD_S8_SB_S5_SD_SB_S5_PS7_21rocsparse_index_base_SF_SF_SF_bbb.kd
    .uniform_work_group_size: 1
    .uses_dynamic_stack: false
    .vgpr_count:     34
    .vgpr_spill_count: 0
    .wavefront_size: 32
  - .args:
      - .offset:         0
        .size:           4
        .value_kind:     by_value
      - .actual_access:  read_only
        .address_space:  global
        .offset:         8
        .size:           8
        .value_kind:     global_buffer
      - .actual_access:  read_only
        .address_space:  global
        .offset:         16
        .size:           8
        .value_kind:     global_buffer
      - .offset:         24
        .size:           16
        .value_kind:     by_value
      - .actual_access:  read_only
        .address_space:  global
        .offset:         40
        .size:           8
        .value_kind:     global_buffer
      - .actual_access:  read_only
        .address_space:  global
        .offset:         48
        .size:           8
        .value_kind:     global_buffer
      - .actual_access:  read_only
        .address_space:  global
        .offset:         56
        .size:           8
        .value_kind:     global_buffer
      - .actual_access:  read_only
        .address_space:  global
        .offset:         64
        .size:           8
        .value_kind:     global_buffer
      - .actual_access:  read_only
        .address_space:  global
        .offset:         72
        .size:           8
        .value_kind:     global_buffer
      - .actual_access:  read_only
        .address_space:  global
        .offset:         80
        .size:           8
        .value_kind:     global_buffer
      - .offset:         88
        .size:           16
        .value_kind:     by_value
      - .actual_access:  read_only
        .address_space:  global
        .offset:         104
        .size:           8
        .value_kind:     global_buffer
      - .actual_access:  read_only
        .address_space:  global
        .offset:         112
        .size:           8
        .value_kind:     global_buffer
      - .actual_access:  read_only
        .address_space:  global
        .offset:         120
        .size:           8
        .value_kind:     global_buffer
      - .actual_access:  read_only
        .address_space:  global
        .offset:         128
        .size:           8
        .value_kind:     global_buffer
      - .actual_access:  read_only
        .address_space:  global
        .offset:         136
        .size:           8
        .value_kind:     global_buffer
      - .actual_access:  write_only
        .address_space:  global
        .offset:         144
        .size:           8
        .value_kind:     global_buffer
      - .offset:         152
        .size:           4
        .value_kind:     by_value
      - .offset:         156
        .size:           4
        .value_kind:     by_value
      - .offset:         160
        .size:           4
        .value_kind:     by_value
      - .offset:         164
        .size:           4
        .value_kind:     by_value
      - .offset:         168
        .size:           1
        .value_kind:     by_value
      - .offset:         169
        .size:           1
        .value_kind:     by_value
      - .offset:         170
        .size:           1
        .value_kind:     by_value
    .group_segment_fixed_size: 0
    .kernarg_segment_align: 8
    .kernarg_segment_size: 172
    .language:       OpenCL C
    .language_version:
      - 2
      - 0
    .max_flat_workgroup_size: 256
    .name:           _ZN9rocsparseL41csrgemm_numeric_fill_block_per_row_kernelILj256ELj32ELj512ELj137ELj64Eli21rocsparse_complex_numIdEEEvT5_PKS3_S5_NS_24const_host_device_scalarIT6_EEPKT4_S5_PKS7_SB_S5_SD_S8_SB_S5_SD_SB_S5_PS7_21rocsparse_index_base_SF_SF_SF_bbb
    .private_segment_fixed_size: 40
    .sgpr_count:     44
    .sgpr_spill_count: 0
    .symbol:         _ZN9rocsparseL41csrgemm_numeric_fill_block_per_row_kernelILj256ELj32ELj512ELj137ELj64Eli21rocsparse_complex_numIdEEEvT5_PKS3_S5_NS_24const_host_device_scalarIT6_EEPKT4_S5_PKS7_SB_S5_SD_S8_SB_S5_SD_SB_S5_PS7_21rocsparse_index_base_SF_SF_SF_bbb.kd
    .uniform_work_group_size: 1
    .uses_dynamic_stack: false
    .vgpr_count:     33
    .vgpr_spill_count: 0
    .wavefront_size: 32
  - .args:
      - .offset:         0
        .size:           4
        .value_kind:     by_value
      - .actual_access:  read_only
        .address_space:  global
        .offset:         8
        .size:           8
        .value_kind:     global_buffer
      - .actual_access:  read_only
        .address_space:  global
        .offset:         16
        .size:           8
        .value_kind:     global_buffer
      - .offset:         24
        .size:           16
        .value_kind:     by_value
      - .actual_access:  read_only
        .address_space:  global
        .offset:         40
        .size:           8
        .value_kind:     global_buffer
      - .actual_access:  read_only
        .address_space:  global
        .offset:         48
        .size:           8
        .value_kind:     global_buffer
      - .actual_access:  read_only
        .address_space:  global
        .offset:         56
        .size:           8
        .value_kind:     global_buffer
      - .actual_access:  read_only
        .address_space:  global
        .offset:         64
        .size:           8
        .value_kind:     global_buffer
      - .actual_access:  read_only
        .address_space:  global
        .offset:         72
        .size:           8
        .value_kind:     global_buffer
      - .actual_access:  read_only
        .address_space:  global
        .offset:         80
        .size:           8
        .value_kind:     global_buffer
      - .offset:         88
        .size:           16
        .value_kind:     by_value
      - .actual_access:  read_only
        .address_space:  global
        .offset:         104
        .size:           8
        .value_kind:     global_buffer
      - .actual_access:  read_only
        .address_space:  global
        .offset:         112
        .size:           8
        .value_kind:     global_buffer
      - .actual_access:  read_only
        .address_space:  global
        .offset:         120
        .size:           8
        .value_kind:     global_buffer
      - .actual_access:  read_only
        .address_space:  global
        .offset:         128
        .size:           8
        .value_kind:     global_buffer
      - .actual_access:  read_only
        .address_space:  global
        .offset:         136
        .size:           8
        .value_kind:     global_buffer
      - .actual_access:  write_only
        .address_space:  global
        .offset:         144
        .size:           8
        .value_kind:     global_buffer
      - .offset:         152
        .size:           4
        .value_kind:     by_value
      - .offset:         156
        .size:           4
        .value_kind:     by_value
      - .offset:         160
        .size:           4
        .value_kind:     by_value
      - .offset:         164
        .size:           4
        .value_kind:     by_value
      - .offset:         168
        .size:           1
        .value_kind:     by_value
      - .offset:         169
        .size:           1
        .value_kind:     by_value
      - .offset:         170
        .size:           1
        .value_kind:     by_value
    .group_segment_fixed_size: 0
    .kernarg_segment_align: 8
    .kernarg_segment_size: 172
    .language:       OpenCL C
    .language_version:
      - 2
      - 0
    .max_flat_workgroup_size: 512
    .name:           _ZN9rocsparseL41csrgemm_numeric_fill_block_per_row_kernelILj512ELj32ELj1024ELj137ELj32Eli21rocsparse_complex_numIdEEEvT5_PKS3_S5_NS_24const_host_device_scalarIT6_EEPKT4_S5_PKS7_SB_S5_SD_S8_SB_S5_SD_SB_S5_PS7_21rocsparse_index_base_SF_SF_SF_bbb
    .private_segment_fixed_size: 40
    .sgpr_count:     46
    .sgpr_spill_count: 0
    .symbol:         _ZN9rocsparseL41csrgemm_numeric_fill_block_per_row_kernelILj512ELj32ELj1024ELj137ELj32Eli21rocsparse_complex_numIdEEEvT5_PKS3_S5_NS_24const_host_device_scalarIT6_EEPKT4_S5_PKS7_SB_S5_SD_S8_SB_S5_SD_SB_S5_PS7_21rocsparse_index_base_SF_SF_SF_bbb.kd
    .uniform_work_group_size: 1
    .uses_dynamic_stack: false
    .vgpr_count:     34
    .vgpr_spill_count: 0
    .wavefront_size: 32
  - .args:
      - .offset:         0
        .size:           4
        .value_kind:     by_value
      - .actual_access:  read_only
        .address_space:  global
        .offset:         8
        .size:           8
        .value_kind:     global_buffer
      - .actual_access:  read_only
        .address_space:  global
        .offset:         16
        .size:           8
        .value_kind:     global_buffer
      - .offset:         24
        .size:           16
        .value_kind:     by_value
      - .actual_access:  read_only
        .address_space:  global
        .offset:         40
        .size:           8
        .value_kind:     global_buffer
      - .actual_access:  read_only
        .address_space:  global
        .offset:         48
        .size:           8
        .value_kind:     global_buffer
      - .actual_access:  read_only
        .address_space:  global
        .offset:         56
        .size:           8
        .value_kind:     global_buffer
      - .actual_access:  read_only
        .address_space:  global
        .offset:         64
        .size:           8
        .value_kind:     global_buffer
      - .actual_access:  read_only
        .address_space:  global
        .offset:         72
        .size:           8
        .value_kind:     global_buffer
      - .actual_access:  read_only
        .address_space:  global
        .offset:         80
        .size:           8
        .value_kind:     global_buffer
      - .offset:         88
        .size:           16
        .value_kind:     by_value
      - .actual_access:  read_only
        .address_space:  global
        .offset:         104
        .size:           8
        .value_kind:     global_buffer
      - .actual_access:  read_only
        .address_space:  global
        .offset:         112
        .size:           8
        .value_kind:     global_buffer
      - .actual_access:  read_only
        .address_space:  global
        .offset:         120
        .size:           8
        .value_kind:     global_buffer
      - .actual_access:  read_only
        .address_space:  global
        .offset:         128
        .size:           8
        .value_kind:     global_buffer
      - .actual_access:  read_only
        .address_space:  global
        .offset:         136
        .size:           8
        .value_kind:     global_buffer
      - .actual_access:  write_only
        .address_space:  global
        .offset:         144
        .size:           8
        .value_kind:     global_buffer
      - .offset:         152
        .size:           4
        .value_kind:     by_value
      - .offset:         156
        .size:           4
        .value_kind:     by_value
      - .offset:         160
        .size:           4
        .value_kind:     by_value
      - .offset:         164
        .size:           4
        .value_kind:     by_value
      - .offset:         168
        .size:           1
        .value_kind:     by_value
      - .offset:         169
        .size:           1
        .value_kind:     by_value
      - .offset:         170
        .size:           1
        .value_kind:     by_value
    .group_segment_fixed_size: 0
    .kernarg_segment_align: 8
    .kernarg_segment_size: 172
    .language:       OpenCL C
    .language_version:
      - 2
      - 0
    .max_flat_workgroup_size: 512
    .name:           _ZN9rocsparseL41csrgemm_numeric_fill_block_per_row_kernelILj512ELj32ELj1024ELj137ELj64Eli21rocsparse_complex_numIdEEEvT5_PKS3_S5_NS_24const_host_device_scalarIT6_EEPKT4_S5_PKS7_SB_S5_SD_S8_SB_S5_SD_SB_S5_PS7_21rocsparse_index_base_SF_SF_SF_bbb
    .private_segment_fixed_size: 40
    .sgpr_count:     46
    .sgpr_spill_count: 0
    .symbol:         _ZN9rocsparseL41csrgemm_numeric_fill_block_per_row_kernelILj512ELj32ELj1024ELj137ELj64Eli21rocsparse_complex_numIdEEEvT5_PKS3_S5_NS_24const_host_device_scalarIT6_EEPKT4_S5_PKS7_SB_S5_SD_S8_SB_S5_SD_SB_S5_PS7_21rocsparse_index_base_SF_SF_SF_bbb.kd
    .uniform_work_group_size: 1
    .uses_dynamic_stack: false
    .vgpr_count:     33
    .vgpr_spill_count: 0
    .wavefront_size: 32
  - .args:
      - .offset:         0
        .size:           4
        .value_kind:     by_value
      - .actual_access:  read_only
        .address_space:  global
        .offset:         8
        .size:           8
        .value_kind:     global_buffer
      - .actual_access:  read_only
        .address_space:  global
        .offset:         16
        .size:           8
        .value_kind:     global_buffer
      - .offset:         24
        .size:           16
        .value_kind:     by_value
      - .actual_access:  read_only
        .address_space:  global
        .offset:         40
        .size:           8
        .value_kind:     global_buffer
      - .actual_access:  read_only
        .address_space:  global
        .offset:         48
        .size:           8
        .value_kind:     global_buffer
      - .actual_access:  read_only
        .address_space:  global
        .offset:         56
        .size:           8
        .value_kind:     global_buffer
      - .actual_access:  read_only
        .address_space:  global
        .offset:         64
        .size:           8
        .value_kind:     global_buffer
      - .actual_access:  read_only
        .address_space:  global
        .offset:         72
        .size:           8
        .value_kind:     global_buffer
      - .actual_access:  read_only
        .address_space:  global
        .offset:         80
        .size:           8
        .value_kind:     global_buffer
      - .offset:         88
        .size:           16
        .value_kind:     by_value
      - .actual_access:  read_only
        .address_space:  global
        .offset:         104
        .size:           8
        .value_kind:     global_buffer
      - .actual_access:  read_only
        .address_space:  global
        .offset:         112
        .size:           8
        .value_kind:     global_buffer
      - .actual_access:  read_only
        .address_space:  global
        .offset:         120
        .size:           8
        .value_kind:     global_buffer
      - .actual_access:  read_only
        .address_space:  global
        .offset:         128
        .size:           8
        .value_kind:     global_buffer
      - .actual_access:  read_only
        .address_space:  global
        .offset:         136
        .size:           8
        .value_kind:     global_buffer
      - .actual_access:  write_only
        .address_space:  global
        .offset:         144
        .size:           8
        .value_kind:     global_buffer
      - .offset:         152
        .size:           4
        .value_kind:     by_value
      - .offset:         156
        .size:           4
        .value_kind:     by_value
      - .offset:         160
        .size:           4
        .value_kind:     by_value
      - .offset:         164
        .size:           4
        .value_kind:     by_value
      - .offset:         168
        .size:           1
        .value_kind:     by_value
      - .offset:         169
        .size:           1
        .value_kind:     by_value
      - .offset:         170
        .size:           1
        .value_kind:     by_value
    .group_segment_fixed_size: 0
    .kernarg_segment_align: 8
    .kernarg_segment_size: 172
    .language:       OpenCL C
    .language_version:
      - 2
      - 0
    .max_flat_workgroup_size: 1024
    .name:           _ZN9rocsparseL41csrgemm_numeric_fill_block_per_row_kernelILj1024ELj32ELj2048ELj137ELj32Eli21rocsparse_complex_numIdEEEvT5_PKS3_S5_NS_24const_host_device_scalarIT6_EEPKT4_S5_PKS7_SB_S5_SD_S8_SB_S5_SD_SB_S5_PS7_21rocsparse_index_base_SF_SF_SF_bbb
    .private_segment_fixed_size: 40
    .sgpr_count:     52
    .sgpr_spill_count: 0
    .symbol:         _ZN9rocsparseL41csrgemm_numeric_fill_block_per_row_kernelILj1024ELj32ELj2048ELj137ELj32Eli21rocsparse_complex_numIdEEEvT5_PKS3_S5_NS_24const_host_device_scalarIT6_EEPKT4_S5_PKS7_SB_S5_SD_S8_SB_S5_SD_SB_S5_PS7_21rocsparse_index_base_SF_SF_SF_bbb.kd
    .uniform_work_group_size: 1
    .uses_dynamic_stack: false
    .vgpr_count:     34
    .vgpr_spill_count: 0
    .wavefront_size: 32
  - .args:
      - .offset:         0
        .size:           4
        .value_kind:     by_value
      - .actual_access:  read_only
        .address_space:  global
        .offset:         8
        .size:           8
        .value_kind:     global_buffer
      - .actual_access:  read_only
        .address_space:  global
        .offset:         16
        .size:           8
        .value_kind:     global_buffer
      - .offset:         24
        .size:           16
        .value_kind:     by_value
      - .actual_access:  read_only
        .address_space:  global
        .offset:         40
        .size:           8
        .value_kind:     global_buffer
      - .actual_access:  read_only
        .address_space:  global
        .offset:         48
        .size:           8
        .value_kind:     global_buffer
      - .actual_access:  read_only
        .address_space:  global
        .offset:         56
        .size:           8
        .value_kind:     global_buffer
      - .actual_access:  read_only
        .address_space:  global
        .offset:         64
        .size:           8
        .value_kind:     global_buffer
      - .actual_access:  read_only
        .address_space:  global
        .offset:         72
        .size:           8
        .value_kind:     global_buffer
      - .actual_access:  read_only
        .address_space:  global
        .offset:         80
        .size:           8
        .value_kind:     global_buffer
      - .offset:         88
        .size:           16
        .value_kind:     by_value
      - .actual_access:  read_only
        .address_space:  global
        .offset:         104
        .size:           8
        .value_kind:     global_buffer
      - .actual_access:  read_only
        .address_space:  global
        .offset:         112
        .size:           8
        .value_kind:     global_buffer
      - .actual_access:  read_only
        .address_space:  global
        .offset:         120
        .size:           8
        .value_kind:     global_buffer
      - .actual_access:  read_only
        .address_space:  global
        .offset:         128
        .size:           8
        .value_kind:     global_buffer
      - .actual_access:  read_only
        .address_space:  global
        .offset:         136
        .size:           8
        .value_kind:     global_buffer
      - .actual_access:  write_only
        .address_space:  global
        .offset:         144
        .size:           8
        .value_kind:     global_buffer
      - .offset:         152
        .size:           4
        .value_kind:     by_value
      - .offset:         156
        .size:           4
        .value_kind:     by_value
      - .offset:         160
        .size:           4
        .value_kind:     by_value
      - .offset:         164
        .size:           4
        .value_kind:     by_value
      - .offset:         168
        .size:           1
        .value_kind:     by_value
      - .offset:         169
        .size:           1
        .value_kind:     by_value
      - .offset:         170
        .size:           1
        .value_kind:     by_value
    .group_segment_fixed_size: 0
    .kernarg_segment_align: 8
    .kernarg_segment_size: 172
    .language:       OpenCL C
    .language_version:
      - 2
      - 0
    .max_flat_workgroup_size: 1024
    .name:           _ZN9rocsparseL41csrgemm_numeric_fill_block_per_row_kernelILj1024ELj32ELj2048ELj137ELj64Eli21rocsparse_complex_numIdEEEvT5_PKS3_S5_NS_24const_host_device_scalarIT6_EEPKT4_S5_PKS7_SB_S5_SD_S8_SB_S5_SD_SB_S5_PS7_21rocsparse_index_base_SF_SF_SF_bbb
    .private_segment_fixed_size: 40
    .sgpr_count:     46
    .sgpr_spill_count: 0
    .symbol:         _ZN9rocsparseL41csrgemm_numeric_fill_block_per_row_kernelILj1024ELj32ELj2048ELj137ELj64Eli21rocsparse_complex_numIdEEEvT5_PKS3_S5_NS_24const_host_device_scalarIT6_EEPKT4_S5_PKS7_SB_S5_SD_S8_SB_S5_SD_SB_S5_PS7_21rocsparse_index_base_SF_SF_SF_bbb.kd
    .uniform_work_group_size: 1
    .uses_dynamic_stack: false
    .vgpr_count:     33
    .vgpr_spill_count: 0
    .wavefront_size: 32
  - .args:
      - .offset:         0
        .size:           4
        .value_kind:     by_value
      - .actual_access:  read_only
        .address_space:  global
        .offset:         8
        .size:           8
        .value_kind:     global_buffer
      - .actual_access:  read_only
        .address_space:  global
        .offset:         16
        .size:           8
        .value_kind:     global_buffer
      - .offset:         24
        .size:           16
        .value_kind:     by_value
      - .actual_access:  read_only
        .address_space:  global
        .offset:         40
        .size:           8
        .value_kind:     global_buffer
      - .actual_access:  read_only
        .address_space:  global
        .offset:         48
        .size:           8
        .value_kind:     global_buffer
      - .actual_access:  read_only
        .address_space:  global
        .offset:         56
        .size:           8
        .value_kind:     global_buffer
      - .actual_access:  read_only
        .address_space:  global
        .offset:         64
        .size:           8
        .value_kind:     global_buffer
      - .actual_access:  read_only
        .address_space:  global
        .offset:         72
        .size:           8
        .value_kind:     global_buffer
      - .actual_access:  read_only
        .address_space:  global
        .offset:         80
        .size:           8
        .value_kind:     global_buffer
      - .offset:         88
        .size:           16
        .value_kind:     by_value
      - .actual_access:  read_only
        .address_space:  global
        .offset:         104
        .size:           8
        .value_kind:     global_buffer
      - .actual_access:  read_only
        .address_space:  global
        .offset:         112
        .size:           8
        .value_kind:     global_buffer
      - .actual_access:  read_only
        .address_space:  global
        .offset:         120
        .size:           8
        .value_kind:     global_buffer
      - .actual_access:  read_only
        .address_space:  global
        .offset:         128
        .size:           8
        .value_kind:     global_buffer
      - .actual_access:  read_only
        .address_space:  global
        .offset:         136
        .size:           8
        .value_kind:     global_buffer
      - .actual_access:  write_only
        .address_space:  global
        .offset:         144
        .size:           8
        .value_kind:     global_buffer
      - .offset:         152
        .size:           4
        .value_kind:     by_value
      - .offset:         156
        .size:           4
        .value_kind:     by_value
      - .offset:         160
        .size:           4
        .value_kind:     by_value
      - .offset:         164
        .size:           4
        .value_kind:     by_value
      - .offset:         168
        .size:           1
        .value_kind:     by_value
      - .offset:         169
        .size:           1
        .value_kind:     by_value
      - .offset:         170
        .size:           1
        .value_kind:     by_value
    .group_segment_fixed_size: 0
    .kernarg_segment_align: 8
    .kernarg_segment_size: 172
    .language:       OpenCL C
    .language_version:
      - 2
      - 0
    .max_flat_workgroup_size: 1024
    .name:           _ZN9rocsparseL41csrgemm_numeric_fill_block_per_row_kernelILj1024ELj64ELj4096ELj137ELj32Eli21rocsparse_complex_numIdEEEvT5_PKS3_S5_NS_24const_host_device_scalarIT6_EEPKT4_S5_PKS7_SB_S5_SD_S8_SB_S5_SD_SB_S5_PS7_21rocsparse_index_base_SF_SF_SF_bbb
    .private_segment_fixed_size: 40
    .sgpr_count:     76
    .sgpr_spill_count: 0
    .symbol:         _ZN9rocsparseL41csrgemm_numeric_fill_block_per_row_kernelILj1024ELj64ELj4096ELj137ELj32Eli21rocsparse_complex_numIdEEEvT5_PKS3_S5_NS_24const_host_device_scalarIT6_EEPKT4_S5_PKS7_SB_S5_SD_S8_SB_S5_SD_SB_S5_PS7_21rocsparse_index_base_SF_SF_SF_bbb.kd
    .uniform_work_group_size: 1
    .uses_dynamic_stack: false
    .vgpr_count:     33
    .vgpr_spill_count: 0
    .wavefront_size: 32
  - .args:
      - .offset:         0
        .size:           4
        .value_kind:     by_value
      - .actual_access:  read_only
        .address_space:  global
        .offset:         8
        .size:           8
        .value_kind:     global_buffer
      - .actual_access:  read_only
        .address_space:  global
        .offset:         16
        .size:           8
        .value_kind:     global_buffer
      - .offset:         24
        .size:           16
        .value_kind:     by_value
      - .actual_access:  read_only
        .address_space:  global
        .offset:         40
        .size:           8
        .value_kind:     global_buffer
      - .actual_access:  read_only
        .address_space:  global
        .offset:         48
        .size:           8
        .value_kind:     global_buffer
      - .actual_access:  read_only
        .address_space:  global
        .offset:         56
        .size:           8
        .value_kind:     global_buffer
      - .actual_access:  read_only
        .address_space:  global
        .offset:         64
        .size:           8
        .value_kind:     global_buffer
      - .actual_access:  read_only
        .address_space:  global
        .offset:         72
        .size:           8
        .value_kind:     global_buffer
      - .actual_access:  read_only
        .address_space:  global
        .offset:         80
        .size:           8
        .value_kind:     global_buffer
      - .offset:         88
        .size:           16
        .value_kind:     by_value
      - .actual_access:  read_only
        .address_space:  global
        .offset:         104
        .size:           8
        .value_kind:     global_buffer
      - .actual_access:  read_only
        .address_space:  global
        .offset:         112
        .size:           8
        .value_kind:     global_buffer
      - .actual_access:  read_only
        .address_space:  global
        .offset:         120
        .size:           8
        .value_kind:     global_buffer
      - .actual_access:  read_only
        .address_space:  global
        .offset:         128
        .size:           8
        .value_kind:     global_buffer
      - .actual_access:  read_only
        .address_space:  global
        .offset:         136
        .size:           8
        .value_kind:     global_buffer
      - .actual_access:  write_only
        .address_space:  global
        .offset:         144
        .size:           8
        .value_kind:     global_buffer
      - .offset:         152
        .size:           4
        .value_kind:     by_value
      - .offset:         156
        .size:           4
        .value_kind:     by_value
      - .offset:         160
        .size:           4
        .value_kind:     by_value
      - .offset:         164
        .size:           4
        .value_kind:     by_value
      - .offset:         168
        .size:           1
        .value_kind:     by_value
      - .offset:         169
        .size:           1
        .value_kind:     by_value
      - .offset:         170
        .size:           1
        .value_kind:     by_value
    .group_segment_fixed_size: 0
    .kernarg_segment_align: 8
    .kernarg_segment_size: 172
    .language:       OpenCL C
    .language_version:
      - 2
      - 0
    .max_flat_workgroup_size: 1024
    .name:           _ZN9rocsparseL41csrgemm_numeric_fill_block_per_row_kernelILj1024ELj64ELj4096ELj137ELj64Eli21rocsparse_complex_numIdEEEvT5_PKS3_S5_NS_24const_host_device_scalarIT6_EEPKT4_S5_PKS7_SB_S5_SD_S8_SB_S5_SD_SB_S5_PS7_21rocsparse_index_base_SF_SF_SF_bbb
    .private_segment_fixed_size: 40
    .sgpr_count:     46
    .sgpr_spill_count: 0
    .symbol:         _ZN9rocsparseL41csrgemm_numeric_fill_block_per_row_kernelILj1024ELj64ELj4096ELj137ELj64Eli21rocsparse_complex_numIdEEEvT5_PKS3_S5_NS_24const_host_device_scalarIT6_EEPKT4_S5_PKS7_SB_S5_SD_S8_SB_S5_SD_SB_S5_PS7_21rocsparse_index_base_SF_SF_SF_bbb.kd
    .uniform_work_group_size: 1
    .uses_dynamic_stack: false
    .vgpr_count:     34
    .vgpr_spill_count: 0
    .wavefront_size: 32
  - .args:
      - .offset:         0
        .size:           4
        .value_kind:     by_value
      - .actual_access:  read_only
        .address_space:  global
        .offset:         8
        .size:           8
        .value_kind:     global_buffer
      - .actual_access:  read_only
        .address_space:  global
        .offset:         16
        .size:           8
        .value_kind:     global_buffer
      - .offset:         24
        .size:           16
        .value_kind:     by_value
      - .actual_access:  read_only
        .address_space:  global
        .offset:         40
        .size:           8
        .value_kind:     global_buffer
      - .actual_access:  read_only
        .address_space:  global
        .offset:         48
        .size:           8
        .value_kind:     global_buffer
      - .actual_access:  read_only
        .address_space:  global
        .offset:         56
        .size:           8
        .value_kind:     global_buffer
      - .actual_access:  read_only
        .address_space:  global
        .offset:         64
        .size:           8
        .value_kind:     global_buffer
      - .actual_access:  read_only
        .address_space:  global
        .offset:         72
        .size:           8
        .value_kind:     global_buffer
      - .actual_access:  read_only
        .address_space:  global
        .offset:         80
        .size:           8
        .value_kind:     global_buffer
      - .offset:         88
        .size:           16
        .value_kind:     by_value
      - .actual_access:  read_only
        .address_space:  global
        .offset:         104
        .size:           8
        .value_kind:     global_buffer
      - .actual_access:  read_only
        .address_space:  global
        .offset:         112
        .size:           8
        .value_kind:     global_buffer
      - .actual_access:  read_only
        .address_space:  global
        .offset:         120
        .size:           8
        .value_kind:     global_buffer
      - .actual_access:  read_only
        .address_space:  global
        .offset:         128
        .size:           8
        .value_kind:     global_buffer
      - .actual_access:  read_only
        .address_space:  global
        .offset:         136
        .size:           8
        .value_kind:     global_buffer
      - .actual_access:  write_only
        .address_space:  global
        .offset:         144
        .size:           8
        .value_kind:     global_buffer
      - .offset:         152
        .size:           4
        .value_kind:     by_value
      - .offset:         156
        .size:           4
        .value_kind:     by_value
      - .offset:         160
        .size:           4
        .value_kind:     by_value
      - .offset:         164
        .size:           4
        .value_kind:     by_value
      - .offset:         168
        .size:           1
        .value_kind:     by_value
      - .offset:         169
        .size:           1
        .value_kind:     by_value
      - .offset:         170
        .size:           1
        .value_kind:     by_value
    .group_segment_fixed_size: 0
    .kernarg_segment_align: 8
    .kernarg_segment_size: 172
    .language:       OpenCL C
    .language_version:
      - 2
      - 0
    .max_flat_workgroup_size: 1024
    .name:           _ZN9rocsparseL41csrgemm_numeric_fill_block_per_row_kernelILj1024ELj64ELj8192ELj137ELj32Eli21rocsparse_complex_numIdEEEvT5_PKS3_S5_NS_24const_host_device_scalarIT6_EEPKT4_S5_PKS7_SB_S5_SD_S8_SB_S5_SD_SB_S5_PS7_21rocsparse_index_base_SF_SF_SF_bbb
    .private_segment_fixed_size: 40
    .sgpr_count:     76
    .sgpr_spill_count: 0
    .symbol:         _ZN9rocsparseL41csrgemm_numeric_fill_block_per_row_kernelILj1024ELj64ELj8192ELj137ELj32Eli21rocsparse_complex_numIdEEEvT5_PKS3_S5_NS_24const_host_device_scalarIT6_EEPKT4_S5_PKS7_SB_S5_SD_S8_SB_S5_SD_SB_S5_PS7_21rocsparse_index_base_SF_SF_SF_bbb.kd
    .uniform_work_group_size: 1
    .uses_dynamic_stack: false
    .vgpr_count:     32
    .vgpr_spill_count: 0
    .wavefront_size: 32
  - .args:
      - .offset:         0
        .size:           4
        .value_kind:     by_value
      - .actual_access:  read_only
        .address_space:  global
        .offset:         8
        .size:           8
        .value_kind:     global_buffer
      - .actual_access:  read_only
        .address_space:  global
        .offset:         16
        .size:           8
        .value_kind:     global_buffer
      - .offset:         24
        .size:           16
        .value_kind:     by_value
      - .actual_access:  read_only
        .address_space:  global
        .offset:         40
        .size:           8
        .value_kind:     global_buffer
      - .actual_access:  read_only
        .address_space:  global
        .offset:         48
        .size:           8
        .value_kind:     global_buffer
      - .actual_access:  read_only
        .address_space:  global
        .offset:         56
        .size:           8
        .value_kind:     global_buffer
      - .actual_access:  read_only
        .address_space:  global
        .offset:         64
        .size:           8
        .value_kind:     global_buffer
      - .actual_access:  read_only
        .address_space:  global
        .offset:         72
        .size:           8
        .value_kind:     global_buffer
      - .actual_access:  read_only
        .address_space:  global
        .offset:         80
        .size:           8
        .value_kind:     global_buffer
      - .offset:         88
        .size:           16
        .value_kind:     by_value
      - .actual_access:  read_only
        .address_space:  global
        .offset:         104
        .size:           8
        .value_kind:     global_buffer
      - .actual_access:  read_only
        .address_space:  global
        .offset:         112
        .size:           8
        .value_kind:     global_buffer
      - .actual_access:  read_only
        .address_space:  global
        .offset:         120
        .size:           8
        .value_kind:     global_buffer
      - .actual_access:  read_only
        .address_space:  global
        .offset:         128
        .size:           8
        .value_kind:     global_buffer
      - .actual_access:  read_only
        .address_space:  global
        .offset:         136
        .size:           8
        .value_kind:     global_buffer
      - .actual_access:  write_only
        .address_space:  global
        .offset:         144
        .size:           8
        .value_kind:     global_buffer
      - .offset:         152
        .size:           4
        .value_kind:     by_value
      - .offset:         156
        .size:           4
        .value_kind:     by_value
      - .offset:         160
        .size:           4
        .value_kind:     by_value
      - .offset:         164
        .size:           4
        .value_kind:     by_value
      - .offset:         168
        .size:           1
        .value_kind:     by_value
      - .offset:         169
        .size:           1
        .value_kind:     by_value
      - .offset:         170
        .size:           1
        .value_kind:     by_value
    .group_segment_fixed_size: 0
    .kernarg_segment_align: 8
    .kernarg_segment_size: 172
    .language:       OpenCL C
    .language_version:
      - 2
      - 0
    .max_flat_workgroup_size: 1024
    .name:           _ZN9rocsparseL41csrgemm_numeric_fill_block_per_row_kernelILj1024ELj64ELj8192ELj137ELj64Eli21rocsparse_complex_numIdEEEvT5_PKS3_S5_NS_24const_host_device_scalarIT6_EEPKT4_S5_PKS7_SB_S5_SD_S8_SB_S5_SD_SB_S5_PS7_21rocsparse_index_base_SF_SF_SF_bbb
    .private_segment_fixed_size: 40
    .sgpr_count:     44
    .sgpr_spill_count: 0
    .symbol:         _ZN9rocsparseL41csrgemm_numeric_fill_block_per_row_kernelILj1024ELj64ELj8192ELj137ELj64Eli21rocsparse_complex_numIdEEEvT5_PKS3_S5_NS_24const_host_device_scalarIT6_EEPKT4_S5_PKS7_SB_S5_SD_S8_SB_S5_SD_SB_S5_PS7_21rocsparse_index_base_SF_SF_SF_bbb.kd
    .uniform_work_group_size: 1
    .uses_dynamic_stack: false
    .vgpr_count:     34
    .vgpr_spill_count: 0
    .wavefront_size: 32
  - .args:
      - .offset:         0
        .size:           4
        .value_kind:     by_value
      - .actual_access:  read_only
        .address_space:  global
        .offset:         8
        .size:           8
        .value_kind:     global_buffer
      - .actual_access:  read_only
        .address_space:  global
        .offset:         16
        .size:           8
        .value_kind:     global_buffer
      - .offset:         24
        .size:           16
        .value_kind:     by_value
      - .actual_access:  read_only
        .address_space:  global
        .offset:         40
        .size:           8
        .value_kind:     global_buffer
      - .actual_access:  read_only
        .address_space:  global
        .offset:         48
        .size:           8
        .value_kind:     global_buffer
      - .actual_access:  read_only
        .address_space:  global
        .offset:         56
        .size:           8
        .value_kind:     global_buffer
      - .actual_access:  read_only
        .address_space:  global
        .offset:         64
        .size:           8
        .value_kind:     global_buffer
      - .actual_access:  read_only
        .address_space:  global
        .offset:         72
        .size:           8
        .value_kind:     global_buffer
      - .actual_access:  read_only
        .address_space:  global
        .offset:         80
        .size:           8
        .value_kind:     global_buffer
      - .offset:         88
        .size:           16
        .value_kind:     by_value
      - .actual_access:  read_only
        .address_space:  global
        .offset:         104
        .size:           8
        .value_kind:     global_buffer
      - .actual_access:  read_only
        .address_space:  global
        .offset:         112
        .size:           8
        .value_kind:     global_buffer
      - .actual_access:  read_only
        .address_space:  global
        .offset:         120
        .size:           8
        .value_kind:     global_buffer
      - .actual_access:  read_only
        .address_space:  global
        .offset:         128
        .size:           8
        .value_kind:     global_buffer
      - .actual_access:  read_only
        .address_space:  global
        .offset:         136
        .size:           8
        .value_kind:     global_buffer
      - .actual_access:  write_only
        .address_space:  global
        .offset:         144
        .size:           8
        .value_kind:     global_buffer
      - .offset:         152
        .size:           4
        .value_kind:     by_value
      - .offset:         156
        .size:           4
        .value_kind:     by_value
      - .offset:         160
        .size:           4
        .value_kind:     by_value
      - .offset:         164
        .size:           4
        .value_kind:     by_value
      - .offset:         168
        .size:           1
        .value_kind:     by_value
      - .offset:         169
        .size:           1
        .value_kind:     by_value
      - .offset:         170
        .size:           1
        .value_kind:     by_value
    .group_segment_fixed_size: 0
    .kernarg_segment_align: 8
    .kernarg_segment_size: 172
    .language:       OpenCL C
    .language_version:
      - 2
      - 0
    .max_flat_workgroup_size: 1024
    .name:           _ZN9rocsparseL41csrgemm_numeric_fill_block_per_row_kernelILj1024ELj64ELj16384ELj137ELj32Eli21rocsparse_complex_numIdEEEvT5_PKS3_S5_NS_24const_host_device_scalarIT6_EEPKT4_S5_PKS7_SB_S5_SD_S8_SB_S5_SD_SB_S5_PS7_21rocsparse_index_base_SF_SF_SF_bbb
    .private_segment_fixed_size: 40
    .sgpr_count:     76
    .sgpr_spill_count: 0
    .symbol:         _ZN9rocsparseL41csrgemm_numeric_fill_block_per_row_kernelILj1024ELj64ELj16384ELj137ELj32Eli21rocsparse_complex_numIdEEEvT5_PKS3_S5_NS_24const_host_device_scalarIT6_EEPKT4_S5_PKS7_SB_S5_SD_S8_SB_S5_SD_SB_S5_PS7_21rocsparse_index_base_SF_SF_SF_bbb.kd
    .uniform_work_group_size: 1
    .uses_dynamic_stack: false
    .vgpr_count:     33
    .vgpr_spill_count: 0
    .wavefront_size: 32
  - .args:
      - .offset:         0
        .size:           4
        .value_kind:     by_value
      - .actual_access:  read_only
        .address_space:  global
        .offset:         8
        .size:           8
        .value_kind:     global_buffer
      - .actual_access:  read_only
        .address_space:  global
        .offset:         16
        .size:           8
        .value_kind:     global_buffer
      - .offset:         24
        .size:           16
        .value_kind:     by_value
      - .actual_access:  read_only
        .address_space:  global
        .offset:         40
        .size:           8
        .value_kind:     global_buffer
      - .actual_access:  read_only
        .address_space:  global
        .offset:         48
        .size:           8
        .value_kind:     global_buffer
      - .actual_access:  read_only
        .address_space:  global
        .offset:         56
        .size:           8
        .value_kind:     global_buffer
      - .actual_access:  read_only
        .address_space:  global
        .offset:         64
        .size:           8
        .value_kind:     global_buffer
      - .actual_access:  read_only
        .address_space:  global
        .offset:         72
        .size:           8
        .value_kind:     global_buffer
      - .actual_access:  read_only
        .address_space:  global
        .offset:         80
        .size:           8
        .value_kind:     global_buffer
      - .offset:         88
        .size:           16
        .value_kind:     by_value
      - .actual_access:  read_only
        .address_space:  global
        .offset:         104
        .size:           8
        .value_kind:     global_buffer
      - .actual_access:  read_only
        .address_space:  global
        .offset:         112
        .size:           8
        .value_kind:     global_buffer
      - .actual_access:  read_only
        .address_space:  global
        .offset:         120
        .size:           8
        .value_kind:     global_buffer
      - .actual_access:  read_only
        .address_space:  global
        .offset:         128
        .size:           8
        .value_kind:     global_buffer
      - .actual_access:  read_only
        .address_space:  global
        .offset:         136
        .size:           8
        .value_kind:     global_buffer
      - .actual_access:  write_only
        .address_space:  global
        .offset:         144
        .size:           8
        .value_kind:     global_buffer
      - .offset:         152
        .size:           4
        .value_kind:     by_value
      - .offset:         156
        .size:           4
        .value_kind:     by_value
      - .offset:         160
        .size:           4
        .value_kind:     by_value
      - .offset:         164
        .size:           4
        .value_kind:     by_value
      - .offset:         168
        .size:           1
        .value_kind:     by_value
      - .offset:         169
        .size:           1
        .value_kind:     by_value
      - .offset:         170
        .size:           1
        .value_kind:     by_value
    .group_segment_fixed_size: 0
    .kernarg_segment_align: 8
    .kernarg_segment_size: 172
    .language:       OpenCL C
    .language_version:
      - 2
      - 0
    .max_flat_workgroup_size: 1024
    .name:           _ZN9rocsparseL41csrgemm_numeric_fill_block_per_row_kernelILj1024ELj64ELj16384ELj137ELj64Eli21rocsparse_complex_numIdEEEvT5_PKS3_S5_NS_24const_host_device_scalarIT6_EEPKT4_S5_PKS7_SB_S5_SD_S8_SB_S5_SD_SB_S5_PS7_21rocsparse_index_base_SF_SF_SF_bbb
    .private_segment_fixed_size: 40
    .sgpr_count:     46
    .sgpr_spill_count: 0
    .symbol:         _ZN9rocsparseL41csrgemm_numeric_fill_block_per_row_kernelILj1024ELj64ELj16384ELj137ELj64Eli21rocsparse_complex_numIdEEEvT5_PKS3_S5_NS_24const_host_device_scalarIT6_EEPKT4_S5_PKS7_SB_S5_SD_S8_SB_S5_SD_SB_S5_PS7_21rocsparse_index_base_SF_SF_SF_bbb.kd
    .uniform_work_group_size: 1
    .uses_dynamic_stack: false
    .vgpr_count:     34
    .vgpr_spill_count: 0
    .wavefront_size: 32
  - .args:
      - .offset:         0
        .size:           4
        .value_kind:     by_value
      - .actual_access:  read_only
        .address_space:  global
        .offset:         8
        .size:           8
        .value_kind:     global_buffer
      - .actual_access:  read_only
        .address_space:  global
        .offset:         16
        .size:           8
        .value_kind:     global_buffer
      - .offset:         24
        .size:           16
        .value_kind:     by_value
      - .actual_access:  read_only
        .address_space:  global
        .offset:         40
        .size:           8
        .value_kind:     global_buffer
      - .actual_access:  read_only
        .address_space:  global
        .offset:         48
        .size:           8
        .value_kind:     global_buffer
      - .actual_access:  read_only
        .address_space:  global
        .offset:         56
        .size:           8
        .value_kind:     global_buffer
      - .actual_access:  read_only
        .address_space:  global
        .offset:         64
        .size:           8
        .value_kind:     global_buffer
      - .actual_access:  read_only
        .address_space:  global
        .offset:         72
        .size:           8
        .value_kind:     global_buffer
      - .actual_access:  read_only
        .address_space:  global
        .offset:         80
        .size:           8
        .value_kind:     global_buffer
      - .offset:         88
        .size:           16
        .value_kind:     by_value
      - .actual_access:  read_only
        .address_space:  global
        .offset:         104
        .size:           8
        .value_kind:     global_buffer
      - .actual_access:  read_only
        .address_space:  global
        .offset:         112
        .size:           8
        .value_kind:     global_buffer
      - .actual_access:  read_only
        .address_space:  global
        .offset:         120
        .size:           8
        .value_kind:     global_buffer
      - .actual_access:  read_only
        .address_space:  global
        .offset:         128
        .size:           8
        .value_kind:     global_buffer
      - .actual_access:  read_only
        .address_space:  global
        .offset:         136
        .size:           8
        .value_kind:     global_buffer
      - .actual_access:  write_only
        .address_space:  global
        .offset:         144
        .size:           8
        .value_kind:     global_buffer
      - .offset:         152
        .size:           4
        .value_kind:     by_value
      - .offset:         156
        .size:           4
        .value_kind:     by_value
      - .offset:         160
        .size:           4
        .value_kind:     by_value
      - .offset:         164
        .size:           4
        .value_kind:     by_value
      - .offset:         168
        .size:           1
        .value_kind:     by_value
      - .offset:         169
        .size:           1
        .value_kind:     by_value
      - .offset:         170
        .size:           1
        .value_kind:     by_value
    .group_segment_fixed_size: 0
    .kernarg_segment_align: 8
    .kernarg_segment_size: 172
    .language:       OpenCL C
    .language_version:
      - 2
      - 0
    .max_flat_workgroup_size: 1024
    .name:           _ZN9rocsparseL41csrgemm_numeric_fill_block_per_row_kernelILj1024ELj64ELj32768ELj137ELj32Eli21rocsparse_complex_numIdEEEvT5_PKS3_S5_NS_24const_host_device_scalarIT6_EEPKT4_S5_PKS7_SB_S5_SD_S8_SB_S5_SD_SB_S5_PS7_21rocsparse_index_base_SF_SF_SF_bbb
    .private_segment_fixed_size: 40
    .sgpr_count:     76
    .sgpr_spill_count: 0
    .symbol:         _ZN9rocsparseL41csrgemm_numeric_fill_block_per_row_kernelILj1024ELj64ELj32768ELj137ELj32Eli21rocsparse_complex_numIdEEEvT5_PKS3_S5_NS_24const_host_device_scalarIT6_EEPKT4_S5_PKS7_SB_S5_SD_S8_SB_S5_SD_SB_S5_PS7_21rocsparse_index_base_SF_SF_SF_bbb.kd
    .uniform_work_group_size: 1
    .uses_dynamic_stack: false
    .vgpr_count:     33
    .vgpr_spill_count: 0
    .wavefront_size: 32
  - .args:
      - .offset:         0
        .size:           4
        .value_kind:     by_value
      - .actual_access:  read_only
        .address_space:  global
        .offset:         8
        .size:           8
        .value_kind:     global_buffer
      - .actual_access:  read_only
        .address_space:  global
        .offset:         16
        .size:           8
        .value_kind:     global_buffer
      - .offset:         24
        .size:           16
        .value_kind:     by_value
      - .actual_access:  read_only
        .address_space:  global
        .offset:         40
        .size:           8
        .value_kind:     global_buffer
      - .actual_access:  read_only
        .address_space:  global
        .offset:         48
        .size:           8
        .value_kind:     global_buffer
      - .actual_access:  read_only
        .address_space:  global
        .offset:         56
        .size:           8
        .value_kind:     global_buffer
      - .actual_access:  read_only
        .address_space:  global
        .offset:         64
        .size:           8
        .value_kind:     global_buffer
      - .actual_access:  read_only
        .address_space:  global
        .offset:         72
        .size:           8
        .value_kind:     global_buffer
      - .actual_access:  read_only
        .address_space:  global
        .offset:         80
        .size:           8
        .value_kind:     global_buffer
      - .offset:         88
        .size:           16
        .value_kind:     by_value
      - .actual_access:  read_only
        .address_space:  global
        .offset:         104
        .size:           8
        .value_kind:     global_buffer
      - .actual_access:  read_only
        .address_space:  global
        .offset:         112
        .size:           8
        .value_kind:     global_buffer
      - .actual_access:  read_only
        .address_space:  global
        .offset:         120
        .size:           8
        .value_kind:     global_buffer
      - .actual_access:  read_only
        .address_space:  global
        .offset:         128
        .size:           8
        .value_kind:     global_buffer
      - .actual_access:  read_only
        .address_space:  global
        .offset:         136
        .size:           8
        .value_kind:     global_buffer
      - .actual_access:  write_only
        .address_space:  global
        .offset:         144
        .size:           8
        .value_kind:     global_buffer
      - .offset:         152
        .size:           4
        .value_kind:     by_value
      - .offset:         156
        .size:           4
        .value_kind:     by_value
      - .offset:         160
        .size:           4
        .value_kind:     by_value
      - .offset:         164
        .size:           4
        .value_kind:     by_value
      - .offset:         168
        .size:           1
        .value_kind:     by_value
      - .offset:         169
        .size:           1
        .value_kind:     by_value
      - .offset:         170
        .size:           1
        .value_kind:     by_value
    .group_segment_fixed_size: 0
    .kernarg_segment_align: 8
    .kernarg_segment_size: 172
    .language:       OpenCL C
    .language_version:
      - 2
      - 0
    .max_flat_workgroup_size: 1024
    .name:           _ZN9rocsparseL41csrgemm_numeric_fill_block_per_row_kernelILj1024ELj64ELj32768ELj137ELj64Eli21rocsparse_complex_numIdEEEvT5_PKS3_S5_NS_24const_host_device_scalarIT6_EEPKT4_S5_PKS7_SB_S5_SD_S8_SB_S5_SD_SB_S5_PS7_21rocsparse_index_base_SF_SF_SF_bbb
    .private_segment_fixed_size: 40
    .sgpr_count:     46
    .sgpr_spill_count: 0
    .symbol:         _ZN9rocsparseL41csrgemm_numeric_fill_block_per_row_kernelILj1024ELj64ELj32768ELj137ELj64Eli21rocsparse_complex_numIdEEEvT5_PKS3_S5_NS_24const_host_device_scalarIT6_EEPKT4_S5_PKS7_SB_S5_SD_S8_SB_S5_SD_SB_S5_PS7_21rocsparse_index_base_SF_SF_SF_bbb.kd
    .uniform_work_group_size: 1
    .uses_dynamic_stack: false
    .vgpr_count:     34
    .vgpr_spill_count: 0
    .wavefront_size: 32
  - .args:
      - .offset:         0
        .size:           4
        .value_kind:     by_value
      - .actual_access:  read_only
        .address_space:  global
        .offset:         8
        .size:           8
        .value_kind:     global_buffer
      - .actual_access:  read_only
        .address_space:  global
        .offset:         16
        .size:           8
        .value_kind:     global_buffer
      - .offset:         24
        .size:           16
        .value_kind:     by_value
      - .actual_access:  read_only
        .address_space:  global
        .offset:         40
        .size:           8
        .value_kind:     global_buffer
      - .actual_access:  read_only
        .address_space:  global
        .offset:         48
        .size:           8
        .value_kind:     global_buffer
      - .actual_access:  read_only
        .address_space:  global
        .offset:         56
        .size:           8
        .value_kind:     global_buffer
      - .actual_access:  read_only
        .address_space:  global
        .offset:         64
        .size:           8
        .value_kind:     global_buffer
      - .actual_access:  read_only
        .address_space:  global
        .offset:         72
        .size:           8
        .value_kind:     global_buffer
      - .actual_access:  read_only
        .address_space:  global
        .offset:         80
        .size:           8
        .value_kind:     global_buffer
      - .offset:         88
        .size:           16
        .value_kind:     by_value
      - .actual_access:  read_only
        .address_space:  global
        .offset:         104
        .size:           8
        .value_kind:     global_buffer
      - .actual_access:  read_only
        .address_space:  global
        .offset:         112
        .size:           8
        .value_kind:     global_buffer
      - .actual_access:  read_only
        .address_space:  global
        .offset:         120
        .size:           8
        .value_kind:     global_buffer
      - .actual_access:  read_only
        .address_space:  global
        .offset:         128
        .size:           8
        .value_kind:     global_buffer
      - .actual_access:  read_only
        .address_space:  global
        .offset:         136
        .size:           8
        .value_kind:     global_buffer
      - .actual_access:  write_only
        .address_space:  global
        .offset:         144
        .size:           8
        .value_kind:     global_buffer
      - .address_space:  global
        .offset:         152
        .size:           8
        .value_kind:     global_buffer
      - .offset:         160
        .size:           4
        .value_kind:     by_value
      - .offset:         164
        .size:           4
        .value_kind:     by_value
      - .offset:         168
        .size:           4
        .value_kind:     by_value
      - .offset:         172
        .size:           4
        .value_kind:     by_value
      - .offset:         176
        .size:           1
        .value_kind:     by_value
      - .offset:         177
        .size:           1
        .value_kind:     by_value
      - .offset:         178
        .size:           1
        .value_kind:     by_value
    .group_segment_fixed_size: 43016
    .kernarg_segment_align: 8
    .kernarg_segment_size: 180
    .language:       OpenCL C
    .language_version:
      - 2
      - 0
    .max_flat_workgroup_size: 512
    .name:           _ZN9rocsparseL51csrgemm_numeric_fill_block_per_row_multipass_kernelILj512ELj16ELj2048ELj32Eli21rocsparse_complex_numIdEEEvT4_PKS3_S5_NS_24const_host_device_scalarIT5_EEPKT3_S5_PKS7_SB_S5_SD_S8_SB_S5_SD_SB_S5_PS7_PS9_21rocsparse_index_base_SG_SG_SG_bbb
    .private_segment_fixed_size: 24
    .sgpr_count:     63
    .sgpr_spill_count: 0
    .symbol:         _ZN9rocsparseL51csrgemm_numeric_fill_block_per_row_multipass_kernelILj512ELj16ELj2048ELj32Eli21rocsparse_complex_numIdEEEvT4_PKS3_S5_NS_24const_host_device_scalarIT5_EEPKT3_S5_PKS7_SB_S5_SD_S8_SB_S5_SD_SB_S5_PS7_PS9_21rocsparse_index_base_SG_SG_SG_bbb.kd
    .uniform_work_group_size: 1
    .uses_dynamic_stack: false
    .vgpr_count:     58
    .vgpr_spill_count: 0
    .wavefront_size: 32
  - .args:
      - .offset:         0
        .size:           4
        .value_kind:     by_value
      - .actual_access:  read_only
        .address_space:  global
        .offset:         8
        .size:           8
        .value_kind:     global_buffer
      - .actual_access:  read_only
        .address_space:  global
        .offset:         16
        .size:           8
        .value_kind:     global_buffer
      - .offset:         24
        .size:           16
        .value_kind:     by_value
      - .actual_access:  read_only
        .address_space:  global
        .offset:         40
        .size:           8
        .value_kind:     global_buffer
      - .actual_access:  read_only
        .address_space:  global
        .offset:         48
        .size:           8
        .value_kind:     global_buffer
      - .actual_access:  read_only
        .address_space:  global
        .offset:         56
        .size:           8
        .value_kind:     global_buffer
      - .actual_access:  read_only
        .address_space:  global
        .offset:         64
        .size:           8
        .value_kind:     global_buffer
      - .actual_access:  read_only
        .address_space:  global
        .offset:         72
        .size:           8
        .value_kind:     global_buffer
      - .actual_access:  read_only
        .address_space:  global
        .offset:         80
        .size:           8
        .value_kind:     global_buffer
      - .offset:         88
        .size:           16
        .value_kind:     by_value
      - .actual_access:  read_only
        .address_space:  global
        .offset:         104
        .size:           8
        .value_kind:     global_buffer
      - .actual_access:  read_only
        .address_space:  global
        .offset:         112
        .size:           8
        .value_kind:     global_buffer
      - .actual_access:  read_only
        .address_space:  global
        .offset:         120
        .size:           8
        .value_kind:     global_buffer
      - .actual_access:  read_only
        .address_space:  global
        .offset:         128
        .size:           8
        .value_kind:     global_buffer
      - .actual_access:  read_only
        .address_space:  global
        .offset:         136
        .size:           8
        .value_kind:     global_buffer
      - .actual_access:  write_only
        .address_space:  global
        .offset:         144
        .size:           8
        .value_kind:     global_buffer
      - .address_space:  global
        .offset:         152
        .size:           8
        .value_kind:     global_buffer
      - .offset:         160
        .size:           4
        .value_kind:     by_value
      - .offset:         164
        .size:           4
        .value_kind:     by_value
      - .offset:         168
        .size:           4
        .value_kind:     by_value
      - .offset:         172
        .size:           4
        .value_kind:     by_value
      - .offset:         176
        .size:           1
        .value_kind:     by_value
      - .offset:         177
        .size:           1
        .value_kind:     by_value
      - .offset:         178
        .size:           1
        .value_kind:     by_value
    .group_segment_fixed_size: 43016
    .kernarg_segment_align: 8
    .kernarg_segment_size: 180
    .language:       OpenCL C
    .language_version:
      - 2
      - 0
    .max_flat_workgroup_size: 512
    .name:           _ZN9rocsparseL51csrgemm_numeric_fill_block_per_row_multipass_kernelILj512ELj16ELj2048ELj64Eli21rocsparse_complex_numIdEEEvT4_PKS3_S5_NS_24const_host_device_scalarIT5_EEPKT3_S5_PKS7_SB_S5_SD_S8_SB_S5_SD_SB_S5_PS7_PS9_21rocsparse_index_base_SG_SG_SG_bbb
    .private_segment_fixed_size: 24
    .sgpr_count:     55
    .sgpr_spill_count: 0
    .symbol:         _ZN9rocsparseL51csrgemm_numeric_fill_block_per_row_multipass_kernelILj512ELj16ELj2048ELj64Eli21rocsparse_complex_numIdEEEvT4_PKS3_S5_NS_24const_host_device_scalarIT5_EEPKT3_S5_PKS7_SB_S5_SD_S8_SB_S5_SD_SB_S5_PS7_PS9_21rocsparse_index_base_SG_SG_SG_bbb.kd
    .uniform_work_group_size: 1
    .uses_dynamic_stack: false
    .vgpr_count:     58
    .vgpr_spill_count: 0
    .wavefront_size: 32
amdhsa.target:   amdgcn-amd-amdhsa--gfx1250
amdhsa.version:
  - 1
  - 2
...

	.end_amdgpu_metadata
